;; amdgpu-corpus repo=ROCm/rocBLAS kind=compiled arch=gfx90a opt=O3
	.text
	.amdgcn_target "amdgcn-amd-amdhsa--gfx90a"
	.amdhsa_code_object_version 6
	.section	.text._ZN12_GLOBAL__N_125rocblas_gemm_scale_kernelILi32ELi32EDF16_PDF16_EEviiT1_T2_llli,"axG",@progbits,_ZN12_GLOBAL__N_125rocblas_gemm_scale_kernelILi32ELi32EDF16_PDF16_EEviiT1_T2_llli,comdat
	.globl	_ZN12_GLOBAL__N_125rocblas_gemm_scale_kernelILi32ELi32EDF16_PDF16_EEviiT1_T2_llli ; -- Begin function _ZN12_GLOBAL__N_125rocblas_gemm_scale_kernelILi32ELi32EDF16_PDF16_EEviiT1_T2_llli
	.p2align	8
	.type	_ZN12_GLOBAL__N_125rocblas_gemm_scale_kernelILi32ELi32EDF16_PDF16_EEviiT1_T2_llli,@function
_ZN12_GLOBAL__N_125rocblas_gemm_scale_kernelILi32ELi32EDF16_PDF16_EEviiT1_T2_llli: ; @_ZN12_GLOBAL__N_125rocblas_gemm_scale_kernelILi32ELi32EDF16_PDF16_EEviiT1_T2_llli
; %bb.0:
	s_load_dwordx4 s[0:3], s[4:5], 0x0
	v_and_b32_e32 v1, 0x3ff, v0
	v_bfe_u32 v0, v0, 10, 10
	v_lshl_add_u32 v2, s6, 5, v1
	v_lshl_add_u32 v0, s7, 5, v0
	s_waitcnt lgkmcnt(0)
	v_cmp_gt_u32_e32 vcc, s0, v2
	v_cmp_gt_u32_e64 s[0:1], s1, v0
	s_and_b64 s[0:1], vcc, s[0:1]
	s_and_saveexec_b64 s[6:7], s[0:1]
	s_cbranch_execz .LBB0_4
; %bb.1:
	s_load_dwordx8 s[12:19], s[4:5], 0x10
	v_mov_b32_e32 v3, 0
	v_mov_b32_e32 v6, 0
	s_waitcnt lgkmcnt(0)
	s_mul_i32 s1, s8, s19
	s_mul_hi_u32 s3, s8, s18
	s_mul_i32 s0, s8, s18
	s_add_i32 s1, s3, s1
	s_lshl_b64 s[0:1], s[0:1], 1
	s_add_u32 s3, s12, s0
	v_mad_u64_u32 v[4:5], s[6:7], v0, s16, 0
	s_addc_u32 s4, s13, s1
	s_lshl_b64 s[0:1], s[14:15], 1
	v_mov_b32_e32 v8, v5
	s_add_u32 s0, s3, s0
	v_mad_u64_u32 v[0:1], s[6:7], v0, s17, v[8:9]
	s_addc_u32 s1, s4, s1
	v_cmp_eq_f16_e64 s[4:5], s2, 0
	v_mov_b32_e32 v5, v0
	s_and_b64 vcc, exec, s[4:5]
	v_lshlrev_b64 v[4:5], 1, v[4:5]
	v_lshlrev_b64 v[0:1], 1, v[2:3]
	s_cbranch_vccnz .LBB0_3
; %bb.2:
	v_mov_b32_e32 v2, s1
	v_add_co_u32_e32 v3, vcc, s0, v4
	v_addc_co_u32_e32 v6, vcc, v2, v5, vcc
	v_add_co_u32_e32 v2, vcc, v3, v0
	v_addc_co_u32_e32 v3, vcc, v6, v1, vcc
	global_load_ushort v2, v[2:3], off
	s_waitcnt vmcnt(0)
	v_mul_f16_e32 v6, s2, v2
.LBB0_3:
	v_mov_b32_e32 v2, s1
	v_add_co_u32_e32 v3, vcc, s0, v4
	v_addc_co_u32_e32 v2, vcc, v2, v5, vcc
	v_add_co_u32_e32 v0, vcc, v3, v0
	v_addc_co_u32_e32 v1, vcc, v2, v1, vcc
	global_store_short v[0:1], v6, off
.LBB0_4:
	s_endpgm
	.section	.rodata,"a",@progbits
	.p2align	6, 0x0
	.amdhsa_kernel _ZN12_GLOBAL__N_125rocblas_gemm_scale_kernelILi32ELi32EDF16_PDF16_EEviiT1_T2_llli
		.amdhsa_group_segment_fixed_size 0
		.amdhsa_private_segment_fixed_size 0
		.amdhsa_kernarg_size 52
		.amdhsa_user_sgpr_count 6
		.amdhsa_user_sgpr_private_segment_buffer 1
		.amdhsa_user_sgpr_dispatch_ptr 0
		.amdhsa_user_sgpr_queue_ptr 0
		.amdhsa_user_sgpr_kernarg_segment_ptr 1
		.amdhsa_user_sgpr_dispatch_id 0
		.amdhsa_user_sgpr_flat_scratch_init 0
		.amdhsa_user_sgpr_kernarg_preload_length 0
		.amdhsa_user_sgpr_kernarg_preload_offset 0
		.amdhsa_user_sgpr_private_segment_size 0
		.amdhsa_uses_dynamic_stack 0
		.amdhsa_system_sgpr_private_segment_wavefront_offset 0
		.amdhsa_system_sgpr_workgroup_id_x 1
		.amdhsa_system_sgpr_workgroup_id_y 1
		.amdhsa_system_sgpr_workgroup_id_z 1
		.amdhsa_system_sgpr_workgroup_info 0
		.amdhsa_system_vgpr_workitem_id 1
		.amdhsa_next_free_vgpr 10
		.amdhsa_next_free_sgpr 20
		.amdhsa_accum_offset 12
		.amdhsa_reserve_vcc 1
		.amdhsa_reserve_flat_scratch 0
		.amdhsa_float_round_mode_32 0
		.amdhsa_float_round_mode_16_64 0
		.amdhsa_float_denorm_mode_32 3
		.amdhsa_float_denorm_mode_16_64 3
		.amdhsa_dx10_clamp 1
		.amdhsa_ieee_mode 1
		.amdhsa_fp16_overflow 0
		.amdhsa_tg_split 0
		.amdhsa_exception_fp_ieee_invalid_op 0
		.amdhsa_exception_fp_denorm_src 0
		.amdhsa_exception_fp_ieee_div_zero 0
		.amdhsa_exception_fp_ieee_overflow 0
		.amdhsa_exception_fp_ieee_underflow 0
		.amdhsa_exception_fp_ieee_inexact 0
		.amdhsa_exception_int_div_zero 0
	.end_amdhsa_kernel
	.section	.text._ZN12_GLOBAL__N_125rocblas_gemm_scale_kernelILi32ELi32EDF16_PDF16_EEviiT1_T2_llli,"axG",@progbits,_ZN12_GLOBAL__N_125rocblas_gemm_scale_kernelILi32ELi32EDF16_PDF16_EEviiT1_T2_llli,comdat
.Lfunc_end0:
	.size	_ZN12_GLOBAL__N_125rocblas_gemm_scale_kernelILi32ELi32EDF16_PDF16_EEviiT1_T2_llli, .Lfunc_end0-_ZN12_GLOBAL__N_125rocblas_gemm_scale_kernelILi32ELi32EDF16_PDF16_EEviiT1_T2_llli
                                        ; -- End function
	.section	.AMDGPU.csdata,"",@progbits
; Kernel info:
; codeLenInByte = 252
; NumSgprs: 24
; NumVgprs: 10
; NumAgprs: 0
; TotalNumVgprs: 10
; ScratchSize: 0
; MemoryBound: 0
; FloatMode: 240
; IeeeMode: 1
; LDSByteSize: 0 bytes/workgroup (compile time only)
; SGPRBlocks: 2
; VGPRBlocks: 1
; NumSGPRsForWavesPerEU: 24
; NumVGPRsForWavesPerEU: 10
; AccumOffset: 12
; Occupancy: 8
; WaveLimiterHint : 0
; COMPUTE_PGM_RSRC2:SCRATCH_EN: 0
; COMPUTE_PGM_RSRC2:USER_SGPR: 6
; COMPUTE_PGM_RSRC2:TRAP_HANDLER: 0
; COMPUTE_PGM_RSRC2:TGID_X_EN: 1
; COMPUTE_PGM_RSRC2:TGID_Y_EN: 1
; COMPUTE_PGM_RSRC2:TGID_Z_EN: 1
; COMPUTE_PGM_RSRC2:TIDIG_COMP_CNT: 1
; COMPUTE_PGM_RSRC3_GFX90A:ACCUM_OFFSET: 2
; COMPUTE_PGM_RSRC3_GFX90A:TG_SPLIT: 0
	.section	.text._ZN12_GLOBAL__N_120gemm_ex_scale_kernelILi32ELi32EDF16_PKDF16_PDF16_EEviiT1_T2_lllT3_llli,"axG",@progbits,_ZN12_GLOBAL__N_120gemm_ex_scale_kernelILi32ELi32EDF16_PKDF16_PDF16_EEviiT1_T2_lllT3_llli,comdat
	.globl	_ZN12_GLOBAL__N_120gemm_ex_scale_kernelILi32ELi32EDF16_PKDF16_PDF16_EEviiT1_T2_lllT3_llli ; -- Begin function _ZN12_GLOBAL__N_120gemm_ex_scale_kernelILi32ELi32EDF16_PKDF16_PDF16_EEviiT1_T2_lllT3_llli
	.p2align	8
	.type	_ZN12_GLOBAL__N_120gemm_ex_scale_kernelILi32ELi32EDF16_PKDF16_PDF16_EEviiT1_T2_lllT3_llli,@function
_ZN12_GLOBAL__N_120gemm_ex_scale_kernelILi32ELi32EDF16_PKDF16_PDF16_EEviiT1_T2_lllT3_llli: ; @_ZN12_GLOBAL__N_120gemm_ex_scale_kernelILi32ELi32EDF16_PKDF16_PDF16_EEviiT1_T2_lllT3_llli
; %bb.0:
	s_load_dwordx4 s[0:3], s[4:5], 0x0
	v_and_b32_e32 v1, 0x3ff, v0
	v_bfe_u32 v0, v0, 10, 10
	v_lshl_add_u32 v2, s6, 5, v1
	v_lshl_add_u32 v0, s7, 5, v0
	s_waitcnt lgkmcnt(0)
	v_cmp_gt_u32_e32 vcc, s0, v2
	v_cmp_gt_u32_e64 s[0:1], s1, v0
	s_and_b64 s[0:1], vcc, s[0:1]
	s_and_saveexec_b64 s[6:7], s[0:1]
	s_cbranch_execz .LBB1_5
; %bb.1:
	v_cmp_neq_f16_e64 s[0:1], s2, 0
	s_mov_b32 s3, 0
	s_and_b64 vcc, exec, s[0:1]
	s_cbranch_vccnz .LBB1_6
; %bb.2:
	v_mov_b32_e32 v3, 0
	s_load_dwordx16 s[12:27], s[4:5], 0x10
	v_mov_b32_e32 v1, s3
	s_cbranch_execnz .LBB1_4
.LBB1_3:
	s_waitcnt lgkmcnt(0)
	s_mul_i32 s0, s8, s19
	s_mul_hi_u32 s1, s8, s18
	s_add_i32 s1, s1, s0
	s_mul_i32 s0, s8, s18
	s_lshl_b64 s[0:1], s[0:1], 1
	s_add_u32 s3, s12, s0
	s_addc_u32 s4, s13, s1
	s_lshl_b64 s[0:1], s[14:15], 1
	s_add_u32 s3, s3, s0
	s_addc_u32 s4, s4, s1
	v_mad_u64_u32 v[4:5], s[0:1], v0, s16, 0
	v_mov_b32_e32 v6, v5
	v_mad_u64_u32 v[6:7], s[0:1], v0, s17, v[6:7]
	v_mov_b32_e32 v5, v6
	v_lshlrev_b64 v[4:5], 1, v[4:5]
	v_mov_b32_e32 v3, 0
	v_mov_b32_e32 v1, s4
	v_add_co_u32_e32 v6, vcc, s3, v4
	v_addc_co_u32_e32 v1, vcc, v1, v5, vcc
	v_lshlrev_b64 v[4:5], 1, v[2:3]
	v_add_co_u32_e32 v4, vcc, v6, v4
	v_addc_co_u32_e32 v5, vcc, v1, v5, vcc
	global_load_ushort v1, v[4:5], off
	s_waitcnt vmcnt(0)
	v_mul_f16_e32 v1, s2, v1
.LBB1_4:
	s_waitcnt lgkmcnt(0)
	s_mul_i32 s0, s8, s27
	s_mul_hi_u32 s1, s8, s26
	s_add_i32 s1, s1, s0
	s_mul_i32 s0, s8, s26
	s_lshl_b64 s[0:1], s[0:1], 1
	s_add_u32 s2, s20, s0
	s_addc_u32 s3, s21, s1
	s_lshl_b64 s[0:1], s[22:23], 1
	s_add_u32 s2, s2, s0
	s_addc_u32 s3, s3, s1
	v_mad_u64_u32 v[4:5], s[0:1], v0, s24, 0
	v_mov_b32_e32 v6, v5
	v_mad_u64_u32 v[6:7], s[0:1], v0, s25, v[6:7]
	v_mov_b32_e32 v5, v6
	v_lshlrev_b64 v[4:5], 1, v[4:5]
	v_mov_b32_e32 v0, s3
	v_add_co_u32_e32 v4, vcc, s2, v4
	v_addc_co_u32_e32 v0, vcc, v0, v5, vcc
	v_lshlrev_b64 v[2:3], 1, v[2:3]
	v_add_co_u32_e32 v2, vcc, v4, v2
	v_addc_co_u32_e32 v3, vcc, v0, v3, vcc
	global_store_short v[2:3], v1, off
.LBB1_5:
	s_endpgm
.LBB1_6:
                                        ; implicit-def: $sgpr3
	s_load_dwordx16 s[12:27], s[4:5], 0x10
	v_mov_b32_e32 v1, s3
	s_branch .LBB1_3
	.section	.rodata,"a",@progbits
	.p2align	6, 0x0
	.amdhsa_kernel _ZN12_GLOBAL__N_120gemm_ex_scale_kernelILi32ELi32EDF16_PKDF16_PDF16_EEviiT1_T2_lllT3_llli
		.amdhsa_group_segment_fixed_size 0
		.amdhsa_private_segment_fixed_size 0
		.amdhsa_kernarg_size 84
		.amdhsa_user_sgpr_count 6
		.amdhsa_user_sgpr_private_segment_buffer 1
		.amdhsa_user_sgpr_dispatch_ptr 0
		.amdhsa_user_sgpr_queue_ptr 0
		.amdhsa_user_sgpr_kernarg_segment_ptr 1
		.amdhsa_user_sgpr_dispatch_id 0
		.amdhsa_user_sgpr_flat_scratch_init 0
		.amdhsa_user_sgpr_kernarg_preload_length 0
		.amdhsa_user_sgpr_kernarg_preload_offset 0
		.amdhsa_user_sgpr_private_segment_size 0
		.amdhsa_uses_dynamic_stack 0
		.amdhsa_system_sgpr_private_segment_wavefront_offset 0
		.amdhsa_system_sgpr_workgroup_id_x 1
		.amdhsa_system_sgpr_workgroup_id_y 1
		.amdhsa_system_sgpr_workgroup_id_z 1
		.amdhsa_system_sgpr_workgroup_info 0
		.amdhsa_system_vgpr_workitem_id 1
		.amdhsa_next_free_vgpr 8
		.amdhsa_next_free_sgpr 28
		.amdhsa_accum_offset 8
		.amdhsa_reserve_vcc 1
		.amdhsa_reserve_flat_scratch 0
		.amdhsa_float_round_mode_32 0
		.amdhsa_float_round_mode_16_64 0
		.amdhsa_float_denorm_mode_32 3
		.amdhsa_float_denorm_mode_16_64 3
		.amdhsa_dx10_clamp 1
		.amdhsa_ieee_mode 1
		.amdhsa_fp16_overflow 0
		.amdhsa_tg_split 0
		.amdhsa_exception_fp_ieee_invalid_op 0
		.amdhsa_exception_fp_denorm_src 0
		.amdhsa_exception_fp_ieee_div_zero 0
		.amdhsa_exception_fp_ieee_overflow 0
		.amdhsa_exception_fp_ieee_underflow 0
		.amdhsa_exception_fp_ieee_inexact 0
		.amdhsa_exception_int_div_zero 0
	.end_amdhsa_kernel
	.section	.text._ZN12_GLOBAL__N_120gemm_ex_scale_kernelILi32ELi32EDF16_PKDF16_PDF16_EEviiT1_T2_lllT3_llli,"axG",@progbits,_ZN12_GLOBAL__N_120gemm_ex_scale_kernelILi32ELi32EDF16_PKDF16_PDF16_EEviiT1_T2_lllT3_llli,comdat
.Lfunc_end1:
	.size	_ZN12_GLOBAL__N_120gemm_ex_scale_kernelILi32ELi32EDF16_PKDF16_PDF16_EEviiT1_T2_lllT3_llli, .Lfunc_end1-_ZN12_GLOBAL__N_120gemm_ex_scale_kernelILi32ELi32EDF16_PKDF16_PDF16_EEviiT1_T2_lllT3_llli
                                        ; -- End function
	.section	.AMDGPU.csdata,"",@progbits
; Kernel info:
; codeLenInByte = 364
; NumSgprs: 32
; NumVgprs: 8
; NumAgprs: 0
; TotalNumVgprs: 8
; ScratchSize: 0
; MemoryBound: 0
; FloatMode: 240
; IeeeMode: 1
; LDSByteSize: 0 bytes/workgroup (compile time only)
; SGPRBlocks: 3
; VGPRBlocks: 0
; NumSGPRsForWavesPerEU: 32
; NumVGPRsForWavesPerEU: 8
; AccumOffset: 8
; Occupancy: 8
; WaveLimiterHint : 0
; COMPUTE_PGM_RSRC2:SCRATCH_EN: 0
; COMPUTE_PGM_RSRC2:USER_SGPR: 6
; COMPUTE_PGM_RSRC2:TRAP_HANDLER: 0
; COMPUTE_PGM_RSRC2:TGID_X_EN: 1
; COMPUTE_PGM_RSRC2:TGID_Y_EN: 1
; COMPUTE_PGM_RSRC2:TGID_Z_EN: 1
; COMPUTE_PGM_RSRC2:TIDIG_COMP_CNT: 1
; COMPUTE_PGM_RSRC3_GFX90A:ACCUM_OFFSET: 1
; COMPUTE_PGM_RSRC3_GFX90A:TG_SPLIT: 0
	.section	.text._ZN12_GLOBAL__N_127rocblas_gemm_batched_kernelIDF16_Li16ELi16ELi64ELi64ELi4ELi64ELi4ELi4ELi64ELc78ELc78EKDF16_S1_DF16_EEvlllT_PT11_llS4_llS2_PT12_llPT13_lli,"axG",@progbits,_ZN12_GLOBAL__N_127rocblas_gemm_batched_kernelIDF16_Li16ELi16ELi64ELi64ELi4ELi64ELi4ELi4ELi64ELc78ELc78EKDF16_S1_DF16_EEvlllT_PT11_llS4_llS2_PT12_llPT13_lli,comdat
	.globl	_ZN12_GLOBAL__N_127rocblas_gemm_batched_kernelIDF16_Li16ELi16ELi64ELi64ELi4ELi64ELi4ELi4ELi64ELc78ELc78EKDF16_S1_DF16_EEvlllT_PT11_llS4_llS2_PT12_llPT13_lli ; -- Begin function _ZN12_GLOBAL__N_127rocblas_gemm_batched_kernelIDF16_Li16ELi16ELi64ELi64ELi4ELi64ELi4ELi4ELi64ELc78ELc78EKDF16_S1_DF16_EEvlllT_PT11_llS4_llS2_PT12_llPT13_lli
	.p2align	8
	.type	_ZN12_GLOBAL__N_127rocblas_gemm_batched_kernelIDF16_Li16ELi16ELi64ELi64ELi4ELi64ELi4ELi4ELi64ELc78ELc78EKDF16_S1_DF16_EEvlllT_PT11_llS4_llS2_PT12_llPT13_lli,@function
_ZN12_GLOBAL__N_127rocblas_gemm_batched_kernelIDF16_Li16ELi16ELi64ELi64ELi4ELi64ELi4ELi4ELi64ELc78ELc78EKDF16_S1_DF16_EEvlllT_PT11_llS4_llS2_PT12_llPT13_lli: ; @_ZN12_GLOBAL__N_127rocblas_gemm_batched_kernelIDF16_Li16ELi16ELi64ELi64ELi4ELi64ELi4ELi4ELi64ELc78ELc78EKDF16_S1_DF16_EEvlllT_PT11_llS4_llS2_PT12_llPT13_lli
; %bb.0:
	s_load_dwordx2 s[20:21], s[4:5], 0x10
	s_mov_b32 s0, s7
	s_ashr_i32 s1, s0, 31
	s_ashr_i32 s7, s6, 31
	s_lshl_b64 s[10:11], s[0:1], 6
	s_waitcnt lgkmcnt(0)
	v_cmp_lt_i64_e64 s[0:1], s[20:21], 1
	v_bfe_u32 v19, v0, 10, 10
	v_and_b32_e32 v18, 0x3ff, v0
	s_lshl_b64 s[6:7], s[6:7], 6
	s_and_b64 vcc, exec, s[0:1]
	s_cbranch_vccnz .LBB2_3
; %bb.1:
	s_load_dwordx8 s[12:19], s[4:5], 0x20
	s_load_dwordx4 s[0:3], s[4:5], 0x40
	v_lshl_add_u32 v0, v19, 4, v18
	v_and_b32_e32 v4, 3, v18
	v_and_b32_e32 v6, 63, v0
	v_lshrrev_b32_e32 v1, 2, v0
	v_lshrrev_b32_e32 v5, 6, v0
	v_lshlrev_b32_e32 v0, 1, v6
	v_lshlrev_b32_e32 v4, 1, v4
	v_mov_b32_e32 v2, s11
	v_add_co_u32_e32 v3, vcc, s10, v1
	v_lshl_or_b32 v24, v5, 7, v0
	v_lshl_or_b32 v0, v1, 3, v4
	v_addc_co_u32_e32 v2, vcc, 0, v2, vcc
	v_add_u32_e32 v25, 0x200, v0
	v_mov_b32_e32 v0, 0x200
	v_lshl_add_u32 v27, v19, 3, v0
	s_waitcnt lgkmcnt(0)
	v_mul_lo_u32 v7, s1, v3
	v_mul_lo_u32 v2, s0, v2
	v_mad_u64_u32 v[0:1], s[0:1], s0, v3, 0
	s_mul_i32 s0, s3, s8
	s_mul_hi_u32 s1, s2, s8
	v_add3_u32 v1, v1, v2, v7
	s_add_i32 s1, s1, s0
	s_mul_i32 s0, s2, s8
	v_lshlrev_b64 v[0:1], 1, v[0:1]
	s_lshl_b64 s[0:1], s[0:1], 1
	v_mov_b32_e32 v2, s1
	v_add_co_u32_e32 v0, vcc, s0, v0
	v_addc_co_u32_e32 v1, vcc, v1, v2, vcc
	v_add_co_u32_e32 v0, vcc, v0, v4
	v_addc_co_u32_e32 v1, vcc, 0, v1, vcc
	v_mov_b32_e32 v2, s19
	v_add_co_u32_e32 v0, vcc, s18, v0
	v_addc_co_u32_e32 v1, vcc, v2, v1, vcc
	v_pk_mov_b32 v[2:3], s[6:7], s[6:7] op_sel:[0,1]
	v_mad_u64_u32 v[2:3], s[2:3], v5, s14, v[2:3]
	s_mul_i32 s0, s17, s8
	s_mul_hi_u32 s1, s16, s8
	v_mov_b32_e32 v4, v3
	s_add_i32 s1, s1, s0
	s_mul_i32 s0, s16, s8
	v_mad_u64_u32 v[4:5], s[2:3], v5, s15, v[4:5]
	s_lshl_b64 s[0:1], s[0:1], 1
	v_mov_b32_e32 v3, v4
	v_add_co_u32_e32 v2, vcc, v2, v6
	v_addc_co_u32_e32 v3, vcc, 0, v3, vcc
	s_add_u32 s0, s12, s0
	v_lshlrev_b64 v[2:3], 1, v[2:3]
	s_addc_u32 s1, s13, s1
	v_mov_b32_e32 v4, s1
	v_add_co_u32_e32 v2, vcc, s0, v2
	s_lshl_b64 s[0:1], s[14:15], 3
	v_lshlrev_b32_e32 v26, 1, v18
	v_addc_co_u32_e32 v3, vcc, v4, v3, vcc
	s_mov_b64 s[2:3], 0
	v_mov_b32_e32 v6, 0
	v_mov_b32_e32 v28, s1
	v_pk_mov_b32 v[4:5], s[20:21], s[20:21] op_sel:[0,1]
	v_mov_b32_e32 v7, 0
	v_mov_b32_e32 v8, 0
	;; [unrolled: 1-line block ×15, first 2 shown]
.LBB2_2:                                ; =>This Inner Loop Header: Depth=1
	global_load_ushort v29, v[2:3], off
	global_load_ushort v30, v[0:1], off
	v_add_co_u32_e32 v0, vcc, 8, v0
	v_addc_co_u32_e32 v1, vcc, 0, v1, vcc
	s_add_u32 s2, s2, 4
	v_add_co_u32_e32 v2, vcc, s0, v2
	v_addc_co_u32_e32 v3, vcc, v3, v28, vcc
	s_addc_u32 s3, s3, 0
	v_cmp_lt_i64_e32 vcc, s[2:3], v[4:5]
	s_and_b64 vcc, exec, vcc
	s_waitcnt vmcnt(1)
	ds_write_b16 v24, v29
	s_waitcnt vmcnt(0)
	ds_write_b16 v25, v30
	s_waitcnt lgkmcnt(0)
	s_barrier
	ds_read2_b64 v[30:33], v27 offset1:16
	ds_read2_b64 v[34:37], v27 offset0:32 offset1:48
	ds_read_u16 v29, v26
	ds_read_u16 v38, v26 offset:32
	ds_read_u16 v39, v26 offset:64
	;; [unrolled: 1-line block ×15, first 2 shown]
	s_waitcnt lgkmcnt(14)
	v_lshrrev_b32_e32 v53, 16, v30
	v_fma_f16 v23, v29, v30, v23
	v_fma_f16 v22, v38, v30, v22
	s_waitcnt lgkmcnt(13)
	v_fma_f16 v21, v39, v30, v21
	s_waitcnt lgkmcnt(12)
	v_fma_f16 v20, v40, v30, v20
	v_lshrrev_b32_e32 v30, 16, v32
	v_fma_f16 v17, v29, v32, v17
	v_fma_f16 v16, v38, v32, v16
	v_fma_f16 v15, v39, v32, v15
	v_fma_f16 v14, v40, v32, v14
	v_lshrrev_b32_e32 v32, 16, v34
	v_fma_f16 v13, v29, v34, v13
	v_fma_f16 v12, v38, v34, v12
	v_fma_f16 v11, v39, v34, v11
	;; [unrolled: 5-line block ×3, first 2 shown]
	v_fma_f16 v6, v40, v36, v6
	s_waitcnt lgkmcnt(11)
	v_fma_f16 v23, v41, v53, v23
	s_waitcnt lgkmcnt(10)
	v_fma_f16 v22, v42, v53, v22
	s_waitcnt lgkmcnt(9)
	v_fma_f16 v21, v43, v53, v21
	s_waitcnt lgkmcnt(8)
	v_fma_f16 v20, v44, v53, v20
	v_fma_f16 v17, v41, v30, v17
	;; [unrolled: 1-line block ×13, first 2 shown]
	v_lshrrev_b32_e32 v54, 16, v31
	v_lshrrev_b32_e32 v55, 16, v33
	;; [unrolled: 1-line block ×4, first 2 shown]
	s_waitcnt lgkmcnt(7)
	v_fma_f16 v23, v45, v31, v23
	s_waitcnt lgkmcnt(6)
	v_fma_f16 v22, v46, v31, v22
	;; [unrolled: 2-line block ×4, first 2 shown]
	v_fma_f16 v17, v45, v33, v17
	v_fma_f16 v16, v46, v33, v16
	;; [unrolled: 1-line block ×12, first 2 shown]
	s_waitcnt lgkmcnt(3)
	v_fma_f16 v23, v49, v54, v23
	s_waitcnt lgkmcnt(2)
	v_fma_f16 v22, v50, v54, v22
	;; [unrolled: 2-line block ×4, first 2 shown]
	v_fma_f16 v17, v49, v55, v17
	v_fma_f16 v16, v50, v55, v16
	;; [unrolled: 1-line block ×12, first 2 shown]
	s_barrier
	s_cbranch_vccnz .LBB2_2
	s_branch .LBB2_4
.LBB2_3:
	v_mov_b32_e32 v23, 0
	v_mov_b32_e32 v22, 0
	;; [unrolled: 1-line block ×16, first 2 shown]
.LBB2_4:
	s_load_dwordx4 s[0:3], s[4:5], 0x78
	s_load_dword s9, s[4:5], 0x18
	s_load_dword s20, s[4:5], 0x50
	s_load_dwordx8 s[12:19], s[4:5], 0x58
	v_mov_b32_e32 v0, s11
	s_waitcnt lgkmcnt(0)
	s_mul_i32 s3, s8, s3
	s_mul_hi_u32 s4, s8, s2
	s_add_i32 s3, s4, s3
	s_mul_i32 s2, s8, s2
	v_add_co_u32_e32 v2, vcc, s10, v19
	s_lshl_b64 s[2:3], s[2:3], 1
	v_addc_co_u32_e32 v5, vcc, 0, v0, vcc
	s_add_u32 s4, s18, s2
	v_mov_b32_e32 v1, s7
	v_add_co_u32_e32 v0, vcc, s6, v18
	s_addc_u32 s5, s19, s3
	v_cmp_neq_f16_e64 s[2:3], s20, 0
	v_addc_co_u32_e32 v1, vcc, 0, v1, vcc
	s_and_b64 vcc, exec, s[2:3]
	v_mul_lo_u32 v3, v5, s0
	v_mul_lo_u32 v4, v2, s1
	v_lshlrev_b64 v[0:1], 1, v[0:1]
	s_cbranch_vccnz .LBB2_8
; %bb.5:
	v_mad_u64_u32 v[18:19], s[2:3], v2, s0, 0
	v_add3_u32 v19, v19, v4, v3
	v_lshlrev_b64 v[18:19], 1, v[18:19]
	v_mov_b32_e32 v24, s5
	v_add_co_u32_e32 v18, vcc, s4, v18
	v_addc_co_u32_e32 v19, vcc, v24, v19, vcc
	v_add_co_u32_e32 v18, vcc, v18, v0
	v_mul_f16_e32 v24, s9, v23
	v_addc_co_u32_e32 v19, vcc, v19, v1, vcc
	global_store_short v[18:19], v24, off
	v_mul_f16_e32 v24, s9, v22
	global_store_short v[18:19], v24, off offset:32
	v_mul_f16_e32 v24, s9, v21
	global_store_short v[18:19], v24, off offset:64
	v_mul_f16_e32 v24, s9, v20
	s_lshl_b64 s[2:3], s[0:1], 5
	global_store_short v[18:19], v24, off offset:96
	v_mov_b32_e32 v25, s3
	v_add_co_u32_e32 v18, vcc, s2, v18
	v_mul_f16_e32 v24, s9, v17
	v_addc_co_u32_e32 v19, vcc, v19, v25, vcc
	global_store_short v[18:19], v24, off
	v_mul_f16_e32 v24, s9, v16
	global_store_short v[18:19], v24, off offset:32
	v_mul_f16_e32 v24, s9, v15
	global_store_short v[18:19], v24, off offset:64
	v_mul_f16_e32 v24, s9, v14
	global_store_short v[18:19], v24, off offset:96
	v_add_co_u32_e32 v18, vcc, s2, v18
	v_mul_f16_e32 v24, s9, v13
	v_addc_co_u32_e32 v19, vcc, v19, v25, vcc
	global_store_short v[18:19], v24, off
	v_mul_f16_e32 v24, s9, v12
	global_store_short v[18:19], v24, off offset:32
	v_mul_f16_e32 v24, s9, v11
	global_store_short v[18:19], v24, off offset:64
	v_mul_f16_e32 v24, s9, v10
	global_store_short v[18:19], v24, off offset:96
	;; [unrolled: 10-line block ×3, first 2 shown]
	s_cbranch_execnz .LBB2_7
.LBB2_6:
	s_mul_i32 s2, s8, s17
	s_mul_hi_u32 s3, s8, s16
	s_add_i32 s3, s3, s2
	s_mul_i32 s2, s8, s16
	s_lshl_b64 s[2:3], s[2:3], 1
	s_add_u32 s6, s12, s2
	s_addc_u32 s7, s13, s3
	v_mul_lo_u32 v5, v5, s14
	v_mul_lo_u32 v24, v2, s15
	v_mad_u64_u32 v[18:19], s[2:3], v2, s14, 0
	v_add3_u32 v19, v19, v24, v5
	v_lshlrev_b64 v[18:19], 1, v[18:19]
	v_mov_b32_e32 v5, s7
	v_add_co_u32_e32 v18, vcc, s6, v18
	v_addc_co_u32_e32 v5, vcc, v5, v19, vcc
	v_add_co_u32_e32 v18, vcc, v18, v0
	v_addc_co_u32_e32 v19, vcc, v5, v1, vcc
	global_load_ushort v5, v[18:19], off
	v_mad_u64_u32 v[24:25], s[2:3], v2, s0, 0
	v_add3_u32 v25, v25, v4, v3
	v_lshlrev_b64 v[2:3], 1, v[24:25]
	v_mov_b32_e32 v26, s5
	v_add_co_u32_e32 v2, vcc, s4, v2
	v_addc_co_u32_e32 v3, vcc, v26, v3, vcc
	v_add_co_u32_e32 v0, vcc, v2, v0
	v_addc_co_u32_e32 v1, vcc, v3, v1, vcc
	s_lshl_b64 s[2:3], s[14:15], 5
	s_lshl_b64 s[0:1], s[0:1], 5
	s_waitcnt vmcnt(0)
	v_mul_f16_e32 v2, s20, v5
	v_fma_f16 v2, v23, s9, v2
	global_store_short v[0:1], v2, off
	global_load_ushort v2, v[18:19], off offset:32
	v_mov_b32_e32 v5, s3
	s_waitcnt vmcnt(0)
	v_mul_f16_e32 v2, s20, v2
	v_fma_f16 v2, v22, s9, v2
	global_store_short v[0:1], v2, off offset:32
	global_load_ushort v2, v[18:19], off offset:64
	s_waitcnt vmcnt(0)
	v_mul_f16_e32 v2, s20, v2
	v_fma_f16 v2, v21, s9, v2
	global_store_short v[0:1], v2, off offset:64
	global_load_ushort v4, v[18:19], off offset:96
	v_add_co_u32_e32 v2, vcc, s2, v18
	v_addc_co_u32_e32 v3, vcc, v19, v5, vcc
	v_mov_b32_e32 v18, s1
	s_waitcnt vmcnt(0)
	v_mul_f16_e32 v4, s20, v4
	v_fma_f16 v4, v20, s9, v4
	global_store_short v[0:1], v4, off offset:96
	global_load_ushort v4, v[2:3], off
	v_add_co_u32_e32 v0, vcc, s0, v0
	v_addc_co_u32_e32 v1, vcc, v1, v18, vcc
	s_waitcnt vmcnt(0)
	v_mul_f16_e32 v4, s20, v4
	v_fma_f16 v4, v17, s9, v4
	global_store_short v[0:1], v4, off
	global_load_ushort v4, v[2:3], off offset:32
	s_waitcnt vmcnt(0)
	v_mul_f16_e32 v4, s20, v4
	v_fma_f16 v4, v16, s9, v4
	global_store_short v[0:1], v4, off offset:32
	global_load_ushort v4, v[2:3], off offset:64
	s_waitcnt vmcnt(0)
	v_mul_f16_e32 v4, s20, v4
	v_fma_f16 v4, v15, s9, v4
	global_store_short v[0:1], v4, off offset:64
	global_load_ushort v4, v[2:3], off offset:96
	v_add_co_u32_e32 v2, vcc, s2, v2
	v_addc_co_u32_e32 v3, vcc, v3, v5, vcc
	s_waitcnt vmcnt(0)
	v_mul_f16_e32 v4, s20, v4
	v_fma_f16 v4, v14, s9, v4
	global_store_short v[0:1], v4, off offset:96
	global_load_ushort v4, v[2:3], off
	v_add_co_u32_e32 v0, vcc, s0, v0
	v_addc_co_u32_e32 v1, vcc, v1, v18, vcc
	s_waitcnt vmcnt(0)
	v_mul_f16_e32 v4, s20, v4
	v_fma_f16 v4, v13, s9, v4
	global_store_short v[0:1], v4, off
	global_load_ushort v4, v[2:3], off offset:32
	s_waitcnt vmcnt(0)
	v_mul_f16_e32 v4, s20, v4
	v_fma_f16 v4, v12, s9, v4
	global_store_short v[0:1], v4, off offset:32
	global_load_ushort v4, v[2:3], off offset:64
	s_waitcnt vmcnt(0)
	v_mul_f16_e32 v4, s20, v4
	v_fma_f16 v4, v11, s9, v4
	global_store_short v[0:1], v4, off offset:64
	global_load_ushort v4, v[2:3], off offset:96
	v_add_co_u32_e32 v2, vcc, s2, v2
	v_addc_co_u32_e32 v3, vcc, v3, v5, vcc
	s_waitcnt vmcnt(0)
	v_mul_f16_e32 v4, s20, v4
	v_fma_f16 v4, v10, s9, v4
	global_store_short v[0:1], v4, off offset:96
	global_load_ushort v4, v[2:3], off
	v_add_co_u32_e32 v0, vcc, s0, v0
	v_addc_co_u32_e32 v1, vcc, v1, v18, vcc
	s_waitcnt vmcnt(0)
	v_mul_f16_e32 v4, s20, v4
	v_fma_f16 v4, v9, s9, v4
	global_store_short v[0:1], v4, off
	global_load_ushort v4, v[2:3], off offset:32
	s_waitcnt vmcnt(0)
	v_mul_f16_e32 v4, s20, v4
	v_fma_f16 v4, v8, s9, v4
	global_store_short v[0:1], v4, off offset:32
	global_load_ushort v4, v[2:3], off offset:64
	s_waitcnt vmcnt(0)
	v_mul_f16_e32 v4, s20, v4
	v_fma_f16 v4, v7, s9, v4
	global_store_short v[0:1], v4, off offset:64
	;; [unrolled: 5-line block ×3, first 2 shown]
.LBB2_7:
	s_endpgm
.LBB2_8:
	s_branch .LBB2_6
	.section	.rodata,"a",@progbits
	.p2align	6, 0x0
	.amdhsa_kernel _ZN12_GLOBAL__N_127rocblas_gemm_batched_kernelIDF16_Li16ELi16ELi64ELi64ELi4ELi64ELi4ELi4ELi64ELc78ELc78EKDF16_S1_DF16_EEvlllT_PT11_llS4_llS2_PT12_llPT13_lli
		.amdhsa_group_segment_fixed_size 1024
		.amdhsa_private_segment_fixed_size 0
		.amdhsa_kernarg_size 140
		.amdhsa_user_sgpr_count 6
		.amdhsa_user_sgpr_private_segment_buffer 1
		.amdhsa_user_sgpr_dispatch_ptr 0
		.amdhsa_user_sgpr_queue_ptr 0
		.amdhsa_user_sgpr_kernarg_segment_ptr 1
		.amdhsa_user_sgpr_dispatch_id 0
		.amdhsa_user_sgpr_flat_scratch_init 0
		.amdhsa_user_sgpr_kernarg_preload_length 0
		.amdhsa_user_sgpr_kernarg_preload_offset 0
		.amdhsa_user_sgpr_private_segment_size 0
		.amdhsa_uses_dynamic_stack 0
		.amdhsa_system_sgpr_private_segment_wavefront_offset 0
		.amdhsa_system_sgpr_workgroup_id_x 1
		.amdhsa_system_sgpr_workgroup_id_y 1
		.amdhsa_system_sgpr_workgroup_id_z 1
		.amdhsa_system_sgpr_workgroup_info 0
		.amdhsa_system_vgpr_workitem_id 1
		.amdhsa_next_free_vgpr 58
		.amdhsa_next_free_sgpr 22
		.amdhsa_accum_offset 60
		.amdhsa_reserve_vcc 1
		.amdhsa_reserve_flat_scratch 0
		.amdhsa_float_round_mode_32 0
		.amdhsa_float_round_mode_16_64 0
		.amdhsa_float_denorm_mode_32 3
		.amdhsa_float_denorm_mode_16_64 3
		.amdhsa_dx10_clamp 1
		.amdhsa_ieee_mode 1
		.amdhsa_fp16_overflow 0
		.amdhsa_tg_split 0
		.amdhsa_exception_fp_ieee_invalid_op 0
		.amdhsa_exception_fp_denorm_src 0
		.amdhsa_exception_fp_ieee_div_zero 0
		.amdhsa_exception_fp_ieee_overflow 0
		.amdhsa_exception_fp_ieee_underflow 0
		.amdhsa_exception_fp_ieee_inexact 0
		.amdhsa_exception_int_div_zero 0
	.end_amdhsa_kernel
	.section	.text._ZN12_GLOBAL__N_127rocblas_gemm_batched_kernelIDF16_Li16ELi16ELi64ELi64ELi4ELi64ELi4ELi4ELi64ELc78ELc78EKDF16_S1_DF16_EEvlllT_PT11_llS4_llS2_PT12_llPT13_lli,"axG",@progbits,_ZN12_GLOBAL__N_127rocblas_gemm_batched_kernelIDF16_Li16ELi16ELi64ELi64ELi4ELi64ELi4ELi4ELi64ELc78ELc78EKDF16_S1_DF16_EEvlllT_PT11_llS4_llS2_PT12_llPT13_lli,comdat
.Lfunc_end2:
	.size	_ZN12_GLOBAL__N_127rocblas_gemm_batched_kernelIDF16_Li16ELi16ELi64ELi64ELi4ELi64ELi4ELi4ELi64ELc78ELc78EKDF16_S1_DF16_EEvlllT_PT11_llS4_llS2_PT12_llPT13_lli, .Lfunc_end2-_ZN12_GLOBAL__N_127rocblas_gemm_batched_kernelIDF16_Li16ELi16ELi64ELi64ELi4ELi64ELi4ELi4ELi64ELc78ELc78EKDF16_S1_DF16_EEvlllT_PT11_llS4_llS2_PT12_llPT13_lli
                                        ; -- End function
	.section	.AMDGPU.csdata,"",@progbits
; Kernel info:
; codeLenInByte = 2456
; NumSgprs: 26
; NumVgprs: 58
; NumAgprs: 0
; TotalNumVgprs: 58
; ScratchSize: 0
; MemoryBound: 0
; FloatMode: 240
; IeeeMode: 1
; LDSByteSize: 1024 bytes/workgroup (compile time only)
; SGPRBlocks: 3
; VGPRBlocks: 7
; NumSGPRsForWavesPerEU: 26
; NumVGPRsForWavesPerEU: 58
; AccumOffset: 60
; Occupancy: 8
; WaveLimiterHint : 0
; COMPUTE_PGM_RSRC2:SCRATCH_EN: 0
; COMPUTE_PGM_RSRC2:USER_SGPR: 6
; COMPUTE_PGM_RSRC2:TRAP_HANDLER: 0
; COMPUTE_PGM_RSRC2:TGID_X_EN: 1
; COMPUTE_PGM_RSRC2:TGID_Y_EN: 1
; COMPUTE_PGM_RSRC2:TGID_Z_EN: 1
; COMPUTE_PGM_RSRC2:TIDIG_COMP_CNT: 1
; COMPUTE_PGM_RSRC3_GFX90A:ACCUM_OFFSET: 14
; COMPUTE_PGM_RSRC3_GFX90A:TG_SPLIT: 0
	.section	.text._ZN12_GLOBAL__N_127rocblas_gemm_batched_kernelIDF16_Li16ELi16ELi64ELi64ELi4ELi64ELi4ELi4ELi64ELc84ELc78EKDF16_S1_DF16_EEvlllT_PT11_llS4_llS2_PT12_llPT13_lli,"axG",@progbits,_ZN12_GLOBAL__N_127rocblas_gemm_batched_kernelIDF16_Li16ELi16ELi64ELi64ELi4ELi64ELi4ELi4ELi64ELc84ELc78EKDF16_S1_DF16_EEvlllT_PT11_llS4_llS2_PT12_llPT13_lli,comdat
	.globl	_ZN12_GLOBAL__N_127rocblas_gemm_batched_kernelIDF16_Li16ELi16ELi64ELi64ELi4ELi64ELi4ELi4ELi64ELc84ELc78EKDF16_S1_DF16_EEvlllT_PT11_llS4_llS2_PT12_llPT13_lli ; -- Begin function _ZN12_GLOBAL__N_127rocblas_gemm_batched_kernelIDF16_Li16ELi16ELi64ELi64ELi4ELi64ELi4ELi4ELi64ELc84ELc78EKDF16_S1_DF16_EEvlllT_PT11_llS4_llS2_PT12_llPT13_lli
	.p2align	8
	.type	_ZN12_GLOBAL__N_127rocblas_gemm_batched_kernelIDF16_Li16ELi16ELi64ELi64ELi4ELi64ELi4ELi4ELi64ELc84ELc78EKDF16_S1_DF16_EEvlllT_PT11_llS4_llS2_PT12_llPT13_lli,@function
_ZN12_GLOBAL__N_127rocblas_gemm_batched_kernelIDF16_Li16ELi16ELi64ELi64ELi4ELi64ELi4ELi4ELi64ELc84ELc78EKDF16_S1_DF16_EEvlllT_PT11_llS4_llS2_PT12_llPT13_lli: ; @_ZN12_GLOBAL__N_127rocblas_gemm_batched_kernelIDF16_Li16ELi16ELi64ELi64ELi4ELi64ELi4ELi4ELi64ELc84ELc78EKDF16_S1_DF16_EEvlllT_PT11_llS4_llS2_PT12_llPT13_lli
; %bb.0:
	s_load_dwordx2 s[2:3], s[4:5], 0x10
	s_mov_b32 s0, s7
	s_ashr_i32 s1, s0, 31
	s_ashr_i32 s7, s6, 31
	s_lshl_b64 s[10:11], s[0:1], 6
	s_waitcnt lgkmcnt(0)
	v_cmp_lt_i64_e64 s[0:1], s[2:3], 1
	v_bfe_u32 v19, v0, 10, 10
	v_and_b32_e32 v18, 0x3ff, v0
	s_lshl_b64 s[6:7], s[6:7], 6
	s_and_b64 vcc, exec, s[0:1]
	s_cbranch_vccnz .LBB3_3
; %bb.1:
	s_load_dwordx8 s[12:19], s[4:5], 0x20
	s_load_dwordx4 s[20:23], s[4:5], 0x40
	v_lshl_add_u32 v0, v19, 4, v18
	v_and_b32_e32 v4, 3, v18
	v_and_b32_e32 v5, 63, v0
	v_lshrrev_b32_e32 v1, 2, v0
	v_lshrrev_b32_e32 v6, 6, v0
	v_lshlrev_b32_e32 v0, 1, v5
	v_lshlrev_b32_e32 v4, 1, v4
	v_lshl_or_b32 v24, v6, 7, v0
	v_lshl_or_b32 v0, v1, 3, v4
	v_mov_b32_e32 v2, s11
	v_add_co_u32_e32 v3, vcc, s10, v1
	v_add_u32_e32 v25, 0x200, v0
	v_mov_b32_e32 v0, 0x200
	v_addc_co_u32_e32 v2, vcc, 0, v2, vcc
	v_lshl_add_u32 v27, v19, 3, v0
	s_waitcnt lgkmcnt(0)
	v_mad_u64_u32 v[0:1], s[0:1], s20, v3, 0
	v_mul_lo_u32 v7, s21, v3
	v_mul_lo_u32 v2, s20, v2
	s_mul_i32 s0, s23, s8
	s_mul_hi_u32 s1, s22, s8
	v_add3_u32 v1, v1, v2, v7
	s_add_i32 s1, s1, s0
	s_mul_i32 s0, s22, s8
	v_lshlrev_b64 v[0:1], 1, v[0:1]
	s_lshl_b64 s[0:1], s[0:1], 1
	v_mov_b32_e32 v2, s1
	v_add_co_u32_e32 v0, vcc, s0, v0
	v_addc_co_u32_e32 v1, vcc, v1, v2, vcc
	v_add_co_u32_e32 v0, vcc, v0, v4
	v_addc_co_u32_e32 v1, vcc, 0, v1, vcc
	v_mov_b32_e32 v2, s19
	v_add_co_u32_e32 v0, vcc, s18, v0
	v_addc_co_u32_e32 v1, vcc, v2, v1, vcc
	v_mov_b32_e32 v2, s7
	v_add_co_u32_e32 v3, vcc, s6, v5
	v_addc_co_u32_e32 v2, vcc, 0, v2, vcc
	v_mul_lo_u32 v4, s15, v3
	v_mul_lo_u32 v5, s14, v2
	v_mad_u64_u32 v[2:3], s[0:1], s14, v3, 0
	s_mul_i32 s0, s17, s8
	s_mul_hi_u32 s1, s16, s8
	v_add3_u32 v3, v3, v5, v4
	s_add_i32 s1, s1, s0
	s_mul_i32 s0, s16, s8
	v_lshlrev_b64 v[2:3], 1, v[2:3]
	s_lshl_b64 s[0:1], s[0:1], 1
	v_mov_b32_e32 v4, s1
	v_add_co_u32_e32 v2, vcc, s0, v2
	v_addc_co_u32_e32 v3, vcc, v3, v4, vcc
	v_lshlrev_b32_e32 v4, 1, v6
	v_add_co_u32_e32 v2, vcc, v2, v4
	v_addc_co_u32_e32 v3, vcc, 0, v3, vcc
	v_mov_b32_e32 v4, s13
	v_add_co_u32_e32 v2, vcc, s12, v2
	v_lshlrev_b32_e32 v26, 1, v18
	v_addc_co_u32_e32 v3, vcc, v4, v3, vcc
	s_mov_b64 s[0:1], 0
	v_mov_b32_e32 v6, 0
	v_pk_mov_b32 v[4:5], s[2:3], s[2:3] op_sel:[0,1]
	v_mov_b32_e32 v7, 0
	v_mov_b32_e32 v8, 0
	;; [unrolled: 1-line block ×15, first 2 shown]
.LBB3_2:                                ; =>This Inner Loop Header: Depth=1
	global_load_ushort v28, v[2:3], off
	global_load_ushort v29, v[0:1], off
	v_add_co_u32_e32 v0, vcc, 8, v0
	v_addc_co_u32_e32 v1, vcc, 0, v1, vcc
	s_add_u32 s0, s0, 4
	v_add_co_u32_e32 v2, vcc, 8, v2
	v_addc_co_u32_e32 v3, vcc, 0, v3, vcc
	s_addc_u32 s1, s1, 0
	v_cmp_lt_i64_e32 vcc, s[0:1], v[4:5]
	s_and_b64 vcc, exec, vcc
	s_waitcnt vmcnt(1)
	ds_write_b16 v24, v28
	s_waitcnt vmcnt(0)
	ds_write_b16 v25, v29
	s_waitcnt lgkmcnt(0)
	s_barrier
	ds_read2_b64 v[28:31], v27 offset1:16
	ds_read2_b64 v[32:35], v27 offset0:32 offset1:48
	ds_read_u16 v36, v26
	ds_read_u16 v37, v26 offset:32
	ds_read_u16 v38, v26 offset:64
	;; [unrolled: 1-line block ×15, first 2 shown]
	s_waitcnt lgkmcnt(14)
	v_lshrrev_b32_e32 v52, 16, v28
	v_fma_f16 v23, v36, v28, v23
	v_fma_f16 v22, v37, v28, v22
	s_waitcnt lgkmcnt(13)
	v_fma_f16 v21, v38, v28, v21
	s_waitcnt lgkmcnt(12)
	v_fma_f16 v20, v39, v28, v20
	v_lshrrev_b32_e32 v28, 16, v30
	v_fma_f16 v17, v36, v30, v17
	v_fma_f16 v16, v37, v30, v16
	v_fma_f16 v15, v38, v30, v15
	v_fma_f16 v14, v39, v30, v14
	v_lshrrev_b32_e32 v30, 16, v32
	v_fma_f16 v13, v36, v32, v13
	v_fma_f16 v12, v37, v32, v12
	v_fma_f16 v11, v38, v32, v11
	;; [unrolled: 5-line block ×3, first 2 shown]
	v_fma_f16 v6, v39, v34, v6
	s_waitcnt lgkmcnt(11)
	v_fma_f16 v23, v40, v52, v23
	s_waitcnt lgkmcnt(10)
	;; [unrolled: 2-line block ×4, first 2 shown]
	v_fma_f16 v20, v43, v52, v20
	v_fma_f16 v17, v40, v28, v17
	;; [unrolled: 1-line block ×13, first 2 shown]
	v_lshrrev_b32_e32 v53, 16, v29
	v_lshrrev_b32_e32 v54, 16, v31
	v_lshrrev_b32_e32 v55, 16, v33
	v_lshrrev_b32_e32 v56, 16, v35
	s_waitcnt lgkmcnt(7)
	v_fma_f16 v23, v44, v29, v23
	s_waitcnt lgkmcnt(6)
	v_fma_f16 v22, v45, v29, v22
	;; [unrolled: 2-line block ×4, first 2 shown]
	v_fma_f16 v17, v44, v31, v17
	v_fma_f16 v16, v45, v31, v16
	;; [unrolled: 1-line block ×12, first 2 shown]
	s_waitcnt lgkmcnt(3)
	v_fma_f16 v23, v48, v53, v23
	s_waitcnt lgkmcnt(2)
	v_fma_f16 v22, v49, v53, v22
	;; [unrolled: 2-line block ×4, first 2 shown]
	v_fma_f16 v17, v48, v54, v17
	v_fma_f16 v16, v49, v54, v16
	;; [unrolled: 1-line block ×12, first 2 shown]
	s_barrier
	s_cbranch_vccnz .LBB3_2
	s_branch .LBB3_4
.LBB3_3:
	v_mov_b32_e32 v23, 0
	v_mov_b32_e32 v22, 0
	;; [unrolled: 1-line block ×16, first 2 shown]
.LBB3_4:
	s_load_dwordx4 s[0:3], s[4:5], 0x78
	s_load_dword s9, s[4:5], 0x18
	s_load_dword s20, s[4:5], 0x50
	s_load_dwordx8 s[12:19], s[4:5], 0x58
	v_mov_b32_e32 v0, s11
	s_waitcnt lgkmcnt(0)
	s_mul_i32 s3, s8, s3
	s_mul_hi_u32 s4, s8, s2
	s_add_i32 s3, s4, s3
	s_mul_i32 s2, s8, s2
	v_add_co_u32_e32 v2, vcc, s10, v19
	s_lshl_b64 s[2:3], s[2:3], 1
	v_addc_co_u32_e32 v5, vcc, 0, v0, vcc
	s_add_u32 s4, s18, s2
	v_mov_b32_e32 v1, s7
	v_add_co_u32_e32 v0, vcc, s6, v18
	s_addc_u32 s5, s19, s3
	v_cmp_neq_f16_e64 s[2:3], s20, 0
	v_addc_co_u32_e32 v1, vcc, 0, v1, vcc
	s_and_b64 vcc, exec, s[2:3]
	v_mul_lo_u32 v3, v5, s0
	v_mul_lo_u32 v4, v2, s1
	v_lshlrev_b64 v[0:1], 1, v[0:1]
	s_cbranch_vccnz .LBB3_8
; %bb.5:
	v_mad_u64_u32 v[18:19], s[2:3], v2, s0, 0
	v_add3_u32 v19, v19, v4, v3
	v_lshlrev_b64 v[18:19], 1, v[18:19]
	v_mov_b32_e32 v24, s5
	v_add_co_u32_e32 v18, vcc, s4, v18
	v_addc_co_u32_e32 v19, vcc, v24, v19, vcc
	v_add_co_u32_e32 v18, vcc, v18, v0
	v_mul_f16_e32 v24, s9, v23
	v_addc_co_u32_e32 v19, vcc, v19, v1, vcc
	global_store_short v[18:19], v24, off
	v_mul_f16_e32 v24, s9, v22
	global_store_short v[18:19], v24, off offset:32
	v_mul_f16_e32 v24, s9, v21
	global_store_short v[18:19], v24, off offset:64
	v_mul_f16_e32 v24, s9, v20
	s_lshl_b64 s[2:3], s[0:1], 5
	global_store_short v[18:19], v24, off offset:96
	v_mov_b32_e32 v25, s3
	v_add_co_u32_e32 v18, vcc, s2, v18
	v_mul_f16_e32 v24, s9, v17
	v_addc_co_u32_e32 v19, vcc, v19, v25, vcc
	global_store_short v[18:19], v24, off
	v_mul_f16_e32 v24, s9, v16
	global_store_short v[18:19], v24, off offset:32
	v_mul_f16_e32 v24, s9, v15
	global_store_short v[18:19], v24, off offset:64
	v_mul_f16_e32 v24, s9, v14
	global_store_short v[18:19], v24, off offset:96
	v_add_co_u32_e32 v18, vcc, s2, v18
	v_mul_f16_e32 v24, s9, v13
	v_addc_co_u32_e32 v19, vcc, v19, v25, vcc
	global_store_short v[18:19], v24, off
	v_mul_f16_e32 v24, s9, v12
	global_store_short v[18:19], v24, off offset:32
	v_mul_f16_e32 v24, s9, v11
	global_store_short v[18:19], v24, off offset:64
	v_mul_f16_e32 v24, s9, v10
	global_store_short v[18:19], v24, off offset:96
	;; [unrolled: 10-line block ×3, first 2 shown]
	s_cbranch_execnz .LBB3_7
.LBB3_6:
	s_mul_i32 s2, s8, s17
	s_mul_hi_u32 s3, s8, s16
	s_add_i32 s3, s3, s2
	s_mul_i32 s2, s8, s16
	s_lshl_b64 s[2:3], s[2:3], 1
	s_add_u32 s6, s12, s2
	s_addc_u32 s7, s13, s3
	v_mul_lo_u32 v5, v5, s14
	v_mul_lo_u32 v24, v2, s15
	v_mad_u64_u32 v[18:19], s[2:3], v2, s14, 0
	v_add3_u32 v19, v19, v24, v5
	v_lshlrev_b64 v[18:19], 1, v[18:19]
	v_mov_b32_e32 v5, s7
	v_add_co_u32_e32 v18, vcc, s6, v18
	v_addc_co_u32_e32 v5, vcc, v5, v19, vcc
	v_add_co_u32_e32 v18, vcc, v18, v0
	v_addc_co_u32_e32 v19, vcc, v5, v1, vcc
	global_load_ushort v5, v[18:19], off
	v_mad_u64_u32 v[24:25], s[2:3], v2, s0, 0
	v_add3_u32 v25, v25, v4, v3
	v_lshlrev_b64 v[2:3], 1, v[24:25]
	v_mov_b32_e32 v26, s5
	v_add_co_u32_e32 v2, vcc, s4, v2
	v_addc_co_u32_e32 v3, vcc, v26, v3, vcc
	v_add_co_u32_e32 v0, vcc, v2, v0
	v_addc_co_u32_e32 v1, vcc, v3, v1, vcc
	s_lshl_b64 s[2:3], s[14:15], 5
	s_lshl_b64 s[0:1], s[0:1], 5
	s_waitcnt vmcnt(0)
	v_mul_f16_e32 v2, s20, v5
	v_fma_f16 v2, v23, s9, v2
	global_store_short v[0:1], v2, off
	global_load_ushort v2, v[18:19], off offset:32
	v_mov_b32_e32 v5, s3
	s_waitcnt vmcnt(0)
	v_mul_f16_e32 v2, s20, v2
	v_fma_f16 v2, v22, s9, v2
	global_store_short v[0:1], v2, off offset:32
	global_load_ushort v2, v[18:19], off offset:64
	s_waitcnt vmcnt(0)
	v_mul_f16_e32 v2, s20, v2
	v_fma_f16 v2, v21, s9, v2
	global_store_short v[0:1], v2, off offset:64
	global_load_ushort v4, v[18:19], off offset:96
	v_add_co_u32_e32 v2, vcc, s2, v18
	v_addc_co_u32_e32 v3, vcc, v19, v5, vcc
	v_mov_b32_e32 v18, s1
	s_waitcnt vmcnt(0)
	v_mul_f16_e32 v4, s20, v4
	v_fma_f16 v4, v20, s9, v4
	global_store_short v[0:1], v4, off offset:96
	global_load_ushort v4, v[2:3], off
	v_add_co_u32_e32 v0, vcc, s0, v0
	v_addc_co_u32_e32 v1, vcc, v1, v18, vcc
	s_waitcnt vmcnt(0)
	v_mul_f16_e32 v4, s20, v4
	v_fma_f16 v4, v17, s9, v4
	global_store_short v[0:1], v4, off
	global_load_ushort v4, v[2:3], off offset:32
	s_waitcnt vmcnt(0)
	v_mul_f16_e32 v4, s20, v4
	v_fma_f16 v4, v16, s9, v4
	global_store_short v[0:1], v4, off offset:32
	global_load_ushort v4, v[2:3], off offset:64
	s_waitcnt vmcnt(0)
	v_mul_f16_e32 v4, s20, v4
	v_fma_f16 v4, v15, s9, v4
	global_store_short v[0:1], v4, off offset:64
	global_load_ushort v4, v[2:3], off offset:96
	v_add_co_u32_e32 v2, vcc, s2, v2
	v_addc_co_u32_e32 v3, vcc, v3, v5, vcc
	s_waitcnt vmcnt(0)
	v_mul_f16_e32 v4, s20, v4
	v_fma_f16 v4, v14, s9, v4
	global_store_short v[0:1], v4, off offset:96
	global_load_ushort v4, v[2:3], off
	v_add_co_u32_e32 v0, vcc, s0, v0
	v_addc_co_u32_e32 v1, vcc, v1, v18, vcc
	s_waitcnt vmcnt(0)
	v_mul_f16_e32 v4, s20, v4
	v_fma_f16 v4, v13, s9, v4
	global_store_short v[0:1], v4, off
	global_load_ushort v4, v[2:3], off offset:32
	s_waitcnt vmcnt(0)
	v_mul_f16_e32 v4, s20, v4
	v_fma_f16 v4, v12, s9, v4
	global_store_short v[0:1], v4, off offset:32
	global_load_ushort v4, v[2:3], off offset:64
	s_waitcnt vmcnt(0)
	v_mul_f16_e32 v4, s20, v4
	v_fma_f16 v4, v11, s9, v4
	global_store_short v[0:1], v4, off offset:64
	global_load_ushort v4, v[2:3], off offset:96
	v_add_co_u32_e32 v2, vcc, s2, v2
	v_addc_co_u32_e32 v3, vcc, v3, v5, vcc
	s_waitcnt vmcnt(0)
	v_mul_f16_e32 v4, s20, v4
	v_fma_f16 v4, v10, s9, v4
	global_store_short v[0:1], v4, off offset:96
	global_load_ushort v4, v[2:3], off
	v_add_co_u32_e32 v0, vcc, s0, v0
	v_addc_co_u32_e32 v1, vcc, v1, v18, vcc
	s_waitcnt vmcnt(0)
	v_mul_f16_e32 v4, s20, v4
	v_fma_f16 v4, v9, s9, v4
	global_store_short v[0:1], v4, off
	global_load_ushort v4, v[2:3], off offset:32
	s_waitcnt vmcnt(0)
	v_mul_f16_e32 v4, s20, v4
	v_fma_f16 v4, v8, s9, v4
	global_store_short v[0:1], v4, off offset:32
	global_load_ushort v4, v[2:3], off offset:64
	s_waitcnt vmcnt(0)
	v_mul_f16_e32 v4, s20, v4
	v_fma_f16 v4, v7, s9, v4
	global_store_short v[0:1], v4, off offset:64
	;; [unrolled: 5-line block ×3, first 2 shown]
.LBB3_7:
	s_endpgm
.LBB3_8:
	s_branch .LBB3_6
	.section	.rodata,"a",@progbits
	.p2align	6, 0x0
	.amdhsa_kernel _ZN12_GLOBAL__N_127rocblas_gemm_batched_kernelIDF16_Li16ELi16ELi64ELi64ELi4ELi64ELi4ELi4ELi64ELc84ELc78EKDF16_S1_DF16_EEvlllT_PT11_llS4_llS2_PT12_llPT13_lli
		.amdhsa_group_segment_fixed_size 1024
		.amdhsa_private_segment_fixed_size 0
		.amdhsa_kernarg_size 140
		.amdhsa_user_sgpr_count 6
		.amdhsa_user_sgpr_private_segment_buffer 1
		.amdhsa_user_sgpr_dispatch_ptr 0
		.amdhsa_user_sgpr_queue_ptr 0
		.amdhsa_user_sgpr_kernarg_segment_ptr 1
		.amdhsa_user_sgpr_dispatch_id 0
		.amdhsa_user_sgpr_flat_scratch_init 0
		.amdhsa_user_sgpr_kernarg_preload_length 0
		.amdhsa_user_sgpr_kernarg_preload_offset 0
		.amdhsa_user_sgpr_private_segment_size 0
		.amdhsa_uses_dynamic_stack 0
		.amdhsa_system_sgpr_private_segment_wavefront_offset 0
		.amdhsa_system_sgpr_workgroup_id_x 1
		.amdhsa_system_sgpr_workgroup_id_y 1
		.amdhsa_system_sgpr_workgroup_id_z 1
		.amdhsa_system_sgpr_workgroup_info 0
		.amdhsa_system_vgpr_workitem_id 1
		.amdhsa_next_free_vgpr 57
		.amdhsa_next_free_sgpr 24
		.amdhsa_accum_offset 60
		.amdhsa_reserve_vcc 1
		.amdhsa_reserve_flat_scratch 0
		.amdhsa_float_round_mode_32 0
		.amdhsa_float_round_mode_16_64 0
		.amdhsa_float_denorm_mode_32 3
		.amdhsa_float_denorm_mode_16_64 3
		.amdhsa_dx10_clamp 1
		.amdhsa_ieee_mode 1
		.amdhsa_fp16_overflow 0
		.amdhsa_tg_split 0
		.amdhsa_exception_fp_ieee_invalid_op 0
		.amdhsa_exception_fp_denorm_src 0
		.amdhsa_exception_fp_ieee_div_zero 0
		.amdhsa_exception_fp_ieee_overflow 0
		.amdhsa_exception_fp_ieee_underflow 0
		.amdhsa_exception_fp_ieee_inexact 0
		.amdhsa_exception_int_div_zero 0
	.end_amdhsa_kernel
	.section	.text._ZN12_GLOBAL__N_127rocblas_gemm_batched_kernelIDF16_Li16ELi16ELi64ELi64ELi4ELi64ELi4ELi4ELi64ELc84ELc78EKDF16_S1_DF16_EEvlllT_PT11_llS4_llS2_PT12_llPT13_lli,"axG",@progbits,_ZN12_GLOBAL__N_127rocblas_gemm_batched_kernelIDF16_Li16ELi16ELi64ELi64ELi4ELi64ELi4ELi4ELi64ELc84ELc78EKDF16_S1_DF16_EEvlllT_PT11_llS4_llS2_PT12_llPT13_lli,comdat
.Lfunc_end3:
	.size	_ZN12_GLOBAL__N_127rocblas_gemm_batched_kernelIDF16_Li16ELi16ELi64ELi64ELi4ELi64ELi4ELi4ELi64ELc84ELc78EKDF16_S1_DF16_EEvlllT_PT11_llS4_llS2_PT12_llPT13_lli, .Lfunc_end3-_ZN12_GLOBAL__N_127rocblas_gemm_batched_kernelIDF16_Li16ELi16ELi64ELi64ELi4ELi64ELi4ELi4ELi64ELc84ELc78EKDF16_S1_DF16_EEvlllT_PT11_llS4_llS2_PT12_llPT13_lli
                                        ; -- End function
	.section	.AMDGPU.csdata,"",@progbits
; Kernel info:
; codeLenInByte = 2468
; NumSgprs: 28
; NumVgprs: 57
; NumAgprs: 0
; TotalNumVgprs: 57
; ScratchSize: 0
; MemoryBound: 0
; FloatMode: 240
; IeeeMode: 1
; LDSByteSize: 1024 bytes/workgroup (compile time only)
; SGPRBlocks: 3
; VGPRBlocks: 7
; NumSGPRsForWavesPerEU: 28
; NumVGPRsForWavesPerEU: 57
; AccumOffset: 60
; Occupancy: 8
; WaveLimiterHint : 0
; COMPUTE_PGM_RSRC2:SCRATCH_EN: 0
; COMPUTE_PGM_RSRC2:USER_SGPR: 6
; COMPUTE_PGM_RSRC2:TRAP_HANDLER: 0
; COMPUTE_PGM_RSRC2:TGID_X_EN: 1
; COMPUTE_PGM_RSRC2:TGID_Y_EN: 1
; COMPUTE_PGM_RSRC2:TGID_Z_EN: 1
; COMPUTE_PGM_RSRC2:TIDIG_COMP_CNT: 1
; COMPUTE_PGM_RSRC3_GFX90A:ACCUM_OFFSET: 14
; COMPUTE_PGM_RSRC3_GFX90A:TG_SPLIT: 0
	.section	.text._ZN12_GLOBAL__N_127rocblas_gemm_batched_kernelIDF16_Li16ELi16ELi64ELi64ELi4ELi64ELi4ELi4ELi64ELc78ELc84EKDF16_S1_DF16_EEvlllT_PT11_llS4_llS2_PT12_llPT13_lli,"axG",@progbits,_ZN12_GLOBAL__N_127rocblas_gemm_batched_kernelIDF16_Li16ELi16ELi64ELi64ELi4ELi64ELi4ELi4ELi64ELc78ELc84EKDF16_S1_DF16_EEvlllT_PT11_llS4_llS2_PT12_llPT13_lli,comdat
	.globl	_ZN12_GLOBAL__N_127rocblas_gemm_batched_kernelIDF16_Li16ELi16ELi64ELi64ELi4ELi64ELi4ELi4ELi64ELc78ELc84EKDF16_S1_DF16_EEvlllT_PT11_llS4_llS2_PT12_llPT13_lli ; -- Begin function _ZN12_GLOBAL__N_127rocblas_gemm_batched_kernelIDF16_Li16ELi16ELi64ELi64ELi4ELi64ELi4ELi4ELi64ELc78ELc84EKDF16_S1_DF16_EEvlllT_PT11_llS4_llS2_PT12_llPT13_lli
	.p2align	8
	.type	_ZN12_GLOBAL__N_127rocblas_gemm_batched_kernelIDF16_Li16ELi16ELi64ELi64ELi4ELi64ELi4ELi4ELi64ELc78ELc84EKDF16_S1_DF16_EEvlllT_PT11_llS4_llS2_PT12_llPT13_lli,@function
_ZN12_GLOBAL__N_127rocblas_gemm_batched_kernelIDF16_Li16ELi16ELi64ELi64ELi4ELi64ELi4ELi4ELi64ELc78ELc84EKDF16_S1_DF16_EEvlllT_PT11_llS4_llS2_PT12_llPT13_lli: ; @_ZN12_GLOBAL__N_127rocblas_gemm_batched_kernelIDF16_Li16ELi16ELi64ELi64ELi4ELi64ELi4ELi4ELi64ELc78ELc84EKDF16_S1_DF16_EEvlllT_PT11_llS4_llS2_PT12_llPT13_lli
; %bb.0:
	s_load_dwordx2 s[20:21], s[4:5], 0x10
	s_mov_b32 s0, s7
	s_ashr_i32 s1, s0, 31
	s_ashr_i32 s7, s6, 31
	s_lshl_b64 s[10:11], s[0:1], 6
	s_waitcnt lgkmcnt(0)
	v_cmp_lt_i64_e64 s[0:1], s[20:21], 1
	v_bfe_u32 v19, v0, 10, 10
	v_and_b32_e32 v17, 0x3ff, v0
	s_lshl_b64 s[6:7], s[6:7], 6
	s_and_b64 vcc, exec, s[0:1]
	s_cbranch_vccnz .LBB4_3
; %bb.1:
	v_lshl_add_u32 v2, v19, 4, v17
	s_load_dwordx8 s[12:19], s[4:5], 0x20
	s_load_dwordx4 s[0:3], s[4:5], 0x40
	v_and_b32_e32 v8, 63, v2
	v_lshrrev_b32_e32 v0, 2, v2
	v_and_b32_e32 v4, 3, v17
	v_lshrrev_b32_e32 v6, 6, v2
	v_lshlrev_b32_e32 v2, 1, v8
	v_lshl_or_b32 v24, v6, 7, v2
	v_lshlrev_b32_e32 v2, 1, v4
	v_lshl_or_b32 v2, v0, 3, v2
	v_mov_b32_e32 v1, 0
	v_add_u32_e32 v25, 0x200, v2
	v_mov_b32_e32 v2, 0x200
	v_lshl_add_u32 v27, v19, 3, v2
	s_waitcnt lgkmcnt(0)
	v_mad_u64_u32 v[2:3], s[22:23], v4, s0, v[0:1]
	s_mul_i32 s3, s3, s8
	s_mul_hi_u32 s9, s2, s8
	v_mov_b32_e32 v0, v3
	s_add_i32 s3, s9, s3
	s_mul_i32 s2, s2, s8
	v_mad_u64_u32 v[4:5], s[22:23], v4, s1, v[0:1]
	s_lshl_b64 s[2:3], s[2:3], 1
	v_mov_b32_e32 v3, v4
	v_mov_b32_e32 v0, s11
	v_add_co_u32_e32 v2, vcc, s10, v2
	v_addc_co_u32_e32 v3, vcc, v3, v0, vcc
	s_add_u32 s2, s18, s2
	v_lshlrev_b64 v[2:3], 1, v[2:3]
	s_addc_u32 s3, s19, s3
	v_mov_b32_e32 v0, s3
	v_add_co_u32_e32 v2, vcc, s2, v2
	s_mul_i32 s2, s17, s8
	s_mul_hi_u32 s3, s16, s8
	v_pk_mov_b32 v[4:5], s[6:7], s[6:7] op_sel:[0,1]
	s_add_i32 s3, s3, s2
	s_mul_i32 s2, s16, s8
	v_mad_u64_u32 v[4:5], s[16:17], v6, s14, v[4:5]
	v_addc_co_u32_e32 v3, vcc, v0, v3, vcc
	v_mov_b32_e32 v0, v5
	v_mad_u64_u32 v[6:7], s[16:17], v6, s15, v[0:1]
	s_lshl_b64 s[0:1], s[0:1], 3
	s_lshl_b64 s[2:3], s[2:3], 1
	v_mov_b32_e32 v5, v6
	v_add_co_u32_e32 v4, vcc, v4, v8
	v_addc_co_u32_e32 v5, vcc, 0, v5, vcc
	s_add_u32 s2, s12, s2
	v_lshlrev_b64 v[4:5], 1, v[4:5]
	s_addc_u32 s3, s13, s3
	v_mov_b32_e32 v0, s3
	v_add_co_u32_e32 v4, vcc, s2, v4
	s_lshl_b64 s[2:3], s[14:15], 3
	v_lshlrev_b32_e32 v26, 1, v17
	v_addc_co_u32_e32 v5, vcc, v0, v5, vcc
	s_mov_b64 s[12:13], 0
	v_mov_b32_e32 v28, s1
	v_mov_b32_e32 v29, s3
	v_pk_mov_b32 v[6:7], s[20:21], s[20:21] op_sel:[0,1]
	v_mov_b32_e32 v0, v1
	v_mov_b32_e32 v8, v1
	;; [unrolled: 1-line block ×15, first 2 shown]
.LBB4_2:                                ; =>This Inner Loop Header: Depth=1
	global_load_ushort v30, v[4:5], off
	global_load_ushort v31, v[2:3], off
	v_add_co_u32_e32 v2, vcc, s0, v2
	v_addc_co_u32_e32 v3, vcc, v3, v28, vcc
	s_add_u32 s12, s12, 4
	v_add_co_u32_e32 v4, vcc, s2, v4
	v_addc_co_u32_e32 v5, vcc, v5, v29, vcc
	s_addc_u32 s13, s13, 0
	v_cmp_lt_i64_e32 vcc, s[12:13], v[6:7]
	s_and_b64 vcc, exec, vcc
	s_waitcnt vmcnt(1)
	ds_write_b16 v24, v30
	s_waitcnt vmcnt(0)
	ds_write_b16 v25, v31
	s_waitcnt lgkmcnt(0)
	s_barrier
	ds_read2_b64 v[30:33], v27 offset1:16
	ds_read2_b64 v[34:37], v27 offset0:32 offset1:48
	ds_read_u16 v38, v26
	ds_read_u16 v39, v26 offset:32
	ds_read_u16 v40, v26 offset:64
	;; [unrolled: 1-line block ×15, first 2 shown]
	s_waitcnt lgkmcnt(14)
	v_lshrrev_b32_e32 v54, 16, v30
	v_fma_f16 v23, v38, v30, v23
	v_fma_f16 v22, v39, v30, v22
	s_waitcnt lgkmcnt(13)
	v_fma_f16 v21, v40, v30, v21
	s_waitcnt lgkmcnt(12)
	v_fma_f16 v20, v41, v30, v20
	v_lshrrev_b32_e32 v30, 16, v32
	v_fma_f16 v18, v38, v32, v18
	v_fma_f16 v16, v39, v32, v16
	v_fma_f16 v15, v40, v32, v15
	v_fma_f16 v14, v41, v32, v14
	v_lshrrev_b32_e32 v32, 16, v34
	v_fma_f16 v13, v38, v34, v13
	v_fma_f16 v12, v39, v34, v12
	v_fma_f16 v11, v40, v34, v11
	;; [unrolled: 5-line block ×3, first 2 shown]
	v_fma_f16 v1, v41, v36, v1
	s_waitcnt lgkmcnt(11)
	v_fma_f16 v23, v42, v54, v23
	s_waitcnt lgkmcnt(10)
	;; [unrolled: 2-line block ×4, first 2 shown]
	v_fma_f16 v20, v45, v54, v20
	v_fma_f16 v18, v42, v30, v18
	;; [unrolled: 1-line block ×13, first 2 shown]
	v_lshrrev_b32_e32 v55, 16, v31
	v_lshrrev_b32_e32 v56, 16, v33
	;; [unrolled: 1-line block ×4, first 2 shown]
	s_waitcnt lgkmcnt(7)
	v_fma_f16 v23, v46, v31, v23
	s_waitcnt lgkmcnt(6)
	v_fma_f16 v22, v47, v31, v22
	;; [unrolled: 2-line block ×4, first 2 shown]
	v_fma_f16 v18, v46, v33, v18
	v_fma_f16 v16, v47, v33, v16
	;; [unrolled: 1-line block ×12, first 2 shown]
	s_waitcnt lgkmcnt(3)
	v_fma_f16 v23, v50, v55, v23
	s_waitcnt lgkmcnt(2)
	v_fma_f16 v22, v51, v55, v22
	;; [unrolled: 2-line block ×4, first 2 shown]
	v_fma_f16 v18, v50, v56, v18
	v_fma_f16 v16, v51, v56, v16
	;; [unrolled: 1-line block ×12, first 2 shown]
	s_barrier
	s_cbranch_vccnz .LBB4_2
	s_branch .LBB4_4
.LBB4_3:
	v_mov_b32_e32 v23, 0
	v_mov_b32_e32 v22, 0
	;; [unrolled: 1-line block ×16, first 2 shown]
.LBB4_4:
	s_load_dwordx4 s[0:3], s[4:5], 0x78
	s_load_dword s9, s[4:5], 0x18
	s_load_dword s20, s[4:5], 0x50
	s_load_dwordx8 s[12:19], s[4:5], 0x58
	v_mov_b32_e32 v2, s11
	s_waitcnt lgkmcnt(0)
	s_mul_i32 s3, s8, s3
	s_mul_hi_u32 s4, s8, s2
	s_add_i32 s3, s4, s3
	s_mul_i32 s2, s8, s2
	v_add_co_u32_e32 v4, vcc, s10, v19
	s_lshl_b64 s[2:3], s[2:3], 1
	v_addc_co_u32_e32 v7, vcc, 0, v2, vcc
	s_add_u32 s4, s18, s2
	v_mov_b32_e32 v3, s7
	v_add_co_u32_e32 v2, vcc, s6, v17
	s_addc_u32 s5, s19, s3
	v_cmp_neq_f16_e64 s[2:3], s20, 0
	v_addc_co_u32_e32 v3, vcc, 0, v3, vcc
	s_and_b64 vcc, exec, s[2:3]
	v_mul_lo_u32 v5, v7, s0
	v_mul_lo_u32 v6, v4, s1
	v_lshlrev_b64 v[2:3], 1, v[2:3]
	s_cbranch_vccnz .LBB4_8
; %bb.5:
	v_mad_u64_u32 v[24:25], s[2:3], v4, s0, 0
	v_add3_u32 v25, v25, v6, v5
	v_lshlrev_b64 v[24:25], 1, v[24:25]
	v_mov_b32_e32 v17, s5
	v_add_co_u32_e32 v19, vcc, s4, v24
	v_addc_co_u32_e32 v17, vcc, v17, v25, vcc
	v_add_co_u32_e32 v24, vcc, v19, v2
	v_addc_co_u32_e32 v25, vcc, v17, v3, vcc
	v_mul_f16_e32 v17, s9, v22
	global_store_short v[24:25], v17, off offset:32
	v_mul_f16_e32 v17, s9, v21
	v_mul_f16_e32 v26, s9, v23
	global_store_short v[24:25], v17, off offset:64
	v_mul_f16_e32 v17, s9, v20
	s_lshl_b64 s[2:3], s[0:1], 5
	global_store_short v[24:25], v26, off
	global_store_short v[24:25], v17, off offset:96
	v_mov_b32_e32 v19, s3
	v_add_co_u32_e32 v24, vcc, s2, v24
	v_mul_f16_e32 v17, s9, v18
	v_addc_co_u32_e32 v25, vcc, v25, v19, vcc
	global_store_short v[24:25], v17, off
	v_mul_f16_e32 v17, s9, v16
	global_store_short v[24:25], v17, off offset:32
	v_mul_f16_e32 v17, s9, v15
	global_store_short v[24:25], v17, off offset:64
	v_mul_f16_e32 v17, s9, v14
	global_store_short v[24:25], v17, off offset:96
	v_add_co_u32_e32 v24, vcc, s2, v24
	v_mul_f16_e32 v17, s9, v13
	v_addc_co_u32_e32 v25, vcc, v25, v19, vcc
	global_store_short v[24:25], v17, off
	v_mul_f16_e32 v17, s9, v12
	global_store_short v[24:25], v17, off offset:32
	v_mul_f16_e32 v17, s9, v11
	global_store_short v[24:25], v17, off offset:64
	v_mul_f16_e32 v17, s9, v10
	global_store_short v[24:25], v17, off offset:96
	;; [unrolled: 10-line block ×3, first 2 shown]
	s_cbranch_execnz .LBB4_7
.LBB4_6:
	s_mul_i32 s2, s8, s17
	s_mul_hi_u32 s3, s8, s16
	s_add_i32 s3, s3, s2
	s_mul_i32 s2, s8, s16
	s_lshl_b64 s[2:3], s[2:3], 1
	s_add_u32 s6, s12, s2
	s_addc_u32 s7, s13, s3
	v_mul_lo_u32 v7, v7, s14
	v_mul_lo_u32 v17, v4, s15
	v_mad_u64_u32 v[24:25], s[2:3], v4, s14, 0
	v_add3_u32 v25, v25, v17, v7
	v_lshlrev_b64 v[24:25], 1, v[24:25]
	v_mov_b32_e32 v7, s7
	v_add_co_u32_e32 v17, vcc, s6, v24
	v_addc_co_u32_e32 v7, vcc, v7, v25, vcc
	v_add_co_u32_e32 v24, vcc, v17, v2
	v_addc_co_u32_e32 v25, vcc, v7, v3, vcc
	global_load_ushort v7, v[24:25], off
	v_mad_u64_u32 v[26:27], s[2:3], v4, s0, 0
	v_add3_u32 v27, v27, v6, v5
	v_lshlrev_b64 v[4:5], 1, v[26:27]
	v_mov_b32_e32 v17, s5
	v_add_co_u32_e32 v4, vcc, s4, v4
	v_addc_co_u32_e32 v5, vcc, v17, v5, vcc
	v_add_co_u32_e32 v2, vcc, v4, v2
	v_addc_co_u32_e32 v3, vcc, v5, v3, vcc
	s_lshl_b64 s[2:3], s[14:15], 5
	s_lshl_b64 s[0:1], s[0:1], 5
	v_mov_b32_e32 v17, s1
	s_waitcnt vmcnt(0)
	v_mul_f16_e32 v4, s20, v7
	v_fma_f16 v4, v23, s9, v4
	global_store_short v[2:3], v4, off
	global_load_ushort v4, v[24:25], off offset:32
	v_mov_b32_e32 v7, s3
	s_waitcnt vmcnt(0)
	v_mul_f16_e32 v4, s20, v4
	v_fma_f16 v4, v22, s9, v4
	global_store_short v[2:3], v4, off offset:32
	global_load_ushort v4, v[24:25], off offset:64
	s_waitcnt vmcnt(0)
	v_mul_f16_e32 v4, s20, v4
	v_fma_f16 v4, v21, s9, v4
	global_store_short v[2:3], v4, off offset:64
	global_load_ushort v6, v[24:25], off offset:96
	v_add_co_u32_e32 v4, vcc, s2, v24
	v_addc_co_u32_e32 v5, vcc, v25, v7, vcc
	s_waitcnt vmcnt(0)
	v_mul_f16_e32 v6, s20, v6
	v_fma_f16 v6, v20, s9, v6
	global_store_short v[2:3], v6, off offset:96
	global_load_ushort v6, v[4:5], off
	v_add_co_u32_e32 v2, vcc, s0, v2
	v_addc_co_u32_e32 v3, vcc, v3, v17, vcc
	s_waitcnt vmcnt(0)
	v_mul_f16_e32 v6, s20, v6
	v_fma_f16 v6, v18, s9, v6
	global_store_short v[2:3], v6, off
	global_load_ushort v6, v[4:5], off offset:32
	s_waitcnt vmcnt(0)
	v_mul_f16_e32 v6, s20, v6
	v_fma_f16 v6, v16, s9, v6
	global_store_short v[2:3], v6, off offset:32
	global_load_ushort v6, v[4:5], off offset:64
	s_waitcnt vmcnt(0)
	v_mul_f16_e32 v6, s20, v6
	v_fma_f16 v6, v15, s9, v6
	global_store_short v[2:3], v6, off offset:64
	global_load_ushort v6, v[4:5], off offset:96
	v_add_co_u32_e32 v4, vcc, s2, v4
	v_addc_co_u32_e32 v5, vcc, v5, v7, vcc
	s_waitcnt vmcnt(0)
	v_mul_f16_e32 v6, s20, v6
	v_fma_f16 v6, v14, s9, v6
	global_store_short v[2:3], v6, off offset:96
	global_load_ushort v6, v[4:5], off
	v_add_co_u32_e32 v2, vcc, s0, v2
	v_addc_co_u32_e32 v3, vcc, v3, v17, vcc
	s_waitcnt vmcnt(0)
	v_mul_f16_e32 v6, s20, v6
	v_fma_f16 v6, v13, s9, v6
	global_store_short v[2:3], v6, off
	global_load_ushort v6, v[4:5], off offset:32
	;; [unrolled: 24-line block ×3, first 2 shown]
	s_waitcnt vmcnt(0)
	v_mul_f16_e32 v6, s20, v6
	v_fma_f16 v6, v8, s9, v6
	global_store_short v[2:3], v6, off offset:32
	global_load_ushort v6, v[4:5], off offset:64
	s_waitcnt vmcnt(0)
	v_mul_f16_e32 v6, s20, v6
	v_fma_f16 v0, v0, s9, v6
	global_store_short v[2:3], v0, off offset:64
	global_load_ushort v0, v[4:5], off offset:96
	s_waitcnt vmcnt(0)
	v_mul_f16_e32 v0, s20, v0
	v_fma_f16 v0, v1, s9, v0
	global_store_short v[2:3], v0, off offset:96
.LBB4_7:
	s_endpgm
.LBB4_8:
	s_branch .LBB4_6
	.section	.rodata,"a",@progbits
	.p2align	6, 0x0
	.amdhsa_kernel _ZN12_GLOBAL__N_127rocblas_gemm_batched_kernelIDF16_Li16ELi16ELi64ELi64ELi4ELi64ELi4ELi4ELi64ELc78ELc84EKDF16_S1_DF16_EEvlllT_PT11_llS4_llS2_PT12_llPT13_lli
		.amdhsa_group_segment_fixed_size 1024
		.amdhsa_private_segment_fixed_size 0
		.amdhsa_kernarg_size 140
		.amdhsa_user_sgpr_count 6
		.amdhsa_user_sgpr_private_segment_buffer 1
		.amdhsa_user_sgpr_dispatch_ptr 0
		.amdhsa_user_sgpr_queue_ptr 0
		.amdhsa_user_sgpr_kernarg_segment_ptr 1
		.amdhsa_user_sgpr_dispatch_id 0
		.amdhsa_user_sgpr_flat_scratch_init 0
		.amdhsa_user_sgpr_kernarg_preload_length 0
		.amdhsa_user_sgpr_kernarg_preload_offset 0
		.amdhsa_user_sgpr_private_segment_size 0
		.amdhsa_uses_dynamic_stack 0
		.amdhsa_system_sgpr_private_segment_wavefront_offset 0
		.amdhsa_system_sgpr_workgroup_id_x 1
		.amdhsa_system_sgpr_workgroup_id_y 1
		.amdhsa_system_sgpr_workgroup_id_z 1
		.amdhsa_system_sgpr_workgroup_info 0
		.amdhsa_system_vgpr_workitem_id 1
		.amdhsa_next_free_vgpr 58
		.amdhsa_next_free_sgpr 24
		.amdhsa_accum_offset 60
		.amdhsa_reserve_vcc 1
		.amdhsa_reserve_flat_scratch 0
		.amdhsa_float_round_mode_32 0
		.amdhsa_float_round_mode_16_64 0
		.amdhsa_float_denorm_mode_32 3
		.amdhsa_float_denorm_mode_16_64 3
		.amdhsa_dx10_clamp 1
		.amdhsa_ieee_mode 1
		.amdhsa_fp16_overflow 0
		.amdhsa_tg_split 0
		.amdhsa_exception_fp_ieee_invalid_op 0
		.amdhsa_exception_fp_denorm_src 0
		.amdhsa_exception_fp_ieee_div_zero 0
		.amdhsa_exception_fp_ieee_overflow 0
		.amdhsa_exception_fp_ieee_underflow 0
		.amdhsa_exception_fp_ieee_inexact 0
		.amdhsa_exception_int_div_zero 0
	.end_amdhsa_kernel
	.section	.text._ZN12_GLOBAL__N_127rocblas_gemm_batched_kernelIDF16_Li16ELi16ELi64ELi64ELi4ELi64ELi4ELi4ELi64ELc78ELc84EKDF16_S1_DF16_EEvlllT_PT11_llS4_llS2_PT12_llPT13_lli,"axG",@progbits,_ZN12_GLOBAL__N_127rocblas_gemm_batched_kernelIDF16_Li16ELi16ELi64ELi64ELi4ELi64ELi4ELi4ELi64ELc78ELc84EKDF16_S1_DF16_EEvlllT_PT11_llS4_llS2_PT12_llPT13_lli,comdat
.Lfunc_end4:
	.size	_ZN12_GLOBAL__N_127rocblas_gemm_batched_kernelIDF16_Li16ELi16ELi64ELi64ELi4ELi64ELi4ELi4ELi64ELc78ELc84EKDF16_S1_DF16_EEvlllT_PT11_llS4_llS2_PT12_llPT13_lli, .Lfunc_end4-_ZN12_GLOBAL__N_127rocblas_gemm_batched_kernelIDF16_Li16ELi16ELi64ELi64ELi4ELi64ELi4ELi4ELi64ELc78ELc84EKDF16_S1_DF16_EEvlllT_PT11_llS4_llS2_PT12_llPT13_lli
                                        ; -- End function
	.section	.AMDGPU.csdata,"",@progbits
; Kernel info:
; codeLenInByte = 2444
; NumSgprs: 28
; NumVgprs: 58
; NumAgprs: 0
; TotalNumVgprs: 58
; ScratchSize: 0
; MemoryBound: 0
; FloatMode: 240
; IeeeMode: 1
; LDSByteSize: 1024 bytes/workgroup (compile time only)
; SGPRBlocks: 3
; VGPRBlocks: 7
; NumSGPRsForWavesPerEU: 28
; NumVGPRsForWavesPerEU: 58
; AccumOffset: 60
; Occupancy: 8
; WaveLimiterHint : 0
; COMPUTE_PGM_RSRC2:SCRATCH_EN: 0
; COMPUTE_PGM_RSRC2:USER_SGPR: 6
; COMPUTE_PGM_RSRC2:TRAP_HANDLER: 0
; COMPUTE_PGM_RSRC2:TGID_X_EN: 1
; COMPUTE_PGM_RSRC2:TGID_Y_EN: 1
; COMPUTE_PGM_RSRC2:TGID_Z_EN: 1
; COMPUTE_PGM_RSRC2:TIDIG_COMP_CNT: 1
; COMPUTE_PGM_RSRC3_GFX90A:ACCUM_OFFSET: 14
; COMPUTE_PGM_RSRC3_GFX90A:TG_SPLIT: 0
	.section	.text._ZN12_GLOBAL__N_127rocblas_gemm_batched_kernelIDF16_Li16ELi16ELi64ELi64ELi4ELi64ELi4ELi4ELi64ELc84ELc84EKDF16_S1_DF16_EEvlllT_PT11_llS4_llS2_PT12_llPT13_lli,"axG",@progbits,_ZN12_GLOBAL__N_127rocblas_gemm_batched_kernelIDF16_Li16ELi16ELi64ELi64ELi4ELi64ELi4ELi4ELi64ELc84ELc84EKDF16_S1_DF16_EEvlllT_PT11_llS4_llS2_PT12_llPT13_lli,comdat
	.globl	_ZN12_GLOBAL__N_127rocblas_gemm_batched_kernelIDF16_Li16ELi16ELi64ELi64ELi4ELi64ELi4ELi4ELi64ELc84ELc84EKDF16_S1_DF16_EEvlllT_PT11_llS4_llS2_PT12_llPT13_lli ; -- Begin function _ZN12_GLOBAL__N_127rocblas_gemm_batched_kernelIDF16_Li16ELi16ELi64ELi64ELi4ELi64ELi4ELi4ELi64ELc84ELc84EKDF16_S1_DF16_EEvlllT_PT11_llS4_llS2_PT12_llPT13_lli
	.p2align	8
	.type	_ZN12_GLOBAL__N_127rocblas_gemm_batched_kernelIDF16_Li16ELi16ELi64ELi64ELi4ELi64ELi4ELi4ELi64ELc84ELc84EKDF16_S1_DF16_EEvlllT_PT11_llS4_llS2_PT12_llPT13_lli,@function
_ZN12_GLOBAL__N_127rocblas_gemm_batched_kernelIDF16_Li16ELi16ELi64ELi64ELi4ELi64ELi4ELi4ELi64ELc84ELc84EKDF16_S1_DF16_EEvlllT_PT11_llS4_llS2_PT12_llPT13_lli: ; @_ZN12_GLOBAL__N_127rocblas_gemm_batched_kernelIDF16_Li16ELi16ELi64ELi64ELi4ELi64ELi4ELi4ELi64ELc84ELc84EKDF16_S1_DF16_EEvlllT_PT11_llS4_llS2_PT12_llPT13_lli
; %bb.0:
	s_load_dwordx2 s[20:21], s[4:5], 0x10
	s_mov_b32 s0, s7
	s_ashr_i32 s1, s0, 31
	s_ashr_i32 s7, s6, 31
	s_lshl_b64 s[10:11], s[0:1], 6
	s_waitcnt lgkmcnt(0)
	v_cmp_lt_i64_e64 s[0:1], s[20:21], 1
	v_bfe_u32 v19, v0, 10, 10
	v_and_b32_e32 v17, 0x3ff, v0
	s_lshl_b64 s[6:7], s[6:7], 6
	s_and_b64 vcc, exec, s[0:1]
	s_cbranch_vccnz .LBB5_3
; %bb.1:
	v_lshl_add_u32 v2, v19, 4, v17
	s_load_dwordx8 s[12:19], s[4:5], 0x20
	s_load_dwordx4 s[0:3], s[4:5], 0x40
	v_and_b32_e32 v6, 63, v2
	v_lshrrev_b32_e32 v0, 2, v2
	v_and_b32_e32 v4, 3, v17
	v_lshrrev_b32_e32 v7, 6, v2
	v_lshlrev_b32_e32 v2, 1, v6
	v_lshl_or_b32 v24, v7, 7, v2
	v_lshlrev_b32_e32 v2, 1, v4
	v_lshl_or_b32 v2, v0, 3, v2
	v_mov_b32_e32 v1, 0
	v_add_u32_e32 v25, 0x200, v2
	v_mov_b32_e32 v2, 0x200
	v_lshl_add_u32 v27, v19, 3, v2
	s_waitcnt lgkmcnt(0)
	v_mad_u64_u32 v[2:3], s[22:23], v4, s0, v[0:1]
	s_mul_i32 s3, s3, s8
	s_mul_hi_u32 s9, s2, s8
	v_mov_b32_e32 v0, v3
	s_add_i32 s3, s9, s3
	s_mul_i32 s2, s2, s8
	v_mad_u64_u32 v[4:5], s[22:23], v4, s1, v[0:1]
	s_lshl_b64 s[2:3], s[2:3], 1
	v_mov_b32_e32 v3, v4
	v_mov_b32_e32 v0, s11
	v_add_co_u32_e32 v2, vcc, s10, v2
	v_addc_co_u32_e32 v3, vcc, v3, v0, vcc
	s_add_u32 s2, s18, s2
	v_lshlrev_b64 v[2:3], 1, v[2:3]
	s_addc_u32 s3, s19, s3
	v_mov_b32_e32 v0, s3
	v_add_co_u32_e32 v2, vcc, s2, v2
	v_addc_co_u32_e32 v3, vcc, v0, v3, vcc
	v_mov_b32_e32 v0, s7
	v_add_co_u32_e32 v4, vcc, s6, v6
	v_addc_co_u32_e32 v0, vcc, 0, v0, vcc
	v_mul_lo_u32 v6, s15, v4
	v_mad_u64_u32 v[4:5], s[2:3], s14, v4, 0
	v_mul_lo_u32 v0, s14, v0
	s_mul_i32 s2, s17, s8
	s_mul_hi_u32 s3, s16, s8
	v_add3_u32 v5, v5, v0, v6
	s_add_i32 s3, s3, s2
	s_mul_i32 s2, s16, s8
	v_lshlrev_b64 v[4:5], 1, v[4:5]
	s_lshl_b64 s[2:3], s[2:3], 1
	v_mov_b32_e32 v0, s3
	v_add_co_u32_e32 v4, vcc, s2, v4
	v_addc_co_u32_e32 v0, vcc, v5, v0, vcc
	v_lshlrev_b32_e32 v5, 1, v7
	v_add_co_u32_e32 v4, vcc, v4, v5
	v_addc_co_u32_e32 v0, vcc, 0, v0, vcc
	s_lshl_b64 s[0:1], s[0:1], 3
	v_mov_b32_e32 v5, s13
	v_add_co_u32_e32 v4, vcc, s12, v4
	v_lshlrev_b32_e32 v26, 1, v17
	v_addc_co_u32_e32 v5, vcc, v5, v0, vcc
	s_mov_b64 s[2:3], 0
	v_mov_b32_e32 v28, s1
	v_pk_mov_b32 v[6:7], s[20:21], s[20:21] op_sel:[0,1]
	v_mov_b32_e32 v0, v1
	v_mov_b32_e32 v8, v1
	;; [unrolled: 1-line block ×15, first 2 shown]
.LBB5_2:                                ; =>This Inner Loop Header: Depth=1
	global_load_ushort v29, v[4:5], off
	global_load_ushort v30, v[2:3], off
	v_add_co_u32_e32 v2, vcc, s0, v2
	v_addc_co_u32_e32 v3, vcc, v3, v28, vcc
	s_add_u32 s2, s2, 4
	v_add_co_u32_e32 v4, vcc, 8, v4
	v_addc_co_u32_e32 v5, vcc, 0, v5, vcc
	s_addc_u32 s3, s3, 0
	v_cmp_lt_i64_e32 vcc, s[2:3], v[6:7]
	s_and_b64 vcc, exec, vcc
	s_waitcnt vmcnt(1)
	ds_write_b16 v24, v29
	s_waitcnt vmcnt(0)
	ds_write_b16 v25, v30
	s_waitcnt lgkmcnt(0)
	s_barrier
	ds_read2_b64 v[30:33], v27 offset1:16
	ds_read2_b64 v[34:37], v27 offset0:32 offset1:48
	ds_read_u16 v29, v26
	ds_read_u16 v38, v26 offset:32
	ds_read_u16 v39, v26 offset:64
	;; [unrolled: 1-line block ×15, first 2 shown]
	s_waitcnt lgkmcnt(14)
	v_lshrrev_b32_e32 v53, 16, v30
	v_fma_f16 v23, v29, v30, v23
	v_fma_f16 v22, v38, v30, v22
	s_waitcnt lgkmcnt(13)
	v_fma_f16 v21, v39, v30, v21
	s_waitcnt lgkmcnt(12)
	v_fma_f16 v20, v40, v30, v20
	v_lshrrev_b32_e32 v30, 16, v32
	v_fma_f16 v18, v29, v32, v18
	v_fma_f16 v16, v38, v32, v16
	v_fma_f16 v15, v39, v32, v15
	v_fma_f16 v14, v40, v32, v14
	v_lshrrev_b32_e32 v32, 16, v34
	v_fma_f16 v13, v29, v34, v13
	v_fma_f16 v12, v38, v34, v12
	v_fma_f16 v11, v39, v34, v11
	;; [unrolled: 5-line block ×3, first 2 shown]
	v_fma_f16 v1, v40, v36, v1
	s_waitcnt lgkmcnt(11)
	v_fma_f16 v23, v41, v53, v23
	s_waitcnt lgkmcnt(10)
	;; [unrolled: 2-line block ×4, first 2 shown]
	v_fma_f16 v20, v44, v53, v20
	v_fma_f16 v18, v41, v30, v18
	;; [unrolled: 1-line block ×13, first 2 shown]
	v_lshrrev_b32_e32 v54, 16, v31
	v_lshrrev_b32_e32 v55, 16, v33
	;; [unrolled: 1-line block ×4, first 2 shown]
	s_waitcnt lgkmcnt(7)
	v_fma_f16 v23, v45, v31, v23
	s_waitcnt lgkmcnt(6)
	v_fma_f16 v22, v46, v31, v22
	;; [unrolled: 2-line block ×4, first 2 shown]
	v_fma_f16 v18, v45, v33, v18
	v_fma_f16 v16, v46, v33, v16
	;; [unrolled: 1-line block ×12, first 2 shown]
	s_waitcnt lgkmcnt(3)
	v_fma_f16 v23, v49, v54, v23
	s_waitcnt lgkmcnt(2)
	v_fma_f16 v22, v50, v54, v22
	;; [unrolled: 2-line block ×4, first 2 shown]
	v_fma_f16 v18, v49, v55, v18
	v_fma_f16 v16, v50, v55, v16
	;; [unrolled: 1-line block ×12, first 2 shown]
	s_barrier
	s_cbranch_vccnz .LBB5_2
	s_branch .LBB5_4
.LBB5_3:
	v_mov_b32_e32 v23, 0
	v_mov_b32_e32 v22, 0
	v_mov_b32_e32 v21, 0
	v_mov_b32_e32 v20, 0
	v_mov_b32_e32 v18, 0
	v_mov_b32_e32 v16, 0
	v_mov_b32_e32 v15, 0
	v_mov_b32_e32 v14, 0
	v_mov_b32_e32 v13, 0
	v_mov_b32_e32 v12, 0
	v_mov_b32_e32 v11, 0
	v_mov_b32_e32 v10, 0
	v_mov_b32_e32 v9, 0
	v_mov_b32_e32 v8, 0
	v_mov_b32_e32 v0, 0
	v_mov_b32_e32 v1, 0
.LBB5_4:
	s_load_dwordx4 s[0:3], s[4:5], 0x78
	s_load_dword s9, s[4:5], 0x18
	s_load_dword s20, s[4:5], 0x50
	s_load_dwordx8 s[12:19], s[4:5], 0x58
	v_mov_b32_e32 v2, s11
	s_waitcnt lgkmcnt(0)
	s_mul_i32 s3, s8, s3
	s_mul_hi_u32 s4, s8, s2
	s_add_i32 s3, s4, s3
	s_mul_i32 s2, s8, s2
	v_add_co_u32_e32 v4, vcc, s10, v19
	s_lshl_b64 s[2:3], s[2:3], 1
	v_addc_co_u32_e32 v7, vcc, 0, v2, vcc
	s_add_u32 s4, s18, s2
	v_mov_b32_e32 v3, s7
	v_add_co_u32_e32 v2, vcc, s6, v17
	s_addc_u32 s5, s19, s3
	v_cmp_neq_f16_e64 s[2:3], s20, 0
	v_addc_co_u32_e32 v3, vcc, 0, v3, vcc
	s_and_b64 vcc, exec, s[2:3]
	v_mul_lo_u32 v5, v7, s0
	v_mul_lo_u32 v6, v4, s1
	v_lshlrev_b64 v[2:3], 1, v[2:3]
	s_cbranch_vccnz .LBB5_8
; %bb.5:
	v_mad_u64_u32 v[24:25], s[2:3], v4, s0, 0
	v_add3_u32 v25, v25, v6, v5
	v_lshlrev_b64 v[24:25], 1, v[24:25]
	v_mov_b32_e32 v17, s5
	v_add_co_u32_e32 v19, vcc, s4, v24
	v_addc_co_u32_e32 v17, vcc, v17, v25, vcc
	v_add_co_u32_e32 v24, vcc, v19, v2
	v_addc_co_u32_e32 v25, vcc, v17, v3, vcc
	v_mul_f16_e32 v17, s9, v22
	global_store_short v[24:25], v17, off offset:32
	v_mul_f16_e32 v17, s9, v21
	v_mul_f16_e32 v26, s9, v23
	global_store_short v[24:25], v17, off offset:64
	v_mul_f16_e32 v17, s9, v20
	s_lshl_b64 s[2:3], s[0:1], 5
	global_store_short v[24:25], v26, off
	global_store_short v[24:25], v17, off offset:96
	v_mov_b32_e32 v19, s3
	v_add_co_u32_e32 v24, vcc, s2, v24
	v_mul_f16_e32 v17, s9, v18
	v_addc_co_u32_e32 v25, vcc, v25, v19, vcc
	global_store_short v[24:25], v17, off
	v_mul_f16_e32 v17, s9, v16
	global_store_short v[24:25], v17, off offset:32
	v_mul_f16_e32 v17, s9, v15
	global_store_short v[24:25], v17, off offset:64
	v_mul_f16_e32 v17, s9, v14
	global_store_short v[24:25], v17, off offset:96
	v_add_co_u32_e32 v24, vcc, s2, v24
	v_mul_f16_e32 v17, s9, v13
	v_addc_co_u32_e32 v25, vcc, v25, v19, vcc
	global_store_short v[24:25], v17, off
	v_mul_f16_e32 v17, s9, v12
	global_store_short v[24:25], v17, off offset:32
	v_mul_f16_e32 v17, s9, v11
	global_store_short v[24:25], v17, off offset:64
	v_mul_f16_e32 v17, s9, v10
	global_store_short v[24:25], v17, off offset:96
	;; [unrolled: 10-line block ×3, first 2 shown]
	s_cbranch_execnz .LBB5_7
.LBB5_6:
	s_mul_i32 s2, s8, s17
	s_mul_hi_u32 s3, s8, s16
	s_add_i32 s3, s3, s2
	s_mul_i32 s2, s8, s16
	s_lshl_b64 s[2:3], s[2:3], 1
	s_add_u32 s6, s12, s2
	s_addc_u32 s7, s13, s3
	v_mul_lo_u32 v7, v7, s14
	v_mul_lo_u32 v17, v4, s15
	v_mad_u64_u32 v[24:25], s[2:3], v4, s14, 0
	v_add3_u32 v25, v25, v17, v7
	v_lshlrev_b64 v[24:25], 1, v[24:25]
	v_mov_b32_e32 v7, s7
	v_add_co_u32_e32 v17, vcc, s6, v24
	v_addc_co_u32_e32 v7, vcc, v7, v25, vcc
	v_add_co_u32_e32 v24, vcc, v17, v2
	v_addc_co_u32_e32 v25, vcc, v7, v3, vcc
	global_load_ushort v7, v[24:25], off
	v_mad_u64_u32 v[26:27], s[2:3], v4, s0, 0
	v_add3_u32 v27, v27, v6, v5
	v_lshlrev_b64 v[4:5], 1, v[26:27]
	v_mov_b32_e32 v17, s5
	v_add_co_u32_e32 v4, vcc, s4, v4
	v_addc_co_u32_e32 v5, vcc, v17, v5, vcc
	v_add_co_u32_e32 v2, vcc, v4, v2
	v_addc_co_u32_e32 v3, vcc, v5, v3, vcc
	s_lshl_b64 s[2:3], s[14:15], 5
	s_lshl_b64 s[0:1], s[0:1], 5
	v_mov_b32_e32 v17, s1
	s_waitcnt vmcnt(0)
	v_mul_f16_e32 v4, s20, v7
	v_fma_f16 v4, v23, s9, v4
	global_store_short v[2:3], v4, off
	global_load_ushort v4, v[24:25], off offset:32
	v_mov_b32_e32 v7, s3
	s_waitcnt vmcnt(0)
	v_mul_f16_e32 v4, s20, v4
	v_fma_f16 v4, v22, s9, v4
	global_store_short v[2:3], v4, off offset:32
	global_load_ushort v4, v[24:25], off offset:64
	s_waitcnt vmcnt(0)
	v_mul_f16_e32 v4, s20, v4
	v_fma_f16 v4, v21, s9, v4
	global_store_short v[2:3], v4, off offset:64
	global_load_ushort v6, v[24:25], off offset:96
	v_add_co_u32_e32 v4, vcc, s2, v24
	v_addc_co_u32_e32 v5, vcc, v25, v7, vcc
	s_waitcnt vmcnt(0)
	v_mul_f16_e32 v6, s20, v6
	v_fma_f16 v6, v20, s9, v6
	global_store_short v[2:3], v6, off offset:96
	global_load_ushort v6, v[4:5], off
	v_add_co_u32_e32 v2, vcc, s0, v2
	v_addc_co_u32_e32 v3, vcc, v3, v17, vcc
	s_waitcnt vmcnt(0)
	v_mul_f16_e32 v6, s20, v6
	v_fma_f16 v6, v18, s9, v6
	global_store_short v[2:3], v6, off
	global_load_ushort v6, v[4:5], off offset:32
	s_waitcnt vmcnt(0)
	v_mul_f16_e32 v6, s20, v6
	v_fma_f16 v6, v16, s9, v6
	global_store_short v[2:3], v6, off offset:32
	global_load_ushort v6, v[4:5], off offset:64
	s_waitcnt vmcnt(0)
	v_mul_f16_e32 v6, s20, v6
	v_fma_f16 v6, v15, s9, v6
	global_store_short v[2:3], v6, off offset:64
	global_load_ushort v6, v[4:5], off offset:96
	v_add_co_u32_e32 v4, vcc, s2, v4
	v_addc_co_u32_e32 v5, vcc, v5, v7, vcc
	s_waitcnt vmcnt(0)
	v_mul_f16_e32 v6, s20, v6
	v_fma_f16 v6, v14, s9, v6
	global_store_short v[2:3], v6, off offset:96
	global_load_ushort v6, v[4:5], off
	v_add_co_u32_e32 v2, vcc, s0, v2
	v_addc_co_u32_e32 v3, vcc, v3, v17, vcc
	s_waitcnt vmcnt(0)
	v_mul_f16_e32 v6, s20, v6
	v_fma_f16 v6, v13, s9, v6
	global_store_short v[2:3], v6, off
	global_load_ushort v6, v[4:5], off offset:32
	;; [unrolled: 24-line block ×3, first 2 shown]
	s_waitcnt vmcnt(0)
	v_mul_f16_e32 v6, s20, v6
	v_fma_f16 v6, v8, s9, v6
	global_store_short v[2:3], v6, off offset:32
	global_load_ushort v6, v[4:5], off offset:64
	s_waitcnt vmcnt(0)
	v_mul_f16_e32 v6, s20, v6
	v_fma_f16 v0, v0, s9, v6
	global_store_short v[2:3], v0, off offset:64
	global_load_ushort v0, v[4:5], off offset:96
	s_waitcnt vmcnt(0)
	v_mul_f16_e32 v0, s20, v0
	v_fma_f16 v0, v1, s9, v0
	global_store_short v[2:3], v0, off offset:96
.LBB5_7:
	s_endpgm
.LBB5_8:
	s_branch .LBB5_6
	.section	.rodata,"a",@progbits
	.p2align	6, 0x0
	.amdhsa_kernel _ZN12_GLOBAL__N_127rocblas_gemm_batched_kernelIDF16_Li16ELi16ELi64ELi64ELi4ELi64ELi4ELi4ELi64ELc84ELc84EKDF16_S1_DF16_EEvlllT_PT11_llS4_llS2_PT12_llPT13_lli
		.amdhsa_group_segment_fixed_size 1024
		.amdhsa_private_segment_fixed_size 0
		.amdhsa_kernarg_size 140
		.amdhsa_user_sgpr_count 6
		.amdhsa_user_sgpr_private_segment_buffer 1
		.amdhsa_user_sgpr_dispatch_ptr 0
		.amdhsa_user_sgpr_queue_ptr 0
		.amdhsa_user_sgpr_kernarg_segment_ptr 1
		.amdhsa_user_sgpr_dispatch_id 0
		.amdhsa_user_sgpr_flat_scratch_init 0
		.amdhsa_user_sgpr_kernarg_preload_length 0
		.amdhsa_user_sgpr_kernarg_preload_offset 0
		.amdhsa_user_sgpr_private_segment_size 0
		.amdhsa_uses_dynamic_stack 0
		.amdhsa_system_sgpr_private_segment_wavefront_offset 0
		.amdhsa_system_sgpr_workgroup_id_x 1
		.amdhsa_system_sgpr_workgroup_id_y 1
		.amdhsa_system_sgpr_workgroup_id_z 1
		.amdhsa_system_sgpr_workgroup_info 0
		.amdhsa_system_vgpr_workitem_id 1
		.amdhsa_next_free_vgpr 58
		.amdhsa_next_free_sgpr 24
		.amdhsa_accum_offset 60
		.amdhsa_reserve_vcc 1
		.amdhsa_reserve_flat_scratch 0
		.amdhsa_float_round_mode_32 0
		.amdhsa_float_round_mode_16_64 0
		.amdhsa_float_denorm_mode_32 3
		.amdhsa_float_denorm_mode_16_64 3
		.amdhsa_dx10_clamp 1
		.amdhsa_ieee_mode 1
		.amdhsa_fp16_overflow 0
		.amdhsa_tg_split 0
		.amdhsa_exception_fp_ieee_invalid_op 0
		.amdhsa_exception_fp_denorm_src 0
		.amdhsa_exception_fp_ieee_div_zero 0
		.amdhsa_exception_fp_ieee_overflow 0
		.amdhsa_exception_fp_ieee_underflow 0
		.amdhsa_exception_fp_ieee_inexact 0
		.amdhsa_exception_int_div_zero 0
	.end_amdhsa_kernel
	.section	.text._ZN12_GLOBAL__N_127rocblas_gemm_batched_kernelIDF16_Li16ELi16ELi64ELi64ELi4ELi64ELi4ELi4ELi64ELc84ELc84EKDF16_S1_DF16_EEvlllT_PT11_llS4_llS2_PT12_llPT13_lli,"axG",@progbits,_ZN12_GLOBAL__N_127rocblas_gemm_batched_kernelIDF16_Li16ELi16ELi64ELi64ELi4ELi64ELi4ELi4ELi64ELc84ELc84EKDF16_S1_DF16_EEvlllT_PT11_llS4_llS2_PT12_llPT13_lli,comdat
.Lfunc_end5:
	.size	_ZN12_GLOBAL__N_127rocblas_gemm_batched_kernelIDF16_Li16ELi16ELi64ELi64ELi4ELi64ELi4ELi4ELi64ELc84ELc84EKDF16_S1_DF16_EEvlllT_PT11_llS4_llS2_PT12_llPT13_lli, .Lfunc_end5-_ZN12_GLOBAL__N_127rocblas_gemm_batched_kernelIDF16_Li16ELi16ELi64ELi64ELi4ELi64ELi4ELi4ELi64ELc84ELc84EKDF16_S1_DF16_EEvlllT_PT11_llS4_llS2_PT12_llPT13_lli
                                        ; -- End function
	.section	.AMDGPU.csdata,"",@progbits
; Kernel info:
; codeLenInByte = 2456
; NumSgprs: 28
; NumVgprs: 58
; NumAgprs: 0
; TotalNumVgprs: 58
; ScratchSize: 0
; MemoryBound: 0
; FloatMode: 240
; IeeeMode: 1
; LDSByteSize: 1024 bytes/workgroup (compile time only)
; SGPRBlocks: 3
; VGPRBlocks: 7
; NumSGPRsForWavesPerEU: 28
; NumVGPRsForWavesPerEU: 58
; AccumOffset: 60
; Occupancy: 8
; WaveLimiterHint : 0
; COMPUTE_PGM_RSRC2:SCRATCH_EN: 0
; COMPUTE_PGM_RSRC2:USER_SGPR: 6
; COMPUTE_PGM_RSRC2:TRAP_HANDLER: 0
; COMPUTE_PGM_RSRC2:TGID_X_EN: 1
; COMPUTE_PGM_RSRC2:TGID_Y_EN: 1
; COMPUTE_PGM_RSRC2:TGID_Z_EN: 1
; COMPUTE_PGM_RSRC2:TIDIG_COMP_CNT: 1
; COMPUTE_PGM_RSRC3_GFX90A:ACCUM_OFFSET: 14
; COMPUTE_PGM_RSRC3_GFX90A:TG_SPLIT: 0
	.section	.text._ZN12_GLOBAL__N_127rocblas_gemm_batched_kernelIDF16_Li16ELi16ELi64ELi64ELi4ELi64ELi4ELi4ELi64ELc67ELc67EKDF16_S1_DF16_EEvlllT_PT11_llS4_llS2_PT12_llPT13_lli,"axG",@progbits,_ZN12_GLOBAL__N_127rocblas_gemm_batched_kernelIDF16_Li16ELi16ELi64ELi64ELi4ELi64ELi4ELi4ELi64ELc67ELc67EKDF16_S1_DF16_EEvlllT_PT11_llS4_llS2_PT12_llPT13_lli,comdat
	.globl	_ZN12_GLOBAL__N_127rocblas_gemm_batched_kernelIDF16_Li16ELi16ELi64ELi64ELi4ELi64ELi4ELi4ELi64ELc67ELc67EKDF16_S1_DF16_EEvlllT_PT11_llS4_llS2_PT12_llPT13_lli ; -- Begin function _ZN12_GLOBAL__N_127rocblas_gemm_batched_kernelIDF16_Li16ELi16ELi64ELi64ELi4ELi64ELi4ELi4ELi64ELc67ELc67EKDF16_S1_DF16_EEvlllT_PT11_llS4_llS2_PT12_llPT13_lli
	.p2align	8
	.type	_ZN12_GLOBAL__N_127rocblas_gemm_batched_kernelIDF16_Li16ELi16ELi64ELi64ELi4ELi64ELi4ELi4ELi64ELc67ELc67EKDF16_S1_DF16_EEvlllT_PT11_llS4_llS2_PT12_llPT13_lli,@function
_ZN12_GLOBAL__N_127rocblas_gemm_batched_kernelIDF16_Li16ELi16ELi64ELi64ELi4ELi64ELi4ELi4ELi64ELc67ELc67EKDF16_S1_DF16_EEvlllT_PT11_llS4_llS2_PT12_llPT13_lli: ; @_ZN12_GLOBAL__N_127rocblas_gemm_batched_kernelIDF16_Li16ELi16ELi64ELi64ELi4ELi64ELi4ELi4ELi64ELc67ELc67EKDF16_S1_DF16_EEvlllT_PT11_llS4_llS2_PT12_llPT13_lli
; %bb.0:
	s_load_dwordx2 s[20:21], s[4:5], 0x10
	s_mov_b32 s0, s7
	s_ashr_i32 s1, s0, 31
	s_ashr_i32 s7, s6, 31
	s_lshl_b64 s[10:11], s[0:1], 6
	s_waitcnt lgkmcnt(0)
	v_cmp_lt_i64_e64 s[0:1], s[20:21], 1
	v_bfe_u32 v19, v0, 10, 10
	v_and_b32_e32 v17, 0x3ff, v0
	s_lshl_b64 s[6:7], s[6:7], 6
	s_and_b64 vcc, exec, s[0:1]
	s_cbranch_vccnz .LBB6_3
; %bb.1:
	v_lshl_add_u32 v2, v19, 4, v17
	s_load_dwordx8 s[12:19], s[4:5], 0x20
	s_load_dwordx4 s[0:3], s[4:5], 0x40
	v_and_b32_e32 v6, 63, v2
	v_lshrrev_b32_e32 v0, 2, v2
	v_and_b32_e32 v4, 3, v17
	v_lshrrev_b32_e32 v7, 6, v2
	v_lshlrev_b32_e32 v2, 1, v6
	v_lshl_or_b32 v24, v7, 7, v2
	v_lshlrev_b32_e32 v2, 1, v4
	v_lshl_or_b32 v2, v0, 3, v2
	v_mov_b32_e32 v1, 0
	v_add_u32_e32 v25, 0x200, v2
	v_mov_b32_e32 v2, 0x200
	v_lshl_add_u32 v27, v19, 3, v2
	s_waitcnt lgkmcnt(0)
	v_mad_u64_u32 v[2:3], s[22:23], v4, s0, v[0:1]
	s_mul_i32 s3, s3, s8
	s_mul_hi_u32 s9, s2, s8
	v_mov_b32_e32 v0, v3
	s_add_i32 s3, s9, s3
	s_mul_i32 s2, s2, s8
	v_mad_u64_u32 v[4:5], s[22:23], v4, s1, v[0:1]
	s_lshl_b64 s[2:3], s[2:3], 1
	v_mov_b32_e32 v3, v4
	v_mov_b32_e32 v0, s11
	v_add_co_u32_e32 v2, vcc, s10, v2
	v_addc_co_u32_e32 v3, vcc, v3, v0, vcc
	s_add_u32 s2, s18, s2
	v_lshlrev_b64 v[2:3], 1, v[2:3]
	s_addc_u32 s3, s19, s3
	v_mov_b32_e32 v0, s3
	v_add_co_u32_e32 v2, vcc, s2, v2
	v_addc_co_u32_e32 v3, vcc, v0, v3, vcc
	v_mov_b32_e32 v0, s7
	v_add_co_u32_e32 v4, vcc, s6, v6
	v_addc_co_u32_e32 v0, vcc, 0, v0, vcc
	v_mul_lo_u32 v6, s15, v4
	v_mad_u64_u32 v[4:5], s[2:3], s14, v4, 0
	v_mul_lo_u32 v0, s14, v0
	s_mul_i32 s2, s17, s8
	s_mul_hi_u32 s3, s16, s8
	v_add3_u32 v5, v5, v0, v6
	s_add_i32 s3, s3, s2
	s_mul_i32 s2, s16, s8
	v_lshlrev_b64 v[4:5], 1, v[4:5]
	s_lshl_b64 s[2:3], s[2:3], 1
	v_mov_b32_e32 v0, s3
	v_add_co_u32_e32 v4, vcc, s2, v4
	v_addc_co_u32_e32 v0, vcc, v5, v0, vcc
	v_lshlrev_b32_e32 v5, 1, v7
	v_add_co_u32_e32 v4, vcc, v4, v5
	v_addc_co_u32_e32 v0, vcc, 0, v0, vcc
	s_lshl_b64 s[0:1], s[0:1], 3
	v_mov_b32_e32 v5, s13
	v_add_co_u32_e32 v4, vcc, s12, v4
	v_lshlrev_b32_e32 v26, 1, v17
	v_addc_co_u32_e32 v5, vcc, v5, v0, vcc
	s_mov_b64 s[2:3], 0
	v_mov_b32_e32 v28, s1
	v_pk_mov_b32 v[6:7], s[20:21], s[20:21] op_sel:[0,1]
	v_mov_b32_e32 v0, v1
	v_mov_b32_e32 v8, v1
	;; [unrolled: 1-line block ×15, first 2 shown]
.LBB6_2:                                ; =>This Inner Loop Header: Depth=1
	global_load_ushort v29, v[4:5], off
	global_load_ushort v30, v[2:3], off
	v_add_co_u32_e32 v2, vcc, s0, v2
	v_addc_co_u32_e32 v3, vcc, v3, v28, vcc
	s_add_u32 s2, s2, 4
	v_add_co_u32_e32 v4, vcc, 8, v4
	v_addc_co_u32_e32 v5, vcc, 0, v5, vcc
	s_addc_u32 s3, s3, 0
	v_cmp_lt_i64_e32 vcc, s[2:3], v[6:7]
	s_and_b64 vcc, exec, vcc
	s_waitcnt vmcnt(1)
	ds_write_b16 v24, v29
	s_waitcnt vmcnt(0)
	ds_write_b16 v25, v30
	s_waitcnt lgkmcnt(0)
	s_barrier
	ds_read2_b64 v[30:33], v27 offset1:16
	ds_read2_b64 v[34:37], v27 offset0:32 offset1:48
	ds_read_u16 v29, v26
	ds_read_u16 v38, v26 offset:32
	ds_read_u16 v39, v26 offset:64
	;; [unrolled: 1-line block ×15, first 2 shown]
	s_waitcnt lgkmcnt(14)
	v_lshrrev_b32_e32 v53, 16, v30
	v_fma_f16 v23, v29, v30, v23
	v_fma_f16 v22, v38, v30, v22
	s_waitcnt lgkmcnt(13)
	v_fma_f16 v21, v39, v30, v21
	s_waitcnt lgkmcnt(12)
	v_fma_f16 v20, v40, v30, v20
	v_lshrrev_b32_e32 v30, 16, v32
	v_fma_f16 v18, v29, v32, v18
	v_fma_f16 v16, v38, v32, v16
	v_fma_f16 v15, v39, v32, v15
	v_fma_f16 v14, v40, v32, v14
	v_lshrrev_b32_e32 v32, 16, v34
	v_fma_f16 v13, v29, v34, v13
	v_fma_f16 v12, v38, v34, v12
	v_fma_f16 v11, v39, v34, v11
	;; [unrolled: 5-line block ×3, first 2 shown]
	v_fma_f16 v1, v40, v36, v1
	s_waitcnt lgkmcnt(11)
	v_fma_f16 v23, v41, v53, v23
	s_waitcnt lgkmcnt(10)
	;; [unrolled: 2-line block ×4, first 2 shown]
	v_fma_f16 v20, v44, v53, v20
	v_fma_f16 v18, v41, v30, v18
	v_fma_f16 v16, v42, v30, v16
	v_fma_f16 v15, v43, v30, v15
	v_fma_f16 v14, v44, v30, v14
	v_fma_f16 v13, v41, v32, v13
	v_fma_f16 v12, v42, v32, v12
	v_fma_f16 v11, v43, v32, v11
	v_fma_f16 v10, v44, v32, v10
	v_fma_f16 v9, v41, v34, v9
	v_fma_f16 v8, v42, v34, v8
	v_fma_f16 v0, v43, v34, v0
	v_fma_f16 v1, v44, v34, v1
	v_lshrrev_b32_e32 v54, 16, v31
	v_lshrrev_b32_e32 v55, 16, v33
	;; [unrolled: 1-line block ×4, first 2 shown]
	s_waitcnt lgkmcnt(7)
	v_fma_f16 v23, v45, v31, v23
	s_waitcnt lgkmcnt(6)
	v_fma_f16 v22, v46, v31, v22
	;; [unrolled: 2-line block ×4, first 2 shown]
	v_fma_f16 v18, v45, v33, v18
	v_fma_f16 v16, v46, v33, v16
	;; [unrolled: 1-line block ×12, first 2 shown]
	s_waitcnt lgkmcnt(3)
	v_fma_f16 v23, v49, v54, v23
	s_waitcnt lgkmcnt(2)
	v_fma_f16 v22, v50, v54, v22
	;; [unrolled: 2-line block ×4, first 2 shown]
	v_fma_f16 v18, v49, v55, v18
	v_fma_f16 v16, v50, v55, v16
	;; [unrolled: 1-line block ×12, first 2 shown]
	s_barrier
	s_cbranch_vccnz .LBB6_2
	s_branch .LBB6_4
.LBB6_3:
	v_mov_b32_e32 v23, 0
	v_mov_b32_e32 v22, 0
	;; [unrolled: 1-line block ×16, first 2 shown]
.LBB6_4:
	s_load_dwordx4 s[0:3], s[4:5], 0x78
	s_load_dword s9, s[4:5], 0x18
	s_load_dword s20, s[4:5], 0x50
	s_load_dwordx8 s[12:19], s[4:5], 0x58
	v_mov_b32_e32 v2, s11
	s_waitcnt lgkmcnt(0)
	s_mul_i32 s3, s8, s3
	s_mul_hi_u32 s4, s8, s2
	s_add_i32 s3, s4, s3
	s_mul_i32 s2, s8, s2
	v_add_co_u32_e32 v4, vcc, s10, v19
	s_lshl_b64 s[2:3], s[2:3], 1
	v_addc_co_u32_e32 v7, vcc, 0, v2, vcc
	s_add_u32 s4, s18, s2
	v_mov_b32_e32 v3, s7
	v_add_co_u32_e32 v2, vcc, s6, v17
	s_addc_u32 s5, s19, s3
	v_cmp_neq_f16_e64 s[2:3], s20, 0
	v_addc_co_u32_e32 v3, vcc, 0, v3, vcc
	s_and_b64 vcc, exec, s[2:3]
	v_mul_lo_u32 v5, v7, s0
	v_mul_lo_u32 v6, v4, s1
	v_lshlrev_b64 v[2:3], 1, v[2:3]
	s_cbranch_vccnz .LBB6_8
; %bb.5:
	v_mad_u64_u32 v[24:25], s[2:3], v4, s0, 0
	v_add3_u32 v25, v25, v6, v5
	v_lshlrev_b64 v[24:25], 1, v[24:25]
	v_mov_b32_e32 v17, s5
	v_add_co_u32_e32 v19, vcc, s4, v24
	v_addc_co_u32_e32 v17, vcc, v17, v25, vcc
	v_add_co_u32_e32 v24, vcc, v19, v2
	v_addc_co_u32_e32 v25, vcc, v17, v3, vcc
	v_mul_f16_e32 v17, s9, v22
	global_store_short v[24:25], v17, off offset:32
	v_mul_f16_e32 v17, s9, v21
	v_mul_f16_e32 v26, s9, v23
	global_store_short v[24:25], v17, off offset:64
	v_mul_f16_e32 v17, s9, v20
	s_lshl_b64 s[2:3], s[0:1], 5
	global_store_short v[24:25], v26, off
	global_store_short v[24:25], v17, off offset:96
	v_mov_b32_e32 v19, s3
	v_add_co_u32_e32 v24, vcc, s2, v24
	v_mul_f16_e32 v17, s9, v18
	v_addc_co_u32_e32 v25, vcc, v25, v19, vcc
	global_store_short v[24:25], v17, off
	v_mul_f16_e32 v17, s9, v16
	global_store_short v[24:25], v17, off offset:32
	v_mul_f16_e32 v17, s9, v15
	global_store_short v[24:25], v17, off offset:64
	v_mul_f16_e32 v17, s9, v14
	global_store_short v[24:25], v17, off offset:96
	v_add_co_u32_e32 v24, vcc, s2, v24
	v_mul_f16_e32 v17, s9, v13
	v_addc_co_u32_e32 v25, vcc, v25, v19, vcc
	global_store_short v[24:25], v17, off
	v_mul_f16_e32 v17, s9, v12
	global_store_short v[24:25], v17, off offset:32
	v_mul_f16_e32 v17, s9, v11
	global_store_short v[24:25], v17, off offset:64
	v_mul_f16_e32 v17, s9, v10
	global_store_short v[24:25], v17, off offset:96
	;; [unrolled: 10-line block ×3, first 2 shown]
	s_cbranch_execnz .LBB6_7
.LBB6_6:
	s_mul_i32 s2, s8, s17
	s_mul_hi_u32 s3, s8, s16
	s_add_i32 s3, s3, s2
	s_mul_i32 s2, s8, s16
	s_lshl_b64 s[2:3], s[2:3], 1
	s_add_u32 s6, s12, s2
	s_addc_u32 s7, s13, s3
	v_mul_lo_u32 v7, v7, s14
	v_mul_lo_u32 v17, v4, s15
	v_mad_u64_u32 v[24:25], s[2:3], v4, s14, 0
	v_add3_u32 v25, v25, v17, v7
	v_lshlrev_b64 v[24:25], 1, v[24:25]
	v_mov_b32_e32 v7, s7
	v_add_co_u32_e32 v17, vcc, s6, v24
	v_addc_co_u32_e32 v7, vcc, v7, v25, vcc
	v_add_co_u32_e32 v24, vcc, v17, v2
	v_addc_co_u32_e32 v25, vcc, v7, v3, vcc
	global_load_ushort v7, v[24:25], off
	v_mad_u64_u32 v[26:27], s[2:3], v4, s0, 0
	v_add3_u32 v27, v27, v6, v5
	v_lshlrev_b64 v[4:5], 1, v[26:27]
	v_mov_b32_e32 v17, s5
	v_add_co_u32_e32 v4, vcc, s4, v4
	v_addc_co_u32_e32 v5, vcc, v17, v5, vcc
	v_add_co_u32_e32 v2, vcc, v4, v2
	v_addc_co_u32_e32 v3, vcc, v5, v3, vcc
	s_lshl_b64 s[2:3], s[14:15], 5
	s_lshl_b64 s[0:1], s[0:1], 5
	v_mov_b32_e32 v17, s1
	s_waitcnt vmcnt(0)
	v_mul_f16_e32 v4, s20, v7
	v_fma_f16 v4, v23, s9, v4
	global_store_short v[2:3], v4, off
	global_load_ushort v4, v[24:25], off offset:32
	v_mov_b32_e32 v7, s3
	s_waitcnt vmcnt(0)
	v_mul_f16_e32 v4, s20, v4
	v_fma_f16 v4, v22, s9, v4
	global_store_short v[2:3], v4, off offset:32
	global_load_ushort v4, v[24:25], off offset:64
	s_waitcnt vmcnt(0)
	v_mul_f16_e32 v4, s20, v4
	v_fma_f16 v4, v21, s9, v4
	global_store_short v[2:3], v4, off offset:64
	global_load_ushort v6, v[24:25], off offset:96
	v_add_co_u32_e32 v4, vcc, s2, v24
	v_addc_co_u32_e32 v5, vcc, v25, v7, vcc
	s_waitcnt vmcnt(0)
	v_mul_f16_e32 v6, s20, v6
	v_fma_f16 v6, v20, s9, v6
	global_store_short v[2:3], v6, off offset:96
	global_load_ushort v6, v[4:5], off
	v_add_co_u32_e32 v2, vcc, s0, v2
	v_addc_co_u32_e32 v3, vcc, v3, v17, vcc
	s_waitcnt vmcnt(0)
	v_mul_f16_e32 v6, s20, v6
	v_fma_f16 v6, v18, s9, v6
	global_store_short v[2:3], v6, off
	global_load_ushort v6, v[4:5], off offset:32
	s_waitcnt vmcnt(0)
	v_mul_f16_e32 v6, s20, v6
	v_fma_f16 v6, v16, s9, v6
	global_store_short v[2:3], v6, off offset:32
	global_load_ushort v6, v[4:5], off offset:64
	s_waitcnt vmcnt(0)
	v_mul_f16_e32 v6, s20, v6
	v_fma_f16 v6, v15, s9, v6
	global_store_short v[2:3], v6, off offset:64
	global_load_ushort v6, v[4:5], off offset:96
	v_add_co_u32_e32 v4, vcc, s2, v4
	v_addc_co_u32_e32 v5, vcc, v5, v7, vcc
	s_waitcnt vmcnt(0)
	v_mul_f16_e32 v6, s20, v6
	v_fma_f16 v6, v14, s9, v6
	global_store_short v[2:3], v6, off offset:96
	global_load_ushort v6, v[4:5], off
	v_add_co_u32_e32 v2, vcc, s0, v2
	v_addc_co_u32_e32 v3, vcc, v3, v17, vcc
	s_waitcnt vmcnt(0)
	v_mul_f16_e32 v6, s20, v6
	v_fma_f16 v6, v13, s9, v6
	global_store_short v[2:3], v6, off
	global_load_ushort v6, v[4:5], off offset:32
	;; [unrolled: 24-line block ×3, first 2 shown]
	s_waitcnt vmcnt(0)
	v_mul_f16_e32 v6, s20, v6
	v_fma_f16 v6, v8, s9, v6
	global_store_short v[2:3], v6, off offset:32
	global_load_ushort v6, v[4:5], off offset:64
	s_waitcnt vmcnt(0)
	v_mul_f16_e32 v6, s20, v6
	v_fma_f16 v0, v0, s9, v6
	global_store_short v[2:3], v0, off offset:64
	global_load_ushort v0, v[4:5], off offset:96
	s_waitcnt vmcnt(0)
	v_mul_f16_e32 v0, s20, v0
	v_fma_f16 v0, v1, s9, v0
	global_store_short v[2:3], v0, off offset:96
.LBB6_7:
	s_endpgm
.LBB6_8:
	s_branch .LBB6_6
	.section	.rodata,"a",@progbits
	.p2align	6, 0x0
	.amdhsa_kernel _ZN12_GLOBAL__N_127rocblas_gemm_batched_kernelIDF16_Li16ELi16ELi64ELi64ELi4ELi64ELi4ELi4ELi64ELc67ELc67EKDF16_S1_DF16_EEvlllT_PT11_llS4_llS2_PT12_llPT13_lli
		.amdhsa_group_segment_fixed_size 1024
		.amdhsa_private_segment_fixed_size 0
		.amdhsa_kernarg_size 140
		.amdhsa_user_sgpr_count 6
		.amdhsa_user_sgpr_private_segment_buffer 1
		.amdhsa_user_sgpr_dispatch_ptr 0
		.amdhsa_user_sgpr_queue_ptr 0
		.amdhsa_user_sgpr_kernarg_segment_ptr 1
		.amdhsa_user_sgpr_dispatch_id 0
		.amdhsa_user_sgpr_flat_scratch_init 0
		.amdhsa_user_sgpr_kernarg_preload_length 0
		.amdhsa_user_sgpr_kernarg_preload_offset 0
		.amdhsa_user_sgpr_private_segment_size 0
		.amdhsa_uses_dynamic_stack 0
		.amdhsa_system_sgpr_private_segment_wavefront_offset 0
		.amdhsa_system_sgpr_workgroup_id_x 1
		.amdhsa_system_sgpr_workgroup_id_y 1
		.amdhsa_system_sgpr_workgroup_id_z 1
		.amdhsa_system_sgpr_workgroup_info 0
		.amdhsa_system_vgpr_workitem_id 1
		.amdhsa_next_free_vgpr 58
		.amdhsa_next_free_sgpr 24
		.amdhsa_accum_offset 60
		.amdhsa_reserve_vcc 1
		.amdhsa_reserve_flat_scratch 0
		.amdhsa_float_round_mode_32 0
		.amdhsa_float_round_mode_16_64 0
		.amdhsa_float_denorm_mode_32 3
		.amdhsa_float_denorm_mode_16_64 3
		.amdhsa_dx10_clamp 1
		.amdhsa_ieee_mode 1
		.amdhsa_fp16_overflow 0
		.amdhsa_tg_split 0
		.amdhsa_exception_fp_ieee_invalid_op 0
		.amdhsa_exception_fp_denorm_src 0
		.amdhsa_exception_fp_ieee_div_zero 0
		.amdhsa_exception_fp_ieee_overflow 0
		.amdhsa_exception_fp_ieee_underflow 0
		.amdhsa_exception_fp_ieee_inexact 0
		.amdhsa_exception_int_div_zero 0
	.end_amdhsa_kernel
	.section	.text._ZN12_GLOBAL__N_127rocblas_gemm_batched_kernelIDF16_Li16ELi16ELi64ELi64ELi4ELi64ELi4ELi4ELi64ELc67ELc67EKDF16_S1_DF16_EEvlllT_PT11_llS4_llS2_PT12_llPT13_lli,"axG",@progbits,_ZN12_GLOBAL__N_127rocblas_gemm_batched_kernelIDF16_Li16ELi16ELi64ELi64ELi4ELi64ELi4ELi4ELi64ELc67ELc67EKDF16_S1_DF16_EEvlllT_PT11_llS4_llS2_PT12_llPT13_lli,comdat
.Lfunc_end6:
	.size	_ZN12_GLOBAL__N_127rocblas_gemm_batched_kernelIDF16_Li16ELi16ELi64ELi64ELi4ELi64ELi4ELi4ELi64ELc67ELc67EKDF16_S1_DF16_EEvlllT_PT11_llS4_llS2_PT12_llPT13_lli, .Lfunc_end6-_ZN12_GLOBAL__N_127rocblas_gemm_batched_kernelIDF16_Li16ELi16ELi64ELi64ELi4ELi64ELi4ELi4ELi64ELc67ELc67EKDF16_S1_DF16_EEvlllT_PT11_llS4_llS2_PT12_llPT13_lli
                                        ; -- End function
	.section	.AMDGPU.csdata,"",@progbits
; Kernel info:
; codeLenInByte = 2456
; NumSgprs: 28
; NumVgprs: 58
; NumAgprs: 0
; TotalNumVgprs: 58
; ScratchSize: 0
; MemoryBound: 0
; FloatMode: 240
; IeeeMode: 1
; LDSByteSize: 1024 bytes/workgroup (compile time only)
; SGPRBlocks: 3
; VGPRBlocks: 7
; NumSGPRsForWavesPerEU: 28
; NumVGPRsForWavesPerEU: 58
; AccumOffset: 60
; Occupancy: 8
; WaveLimiterHint : 0
; COMPUTE_PGM_RSRC2:SCRATCH_EN: 0
; COMPUTE_PGM_RSRC2:USER_SGPR: 6
; COMPUTE_PGM_RSRC2:TRAP_HANDLER: 0
; COMPUTE_PGM_RSRC2:TGID_X_EN: 1
; COMPUTE_PGM_RSRC2:TGID_Y_EN: 1
; COMPUTE_PGM_RSRC2:TGID_Z_EN: 1
; COMPUTE_PGM_RSRC2:TIDIG_COMP_CNT: 1
; COMPUTE_PGM_RSRC3_GFX90A:ACCUM_OFFSET: 14
; COMPUTE_PGM_RSRC3_GFX90A:TG_SPLIT: 0
	.section	.text._ZN12_GLOBAL__N_127rocblas_gemm_batched_kernelIDF16_Li16ELi16ELi64ELi64ELi4ELi64ELi4ELi4ELi64ELc67ELc78EKDF16_S1_DF16_EEvlllT_PT11_llS4_llS2_PT12_llPT13_lli,"axG",@progbits,_ZN12_GLOBAL__N_127rocblas_gemm_batched_kernelIDF16_Li16ELi16ELi64ELi64ELi4ELi64ELi4ELi4ELi64ELc67ELc78EKDF16_S1_DF16_EEvlllT_PT11_llS4_llS2_PT12_llPT13_lli,comdat
	.globl	_ZN12_GLOBAL__N_127rocblas_gemm_batched_kernelIDF16_Li16ELi16ELi64ELi64ELi4ELi64ELi4ELi4ELi64ELc67ELc78EKDF16_S1_DF16_EEvlllT_PT11_llS4_llS2_PT12_llPT13_lli ; -- Begin function _ZN12_GLOBAL__N_127rocblas_gemm_batched_kernelIDF16_Li16ELi16ELi64ELi64ELi4ELi64ELi4ELi4ELi64ELc67ELc78EKDF16_S1_DF16_EEvlllT_PT11_llS4_llS2_PT12_llPT13_lli
	.p2align	8
	.type	_ZN12_GLOBAL__N_127rocblas_gemm_batched_kernelIDF16_Li16ELi16ELi64ELi64ELi4ELi64ELi4ELi4ELi64ELc67ELc78EKDF16_S1_DF16_EEvlllT_PT11_llS4_llS2_PT12_llPT13_lli,@function
_ZN12_GLOBAL__N_127rocblas_gemm_batched_kernelIDF16_Li16ELi16ELi64ELi64ELi4ELi64ELi4ELi4ELi64ELc67ELc78EKDF16_S1_DF16_EEvlllT_PT11_llS4_llS2_PT12_llPT13_lli: ; @_ZN12_GLOBAL__N_127rocblas_gemm_batched_kernelIDF16_Li16ELi16ELi64ELi64ELi4ELi64ELi4ELi4ELi64ELc67ELc78EKDF16_S1_DF16_EEvlllT_PT11_llS4_llS2_PT12_llPT13_lli
; %bb.0:
	s_load_dwordx2 s[2:3], s[4:5], 0x10
	s_mov_b32 s0, s7
	s_ashr_i32 s1, s0, 31
	s_ashr_i32 s7, s6, 31
	s_lshl_b64 s[10:11], s[0:1], 6
	s_waitcnt lgkmcnt(0)
	v_cmp_lt_i64_e64 s[0:1], s[2:3], 1
	v_bfe_u32 v19, v0, 10, 10
	v_and_b32_e32 v18, 0x3ff, v0
	s_lshl_b64 s[6:7], s[6:7], 6
	s_and_b64 vcc, exec, s[0:1]
	s_cbranch_vccnz .LBB7_3
; %bb.1:
	s_load_dwordx8 s[12:19], s[4:5], 0x20
	s_load_dwordx4 s[20:23], s[4:5], 0x40
	v_lshl_add_u32 v0, v19, 4, v18
	v_and_b32_e32 v4, 3, v18
	v_and_b32_e32 v5, 63, v0
	v_lshrrev_b32_e32 v1, 2, v0
	v_lshrrev_b32_e32 v6, 6, v0
	v_lshlrev_b32_e32 v0, 1, v5
	v_lshlrev_b32_e32 v4, 1, v4
	v_lshl_or_b32 v24, v6, 7, v0
	v_lshl_or_b32 v0, v1, 3, v4
	v_mov_b32_e32 v2, s11
	v_add_co_u32_e32 v3, vcc, s10, v1
	v_add_u32_e32 v25, 0x200, v0
	v_mov_b32_e32 v0, 0x200
	v_addc_co_u32_e32 v2, vcc, 0, v2, vcc
	v_lshl_add_u32 v27, v19, 3, v0
	s_waitcnt lgkmcnt(0)
	v_mad_u64_u32 v[0:1], s[0:1], s20, v3, 0
	v_mul_lo_u32 v7, s21, v3
	v_mul_lo_u32 v2, s20, v2
	s_mul_i32 s0, s23, s8
	s_mul_hi_u32 s1, s22, s8
	v_add3_u32 v1, v1, v2, v7
	s_add_i32 s1, s1, s0
	s_mul_i32 s0, s22, s8
	v_lshlrev_b64 v[0:1], 1, v[0:1]
	s_lshl_b64 s[0:1], s[0:1], 1
	v_mov_b32_e32 v2, s1
	v_add_co_u32_e32 v0, vcc, s0, v0
	v_addc_co_u32_e32 v1, vcc, v1, v2, vcc
	v_add_co_u32_e32 v0, vcc, v0, v4
	v_addc_co_u32_e32 v1, vcc, 0, v1, vcc
	v_mov_b32_e32 v2, s19
	v_add_co_u32_e32 v0, vcc, s18, v0
	v_addc_co_u32_e32 v1, vcc, v2, v1, vcc
	v_mov_b32_e32 v2, s7
	v_add_co_u32_e32 v3, vcc, s6, v5
	v_addc_co_u32_e32 v2, vcc, 0, v2, vcc
	v_mul_lo_u32 v4, s15, v3
	v_mul_lo_u32 v5, s14, v2
	v_mad_u64_u32 v[2:3], s[0:1], s14, v3, 0
	s_mul_i32 s0, s17, s8
	s_mul_hi_u32 s1, s16, s8
	v_add3_u32 v3, v3, v5, v4
	s_add_i32 s1, s1, s0
	s_mul_i32 s0, s16, s8
	v_lshlrev_b64 v[2:3], 1, v[2:3]
	s_lshl_b64 s[0:1], s[0:1], 1
	v_mov_b32_e32 v4, s1
	v_add_co_u32_e32 v2, vcc, s0, v2
	v_addc_co_u32_e32 v3, vcc, v3, v4, vcc
	v_lshlrev_b32_e32 v4, 1, v6
	v_add_co_u32_e32 v2, vcc, v2, v4
	v_addc_co_u32_e32 v3, vcc, 0, v3, vcc
	v_mov_b32_e32 v4, s13
	v_add_co_u32_e32 v2, vcc, s12, v2
	v_lshlrev_b32_e32 v26, 1, v18
	v_addc_co_u32_e32 v3, vcc, v4, v3, vcc
	s_mov_b64 s[0:1], 0
	v_mov_b32_e32 v6, 0
	v_pk_mov_b32 v[4:5], s[2:3], s[2:3] op_sel:[0,1]
	v_mov_b32_e32 v7, 0
	v_mov_b32_e32 v8, 0
	;; [unrolled: 1-line block ×15, first 2 shown]
.LBB7_2:                                ; =>This Inner Loop Header: Depth=1
	global_load_ushort v28, v[2:3], off
	global_load_ushort v29, v[0:1], off
	v_add_co_u32_e32 v0, vcc, 8, v0
	v_addc_co_u32_e32 v1, vcc, 0, v1, vcc
	s_add_u32 s0, s0, 4
	v_add_co_u32_e32 v2, vcc, 8, v2
	v_addc_co_u32_e32 v3, vcc, 0, v3, vcc
	s_addc_u32 s1, s1, 0
	v_cmp_lt_i64_e32 vcc, s[0:1], v[4:5]
	s_and_b64 vcc, exec, vcc
	s_waitcnt vmcnt(1)
	ds_write_b16 v24, v28
	s_waitcnt vmcnt(0)
	ds_write_b16 v25, v29
	s_waitcnt lgkmcnt(0)
	s_barrier
	ds_read2_b64 v[28:31], v27 offset1:16
	ds_read2_b64 v[32:35], v27 offset0:32 offset1:48
	ds_read_u16 v36, v26
	ds_read_u16 v37, v26 offset:32
	ds_read_u16 v38, v26 offset:64
	;; [unrolled: 1-line block ×15, first 2 shown]
	s_waitcnt lgkmcnt(14)
	v_lshrrev_b32_e32 v52, 16, v28
	v_fma_f16 v23, v36, v28, v23
	v_fma_f16 v22, v37, v28, v22
	s_waitcnt lgkmcnt(13)
	v_fma_f16 v21, v38, v28, v21
	s_waitcnt lgkmcnt(12)
	v_fma_f16 v20, v39, v28, v20
	v_lshrrev_b32_e32 v28, 16, v30
	v_fma_f16 v17, v36, v30, v17
	v_fma_f16 v16, v37, v30, v16
	v_fma_f16 v15, v38, v30, v15
	v_fma_f16 v14, v39, v30, v14
	v_lshrrev_b32_e32 v30, 16, v32
	v_fma_f16 v13, v36, v32, v13
	v_fma_f16 v12, v37, v32, v12
	v_fma_f16 v11, v38, v32, v11
	;; [unrolled: 5-line block ×3, first 2 shown]
	v_fma_f16 v6, v39, v34, v6
	s_waitcnt lgkmcnt(11)
	v_fma_f16 v23, v40, v52, v23
	s_waitcnt lgkmcnt(10)
	;; [unrolled: 2-line block ×4, first 2 shown]
	v_fma_f16 v20, v43, v52, v20
	v_fma_f16 v17, v40, v28, v17
	;; [unrolled: 1-line block ×13, first 2 shown]
	v_lshrrev_b32_e32 v53, 16, v29
	v_lshrrev_b32_e32 v54, 16, v31
	;; [unrolled: 1-line block ×4, first 2 shown]
	s_waitcnt lgkmcnt(7)
	v_fma_f16 v23, v44, v29, v23
	s_waitcnt lgkmcnt(6)
	v_fma_f16 v22, v45, v29, v22
	;; [unrolled: 2-line block ×4, first 2 shown]
	v_fma_f16 v17, v44, v31, v17
	v_fma_f16 v16, v45, v31, v16
	;; [unrolled: 1-line block ×12, first 2 shown]
	s_waitcnt lgkmcnt(3)
	v_fma_f16 v23, v48, v53, v23
	s_waitcnt lgkmcnt(2)
	v_fma_f16 v22, v49, v53, v22
	;; [unrolled: 2-line block ×4, first 2 shown]
	v_fma_f16 v17, v48, v54, v17
	v_fma_f16 v16, v49, v54, v16
	;; [unrolled: 1-line block ×12, first 2 shown]
	s_barrier
	s_cbranch_vccnz .LBB7_2
	s_branch .LBB7_4
.LBB7_3:
	v_mov_b32_e32 v23, 0
	v_mov_b32_e32 v22, 0
	;; [unrolled: 1-line block ×16, first 2 shown]
.LBB7_4:
	s_load_dwordx4 s[0:3], s[4:5], 0x78
	s_load_dword s9, s[4:5], 0x18
	s_load_dword s20, s[4:5], 0x50
	s_load_dwordx8 s[12:19], s[4:5], 0x58
	v_mov_b32_e32 v0, s11
	s_waitcnt lgkmcnt(0)
	s_mul_i32 s3, s8, s3
	s_mul_hi_u32 s4, s8, s2
	s_add_i32 s3, s4, s3
	s_mul_i32 s2, s8, s2
	v_add_co_u32_e32 v2, vcc, s10, v19
	s_lshl_b64 s[2:3], s[2:3], 1
	v_addc_co_u32_e32 v5, vcc, 0, v0, vcc
	s_add_u32 s4, s18, s2
	v_mov_b32_e32 v1, s7
	v_add_co_u32_e32 v0, vcc, s6, v18
	s_addc_u32 s5, s19, s3
	v_cmp_neq_f16_e64 s[2:3], s20, 0
	v_addc_co_u32_e32 v1, vcc, 0, v1, vcc
	s_and_b64 vcc, exec, s[2:3]
	v_mul_lo_u32 v3, v5, s0
	v_mul_lo_u32 v4, v2, s1
	v_lshlrev_b64 v[0:1], 1, v[0:1]
	s_cbranch_vccnz .LBB7_8
; %bb.5:
	v_mad_u64_u32 v[18:19], s[2:3], v2, s0, 0
	v_add3_u32 v19, v19, v4, v3
	v_lshlrev_b64 v[18:19], 1, v[18:19]
	v_mov_b32_e32 v24, s5
	v_add_co_u32_e32 v18, vcc, s4, v18
	v_addc_co_u32_e32 v19, vcc, v24, v19, vcc
	v_add_co_u32_e32 v18, vcc, v18, v0
	v_mul_f16_e32 v24, s9, v23
	v_addc_co_u32_e32 v19, vcc, v19, v1, vcc
	global_store_short v[18:19], v24, off
	v_mul_f16_e32 v24, s9, v22
	global_store_short v[18:19], v24, off offset:32
	v_mul_f16_e32 v24, s9, v21
	global_store_short v[18:19], v24, off offset:64
	v_mul_f16_e32 v24, s9, v20
	s_lshl_b64 s[2:3], s[0:1], 5
	global_store_short v[18:19], v24, off offset:96
	v_mov_b32_e32 v25, s3
	v_add_co_u32_e32 v18, vcc, s2, v18
	v_mul_f16_e32 v24, s9, v17
	v_addc_co_u32_e32 v19, vcc, v19, v25, vcc
	global_store_short v[18:19], v24, off
	v_mul_f16_e32 v24, s9, v16
	global_store_short v[18:19], v24, off offset:32
	v_mul_f16_e32 v24, s9, v15
	global_store_short v[18:19], v24, off offset:64
	v_mul_f16_e32 v24, s9, v14
	global_store_short v[18:19], v24, off offset:96
	v_add_co_u32_e32 v18, vcc, s2, v18
	v_mul_f16_e32 v24, s9, v13
	v_addc_co_u32_e32 v19, vcc, v19, v25, vcc
	global_store_short v[18:19], v24, off
	v_mul_f16_e32 v24, s9, v12
	global_store_short v[18:19], v24, off offset:32
	v_mul_f16_e32 v24, s9, v11
	global_store_short v[18:19], v24, off offset:64
	v_mul_f16_e32 v24, s9, v10
	global_store_short v[18:19], v24, off offset:96
	v_add_co_u32_e32 v18, vcc, s2, v18
	v_mul_f16_e32 v24, s9, v9
	v_addc_co_u32_e32 v19, vcc, v19, v25, vcc
	global_store_short v[18:19], v24, off
	v_mul_f16_e32 v24, s9, v8
	global_store_short v[18:19], v24, off offset:32
	v_mul_f16_e32 v24, s9, v7
	global_store_short v[18:19], v24, off offset:64
	v_mul_f16_e32 v24, s9, v6
	global_store_short v[18:19], v24, off offset:96
	s_cbranch_execnz .LBB7_7
.LBB7_6:
	s_mul_i32 s2, s8, s17
	s_mul_hi_u32 s3, s8, s16
	s_add_i32 s3, s3, s2
	s_mul_i32 s2, s8, s16
	s_lshl_b64 s[2:3], s[2:3], 1
	s_add_u32 s6, s12, s2
	s_addc_u32 s7, s13, s3
	v_mul_lo_u32 v5, v5, s14
	v_mul_lo_u32 v24, v2, s15
	v_mad_u64_u32 v[18:19], s[2:3], v2, s14, 0
	v_add3_u32 v19, v19, v24, v5
	v_lshlrev_b64 v[18:19], 1, v[18:19]
	v_mov_b32_e32 v5, s7
	v_add_co_u32_e32 v18, vcc, s6, v18
	v_addc_co_u32_e32 v5, vcc, v5, v19, vcc
	v_add_co_u32_e32 v18, vcc, v18, v0
	v_addc_co_u32_e32 v19, vcc, v5, v1, vcc
	global_load_ushort v5, v[18:19], off
	v_mad_u64_u32 v[24:25], s[2:3], v2, s0, 0
	v_add3_u32 v25, v25, v4, v3
	v_lshlrev_b64 v[2:3], 1, v[24:25]
	v_mov_b32_e32 v26, s5
	v_add_co_u32_e32 v2, vcc, s4, v2
	v_addc_co_u32_e32 v3, vcc, v26, v3, vcc
	v_add_co_u32_e32 v0, vcc, v2, v0
	v_addc_co_u32_e32 v1, vcc, v3, v1, vcc
	s_lshl_b64 s[2:3], s[14:15], 5
	s_lshl_b64 s[0:1], s[0:1], 5
	s_waitcnt vmcnt(0)
	v_mul_f16_e32 v2, s20, v5
	v_fma_f16 v2, v23, s9, v2
	global_store_short v[0:1], v2, off
	global_load_ushort v2, v[18:19], off offset:32
	v_mov_b32_e32 v5, s3
	s_waitcnt vmcnt(0)
	v_mul_f16_e32 v2, s20, v2
	v_fma_f16 v2, v22, s9, v2
	global_store_short v[0:1], v2, off offset:32
	global_load_ushort v2, v[18:19], off offset:64
	s_waitcnt vmcnt(0)
	v_mul_f16_e32 v2, s20, v2
	v_fma_f16 v2, v21, s9, v2
	global_store_short v[0:1], v2, off offset:64
	global_load_ushort v4, v[18:19], off offset:96
	v_add_co_u32_e32 v2, vcc, s2, v18
	v_addc_co_u32_e32 v3, vcc, v19, v5, vcc
	v_mov_b32_e32 v18, s1
	s_waitcnt vmcnt(0)
	v_mul_f16_e32 v4, s20, v4
	v_fma_f16 v4, v20, s9, v4
	global_store_short v[0:1], v4, off offset:96
	global_load_ushort v4, v[2:3], off
	v_add_co_u32_e32 v0, vcc, s0, v0
	v_addc_co_u32_e32 v1, vcc, v1, v18, vcc
	s_waitcnt vmcnt(0)
	v_mul_f16_e32 v4, s20, v4
	v_fma_f16 v4, v17, s9, v4
	global_store_short v[0:1], v4, off
	global_load_ushort v4, v[2:3], off offset:32
	s_waitcnt vmcnt(0)
	v_mul_f16_e32 v4, s20, v4
	v_fma_f16 v4, v16, s9, v4
	global_store_short v[0:1], v4, off offset:32
	global_load_ushort v4, v[2:3], off offset:64
	s_waitcnt vmcnt(0)
	v_mul_f16_e32 v4, s20, v4
	v_fma_f16 v4, v15, s9, v4
	global_store_short v[0:1], v4, off offset:64
	global_load_ushort v4, v[2:3], off offset:96
	v_add_co_u32_e32 v2, vcc, s2, v2
	v_addc_co_u32_e32 v3, vcc, v3, v5, vcc
	s_waitcnt vmcnt(0)
	v_mul_f16_e32 v4, s20, v4
	v_fma_f16 v4, v14, s9, v4
	global_store_short v[0:1], v4, off offset:96
	global_load_ushort v4, v[2:3], off
	v_add_co_u32_e32 v0, vcc, s0, v0
	v_addc_co_u32_e32 v1, vcc, v1, v18, vcc
	s_waitcnt vmcnt(0)
	v_mul_f16_e32 v4, s20, v4
	v_fma_f16 v4, v13, s9, v4
	global_store_short v[0:1], v4, off
	global_load_ushort v4, v[2:3], off offset:32
	s_waitcnt vmcnt(0)
	v_mul_f16_e32 v4, s20, v4
	v_fma_f16 v4, v12, s9, v4
	global_store_short v[0:1], v4, off offset:32
	global_load_ushort v4, v[2:3], off offset:64
	s_waitcnt vmcnt(0)
	v_mul_f16_e32 v4, s20, v4
	v_fma_f16 v4, v11, s9, v4
	global_store_short v[0:1], v4, off offset:64
	global_load_ushort v4, v[2:3], off offset:96
	v_add_co_u32_e32 v2, vcc, s2, v2
	v_addc_co_u32_e32 v3, vcc, v3, v5, vcc
	s_waitcnt vmcnt(0)
	v_mul_f16_e32 v4, s20, v4
	v_fma_f16 v4, v10, s9, v4
	global_store_short v[0:1], v4, off offset:96
	global_load_ushort v4, v[2:3], off
	v_add_co_u32_e32 v0, vcc, s0, v0
	v_addc_co_u32_e32 v1, vcc, v1, v18, vcc
	s_waitcnt vmcnt(0)
	v_mul_f16_e32 v4, s20, v4
	v_fma_f16 v4, v9, s9, v4
	global_store_short v[0:1], v4, off
	global_load_ushort v4, v[2:3], off offset:32
	s_waitcnt vmcnt(0)
	v_mul_f16_e32 v4, s20, v4
	v_fma_f16 v4, v8, s9, v4
	global_store_short v[0:1], v4, off offset:32
	global_load_ushort v4, v[2:3], off offset:64
	s_waitcnt vmcnt(0)
	v_mul_f16_e32 v4, s20, v4
	v_fma_f16 v4, v7, s9, v4
	global_store_short v[0:1], v4, off offset:64
	;; [unrolled: 5-line block ×3, first 2 shown]
.LBB7_7:
	s_endpgm
.LBB7_8:
	s_branch .LBB7_6
	.section	.rodata,"a",@progbits
	.p2align	6, 0x0
	.amdhsa_kernel _ZN12_GLOBAL__N_127rocblas_gemm_batched_kernelIDF16_Li16ELi16ELi64ELi64ELi4ELi64ELi4ELi4ELi64ELc67ELc78EKDF16_S1_DF16_EEvlllT_PT11_llS4_llS2_PT12_llPT13_lli
		.amdhsa_group_segment_fixed_size 1024
		.amdhsa_private_segment_fixed_size 0
		.amdhsa_kernarg_size 140
		.amdhsa_user_sgpr_count 6
		.amdhsa_user_sgpr_private_segment_buffer 1
		.amdhsa_user_sgpr_dispatch_ptr 0
		.amdhsa_user_sgpr_queue_ptr 0
		.amdhsa_user_sgpr_kernarg_segment_ptr 1
		.amdhsa_user_sgpr_dispatch_id 0
		.amdhsa_user_sgpr_flat_scratch_init 0
		.amdhsa_user_sgpr_kernarg_preload_length 0
		.amdhsa_user_sgpr_kernarg_preload_offset 0
		.amdhsa_user_sgpr_private_segment_size 0
		.amdhsa_uses_dynamic_stack 0
		.amdhsa_system_sgpr_private_segment_wavefront_offset 0
		.amdhsa_system_sgpr_workgroup_id_x 1
		.amdhsa_system_sgpr_workgroup_id_y 1
		.amdhsa_system_sgpr_workgroup_id_z 1
		.amdhsa_system_sgpr_workgroup_info 0
		.amdhsa_system_vgpr_workitem_id 1
		.amdhsa_next_free_vgpr 57
		.amdhsa_next_free_sgpr 24
		.amdhsa_accum_offset 60
		.amdhsa_reserve_vcc 1
		.amdhsa_reserve_flat_scratch 0
		.amdhsa_float_round_mode_32 0
		.amdhsa_float_round_mode_16_64 0
		.amdhsa_float_denorm_mode_32 3
		.amdhsa_float_denorm_mode_16_64 3
		.amdhsa_dx10_clamp 1
		.amdhsa_ieee_mode 1
		.amdhsa_fp16_overflow 0
		.amdhsa_tg_split 0
		.amdhsa_exception_fp_ieee_invalid_op 0
		.amdhsa_exception_fp_denorm_src 0
		.amdhsa_exception_fp_ieee_div_zero 0
		.amdhsa_exception_fp_ieee_overflow 0
		.amdhsa_exception_fp_ieee_underflow 0
		.amdhsa_exception_fp_ieee_inexact 0
		.amdhsa_exception_int_div_zero 0
	.end_amdhsa_kernel
	.section	.text._ZN12_GLOBAL__N_127rocblas_gemm_batched_kernelIDF16_Li16ELi16ELi64ELi64ELi4ELi64ELi4ELi4ELi64ELc67ELc78EKDF16_S1_DF16_EEvlllT_PT11_llS4_llS2_PT12_llPT13_lli,"axG",@progbits,_ZN12_GLOBAL__N_127rocblas_gemm_batched_kernelIDF16_Li16ELi16ELi64ELi64ELi4ELi64ELi4ELi4ELi64ELc67ELc78EKDF16_S1_DF16_EEvlllT_PT11_llS4_llS2_PT12_llPT13_lli,comdat
.Lfunc_end7:
	.size	_ZN12_GLOBAL__N_127rocblas_gemm_batched_kernelIDF16_Li16ELi16ELi64ELi64ELi4ELi64ELi4ELi4ELi64ELc67ELc78EKDF16_S1_DF16_EEvlllT_PT11_llS4_llS2_PT12_llPT13_lli, .Lfunc_end7-_ZN12_GLOBAL__N_127rocblas_gemm_batched_kernelIDF16_Li16ELi16ELi64ELi64ELi4ELi64ELi4ELi4ELi64ELc67ELc78EKDF16_S1_DF16_EEvlllT_PT11_llS4_llS2_PT12_llPT13_lli
                                        ; -- End function
	.section	.AMDGPU.csdata,"",@progbits
; Kernel info:
; codeLenInByte = 2468
; NumSgprs: 28
; NumVgprs: 57
; NumAgprs: 0
; TotalNumVgprs: 57
; ScratchSize: 0
; MemoryBound: 0
; FloatMode: 240
; IeeeMode: 1
; LDSByteSize: 1024 bytes/workgroup (compile time only)
; SGPRBlocks: 3
; VGPRBlocks: 7
; NumSGPRsForWavesPerEU: 28
; NumVGPRsForWavesPerEU: 57
; AccumOffset: 60
; Occupancy: 8
; WaveLimiterHint : 0
; COMPUTE_PGM_RSRC2:SCRATCH_EN: 0
; COMPUTE_PGM_RSRC2:USER_SGPR: 6
; COMPUTE_PGM_RSRC2:TRAP_HANDLER: 0
; COMPUTE_PGM_RSRC2:TGID_X_EN: 1
; COMPUTE_PGM_RSRC2:TGID_Y_EN: 1
; COMPUTE_PGM_RSRC2:TGID_Z_EN: 1
; COMPUTE_PGM_RSRC2:TIDIG_COMP_CNT: 1
; COMPUTE_PGM_RSRC3_GFX90A:ACCUM_OFFSET: 14
; COMPUTE_PGM_RSRC3_GFX90A:TG_SPLIT: 0
	.section	.text._ZN12_GLOBAL__N_127rocblas_gemm_batched_kernelIDF16_Li16ELi16ELi64ELi64ELi4ELi64ELi4ELi4ELi64ELc67ELc84EKDF16_S1_DF16_EEvlllT_PT11_llS4_llS2_PT12_llPT13_lli,"axG",@progbits,_ZN12_GLOBAL__N_127rocblas_gemm_batched_kernelIDF16_Li16ELi16ELi64ELi64ELi4ELi64ELi4ELi4ELi64ELc67ELc84EKDF16_S1_DF16_EEvlllT_PT11_llS4_llS2_PT12_llPT13_lli,comdat
	.globl	_ZN12_GLOBAL__N_127rocblas_gemm_batched_kernelIDF16_Li16ELi16ELi64ELi64ELi4ELi64ELi4ELi4ELi64ELc67ELc84EKDF16_S1_DF16_EEvlllT_PT11_llS4_llS2_PT12_llPT13_lli ; -- Begin function _ZN12_GLOBAL__N_127rocblas_gemm_batched_kernelIDF16_Li16ELi16ELi64ELi64ELi4ELi64ELi4ELi4ELi64ELc67ELc84EKDF16_S1_DF16_EEvlllT_PT11_llS4_llS2_PT12_llPT13_lli
	.p2align	8
	.type	_ZN12_GLOBAL__N_127rocblas_gemm_batched_kernelIDF16_Li16ELi16ELi64ELi64ELi4ELi64ELi4ELi4ELi64ELc67ELc84EKDF16_S1_DF16_EEvlllT_PT11_llS4_llS2_PT12_llPT13_lli,@function
_ZN12_GLOBAL__N_127rocblas_gemm_batched_kernelIDF16_Li16ELi16ELi64ELi64ELi4ELi64ELi4ELi4ELi64ELc67ELc84EKDF16_S1_DF16_EEvlllT_PT11_llS4_llS2_PT12_llPT13_lli: ; @_ZN12_GLOBAL__N_127rocblas_gemm_batched_kernelIDF16_Li16ELi16ELi64ELi64ELi4ELi64ELi4ELi4ELi64ELc67ELc84EKDF16_S1_DF16_EEvlllT_PT11_llS4_llS2_PT12_llPT13_lli
; %bb.0:
	s_load_dwordx2 s[20:21], s[4:5], 0x10
	s_mov_b32 s0, s7
	s_ashr_i32 s1, s0, 31
	s_ashr_i32 s7, s6, 31
	s_lshl_b64 s[10:11], s[0:1], 6
	s_waitcnt lgkmcnt(0)
	v_cmp_lt_i64_e64 s[0:1], s[20:21], 1
	v_bfe_u32 v19, v0, 10, 10
	v_and_b32_e32 v17, 0x3ff, v0
	s_lshl_b64 s[6:7], s[6:7], 6
	s_and_b64 vcc, exec, s[0:1]
	s_cbranch_vccnz .LBB8_3
; %bb.1:
	v_lshl_add_u32 v2, v19, 4, v17
	s_load_dwordx8 s[12:19], s[4:5], 0x20
	s_load_dwordx4 s[0:3], s[4:5], 0x40
	v_and_b32_e32 v6, 63, v2
	v_lshrrev_b32_e32 v0, 2, v2
	v_and_b32_e32 v4, 3, v17
	v_lshrrev_b32_e32 v7, 6, v2
	v_lshlrev_b32_e32 v2, 1, v6
	v_lshl_or_b32 v24, v7, 7, v2
	v_lshlrev_b32_e32 v2, 1, v4
	v_lshl_or_b32 v2, v0, 3, v2
	v_mov_b32_e32 v1, 0
	v_add_u32_e32 v25, 0x200, v2
	v_mov_b32_e32 v2, 0x200
	v_lshl_add_u32 v27, v19, 3, v2
	s_waitcnt lgkmcnt(0)
	v_mad_u64_u32 v[2:3], s[22:23], v4, s0, v[0:1]
	s_mul_i32 s3, s3, s8
	s_mul_hi_u32 s9, s2, s8
	v_mov_b32_e32 v0, v3
	s_add_i32 s3, s9, s3
	s_mul_i32 s2, s2, s8
	v_mad_u64_u32 v[4:5], s[22:23], v4, s1, v[0:1]
	s_lshl_b64 s[2:3], s[2:3], 1
	v_mov_b32_e32 v3, v4
	v_mov_b32_e32 v0, s11
	v_add_co_u32_e32 v2, vcc, s10, v2
	v_addc_co_u32_e32 v3, vcc, v3, v0, vcc
	s_add_u32 s2, s18, s2
	v_lshlrev_b64 v[2:3], 1, v[2:3]
	s_addc_u32 s3, s19, s3
	v_mov_b32_e32 v0, s3
	v_add_co_u32_e32 v2, vcc, s2, v2
	v_addc_co_u32_e32 v3, vcc, v0, v3, vcc
	v_mov_b32_e32 v0, s7
	v_add_co_u32_e32 v4, vcc, s6, v6
	v_addc_co_u32_e32 v0, vcc, 0, v0, vcc
	v_mul_lo_u32 v6, s15, v4
	v_mad_u64_u32 v[4:5], s[2:3], s14, v4, 0
	v_mul_lo_u32 v0, s14, v0
	s_mul_i32 s2, s17, s8
	s_mul_hi_u32 s3, s16, s8
	v_add3_u32 v5, v5, v0, v6
	s_add_i32 s3, s3, s2
	s_mul_i32 s2, s16, s8
	v_lshlrev_b64 v[4:5], 1, v[4:5]
	s_lshl_b64 s[2:3], s[2:3], 1
	v_mov_b32_e32 v0, s3
	v_add_co_u32_e32 v4, vcc, s2, v4
	v_addc_co_u32_e32 v0, vcc, v5, v0, vcc
	v_lshlrev_b32_e32 v5, 1, v7
	v_add_co_u32_e32 v4, vcc, v4, v5
	v_addc_co_u32_e32 v0, vcc, 0, v0, vcc
	s_lshl_b64 s[0:1], s[0:1], 3
	v_mov_b32_e32 v5, s13
	v_add_co_u32_e32 v4, vcc, s12, v4
	v_lshlrev_b32_e32 v26, 1, v17
	v_addc_co_u32_e32 v5, vcc, v5, v0, vcc
	s_mov_b64 s[2:3], 0
	v_mov_b32_e32 v28, s1
	v_pk_mov_b32 v[6:7], s[20:21], s[20:21] op_sel:[0,1]
	v_mov_b32_e32 v0, v1
	v_mov_b32_e32 v8, v1
	;; [unrolled: 1-line block ×15, first 2 shown]
.LBB8_2:                                ; =>This Inner Loop Header: Depth=1
	global_load_ushort v29, v[4:5], off
	global_load_ushort v30, v[2:3], off
	v_add_co_u32_e32 v2, vcc, s0, v2
	v_addc_co_u32_e32 v3, vcc, v3, v28, vcc
	s_add_u32 s2, s2, 4
	v_add_co_u32_e32 v4, vcc, 8, v4
	v_addc_co_u32_e32 v5, vcc, 0, v5, vcc
	s_addc_u32 s3, s3, 0
	v_cmp_lt_i64_e32 vcc, s[2:3], v[6:7]
	s_and_b64 vcc, exec, vcc
	s_waitcnt vmcnt(1)
	ds_write_b16 v24, v29
	s_waitcnt vmcnt(0)
	ds_write_b16 v25, v30
	s_waitcnt lgkmcnt(0)
	s_barrier
	ds_read2_b64 v[30:33], v27 offset1:16
	ds_read2_b64 v[34:37], v27 offset0:32 offset1:48
	ds_read_u16 v29, v26
	ds_read_u16 v38, v26 offset:32
	ds_read_u16 v39, v26 offset:64
	;; [unrolled: 1-line block ×15, first 2 shown]
	s_waitcnt lgkmcnt(14)
	v_lshrrev_b32_e32 v53, 16, v30
	v_fma_f16 v23, v29, v30, v23
	v_fma_f16 v22, v38, v30, v22
	s_waitcnt lgkmcnt(13)
	v_fma_f16 v21, v39, v30, v21
	s_waitcnt lgkmcnt(12)
	v_fma_f16 v20, v40, v30, v20
	v_lshrrev_b32_e32 v30, 16, v32
	v_fma_f16 v18, v29, v32, v18
	v_fma_f16 v16, v38, v32, v16
	v_fma_f16 v15, v39, v32, v15
	v_fma_f16 v14, v40, v32, v14
	v_lshrrev_b32_e32 v32, 16, v34
	v_fma_f16 v13, v29, v34, v13
	v_fma_f16 v12, v38, v34, v12
	v_fma_f16 v11, v39, v34, v11
	;; [unrolled: 5-line block ×3, first 2 shown]
	v_fma_f16 v1, v40, v36, v1
	s_waitcnt lgkmcnt(11)
	v_fma_f16 v23, v41, v53, v23
	s_waitcnt lgkmcnt(10)
	;; [unrolled: 2-line block ×4, first 2 shown]
	v_fma_f16 v20, v44, v53, v20
	v_fma_f16 v18, v41, v30, v18
	;; [unrolled: 1-line block ×13, first 2 shown]
	v_lshrrev_b32_e32 v54, 16, v31
	v_lshrrev_b32_e32 v55, 16, v33
	v_lshrrev_b32_e32 v56, 16, v35
	v_lshrrev_b32_e32 v57, 16, v37
	s_waitcnt lgkmcnt(7)
	v_fma_f16 v23, v45, v31, v23
	s_waitcnt lgkmcnt(6)
	v_fma_f16 v22, v46, v31, v22
	;; [unrolled: 2-line block ×4, first 2 shown]
	v_fma_f16 v18, v45, v33, v18
	v_fma_f16 v16, v46, v33, v16
	;; [unrolled: 1-line block ×12, first 2 shown]
	s_waitcnt lgkmcnt(3)
	v_fma_f16 v23, v49, v54, v23
	s_waitcnt lgkmcnt(2)
	v_fma_f16 v22, v50, v54, v22
	;; [unrolled: 2-line block ×4, first 2 shown]
	v_fma_f16 v18, v49, v55, v18
	v_fma_f16 v16, v50, v55, v16
	;; [unrolled: 1-line block ×12, first 2 shown]
	s_barrier
	s_cbranch_vccnz .LBB8_2
	s_branch .LBB8_4
.LBB8_3:
	v_mov_b32_e32 v23, 0
	v_mov_b32_e32 v22, 0
	v_mov_b32_e32 v21, 0
	v_mov_b32_e32 v20, 0
	v_mov_b32_e32 v18, 0
	v_mov_b32_e32 v16, 0
	v_mov_b32_e32 v15, 0
	v_mov_b32_e32 v14, 0
	v_mov_b32_e32 v13, 0
	v_mov_b32_e32 v12, 0
	v_mov_b32_e32 v11, 0
	v_mov_b32_e32 v10, 0
	v_mov_b32_e32 v9, 0
	v_mov_b32_e32 v8, 0
	v_mov_b32_e32 v0, 0
	v_mov_b32_e32 v1, 0
.LBB8_4:
	s_load_dwordx4 s[0:3], s[4:5], 0x78
	s_load_dword s9, s[4:5], 0x18
	s_load_dword s20, s[4:5], 0x50
	s_load_dwordx8 s[12:19], s[4:5], 0x58
	v_mov_b32_e32 v2, s11
	s_waitcnt lgkmcnt(0)
	s_mul_i32 s3, s8, s3
	s_mul_hi_u32 s4, s8, s2
	s_add_i32 s3, s4, s3
	s_mul_i32 s2, s8, s2
	v_add_co_u32_e32 v4, vcc, s10, v19
	s_lshl_b64 s[2:3], s[2:3], 1
	v_addc_co_u32_e32 v7, vcc, 0, v2, vcc
	s_add_u32 s4, s18, s2
	v_mov_b32_e32 v3, s7
	v_add_co_u32_e32 v2, vcc, s6, v17
	s_addc_u32 s5, s19, s3
	v_cmp_neq_f16_e64 s[2:3], s20, 0
	v_addc_co_u32_e32 v3, vcc, 0, v3, vcc
	s_and_b64 vcc, exec, s[2:3]
	v_mul_lo_u32 v5, v7, s0
	v_mul_lo_u32 v6, v4, s1
	v_lshlrev_b64 v[2:3], 1, v[2:3]
	s_cbranch_vccnz .LBB8_8
; %bb.5:
	v_mad_u64_u32 v[24:25], s[2:3], v4, s0, 0
	v_add3_u32 v25, v25, v6, v5
	v_lshlrev_b64 v[24:25], 1, v[24:25]
	v_mov_b32_e32 v17, s5
	v_add_co_u32_e32 v19, vcc, s4, v24
	v_addc_co_u32_e32 v17, vcc, v17, v25, vcc
	v_add_co_u32_e32 v24, vcc, v19, v2
	v_addc_co_u32_e32 v25, vcc, v17, v3, vcc
	v_mul_f16_e32 v17, s9, v22
	global_store_short v[24:25], v17, off offset:32
	v_mul_f16_e32 v17, s9, v21
	v_mul_f16_e32 v26, s9, v23
	global_store_short v[24:25], v17, off offset:64
	v_mul_f16_e32 v17, s9, v20
	s_lshl_b64 s[2:3], s[0:1], 5
	global_store_short v[24:25], v26, off
	global_store_short v[24:25], v17, off offset:96
	v_mov_b32_e32 v19, s3
	v_add_co_u32_e32 v24, vcc, s2, v24
	v_mul_f16_e32 v17, s9, v18
	v_addc_co_u32_e32 v25, vcc, v25, v19, vcc
	global_store_short v[24:25], v17, off
	v_mul_f16_e32 v17, s9, v16
	global_store_short v[24:25], v17, off offset:32
	v_mul_f16_e32 v17, s9, v15
	global_store_short v[24:25], v17, off offset:64
	v_mul_f16_e32 v17, s9, v14
	global_store_short v[24:25], v17, off offset:96
	v_add_co_u32_e32 v24, vcc, s2, v24
	v_mul_f16_e32 v17, s9, v13
	v_addc_co_u32_e32 v25, vcc, v25, v19, vcc
	global_store_short v[24:25], v17, off
	v_mul_f16_e32 v17, s9, v12
	global_store_short v[24:25], v17, off offset:32
	v_mul_f16_e32 v17, s9, v11
	global_store_short v[24:25], v17, off offset:64
	v_mul_f16_e32 v17, s9, v10
	global_store_short v[24:25], v17, off offset:96
	;; [unrolled: 10-line block ×3, first 2 shown]
	s_cbranch_execnz .LBB8_7
.LBB8_6:
	s_mul_i32 s2, s8, s17
	s_mul_hi_u32 s3, s8, s16
	s_add_i32 s3, s3, s2
	s_mul_i32 s2, s8, s16
	s_lshl_b64 s[2:3], s[2:3], 1
	s_add_u32 s6, s12, s2
	s_addc_u32 s7, s13, s3
	v_mul_lo_u32 v7, v7, s14
	v_mul_lo_u32 v17, v4, s15
	v_mad_u64_u32 v[24:25], s[2:3], v4, s14, 0
	v_add3_u32 v25, v25, v17, v7
	v_lshlrev_b64 v[24:25], 1, v[24:25]
	v_mov_b32_e32 v7, s7
	v_add_co_u32_e32 v17, vcc, s6, v24
	v_addc_co_u32_e32 v7, vcc, v7, v25, vcc
	v_add_co_u32_e32 v24, vcc, v17, v2
	v_addc_co_u32_e32 v25, vcc, v7, v3, vcc
	global_load_ushort v7, v[24:25], off
	v_mad_u64_u32 v[26:27], s[2:3], v4, s0, 0
	v_add3_u32 v27, v27, v6, v5
	v_lshlrev_b64 v[4:5], 1, v[26:27]
	v_mov_b32_e32 v17, s5
	v_add_co_u32_e32 v4, vcc, s4, v4
	v_addc_co_u32_e32 v5, vcc, v17, v5, vcc
	v_add_co_u32_e32 v2, vcc, v4, v2
	v_addc_co_u32_e32 v3, vcc, v5, v3, vcc
	s_lshl_b64 s[2:3], s[14:15], 5
	s_lshl_b64 s[0:1], s[0:1], 5
	v_mov_b32_e32 v17, s1
	s_waitcnt vmcnt(0)
	v_mul_f16_e32 v4, s20, v7
	v_fma_f16 v4, v23, s9, v4
	global_store_short v[2:3], v4, off
	global_load_ushort v4, v[24:25], off offset:32
	v_mov_b32_e32 v7, s3
	s_waitcnt vmcnt(0)
	v_mul_f16_e32 v4, s20, v4
	v_fma_f16 v4, v22, s9, v4
	global_store_short v[2:3], v4, off offset:32
	global_load_ushort v4, v[24:25], off offset:64
	s_waitcnt vmcnt(0)
	v_mul_f16_e32 v4, s20, v4
	v_fma_f16 v4, v21, s9, v4
	global_store_short v[2:3], v4, off offset:64
	global_load_ushort v6, v[24:25], off offset:96
	v_add_co_u32_e32 v4, vcc, s2, v24
	v_addc_co_u32_e32 v5, vcc, v25, v7, vcc
	s_waitcnt vmcnt(0)
	v_mul_f16_e32 v6, s20, v6
	v_fma_f16 v6, v20, s9, v6
	global_store_short v[2:3], v6, off offset:96
	global_load_ushort v6, v[4:5], off
	v_add_co_u32_e32 v2, vcc, s0, v2
	v_addc_co_u32_e32 v3, vcc, v3, v17, vcc
	s_waitcnt vmcnt(0)
	v_mul_f16_e32 v6, s20, v6
	v_fma_f16 v6, v18, s9, v6
	global_store_short v[2:3], v6, off
	global_load_ushort v6, v[4:5], off offset:32
	s_waitcnt vmcnt(0)
	v_mul_f16_e32 v6, s20, v6
	v_fma_f16 v6, v16, s9, v6
	global_store_short v[2:3], v6, off offset:32
	global_load_ushort v6, v[4:5], off offset:64
	s_waitcnt vmcnt(0)
	v_mul_f16_e32 v6, s20, v6
	v_fma_f16 v6, v15, s9, v6
	global_store_short v[2:3], v6, off offset:64
	global_load_ushort v6, v[4:5], off offset:96
	v_add_co_u32_e32 v4, vcc, s2, v4
	v_addc_co_u32_e32 v5, vcc, v5, v7, vcc
	s_waitcnt vmcnt(0)
	v_mul_f16_e32 v6, s20, v6
	v_fma_f16 v6, v14, s9, v6
	global_store_short v[2:3], v6, off offset:96
	global_load_ushort v6, v[4:5], off
	v_add_co_u32_e32 v2, vcc, s0, v2
	v_addc_co_u32_e32 v3, vcc, v3, v17, vcc
	s_waitcnt vmcnt(0)
	v_mul_f16_e32 v6, s20, v6
	v_fma_f16 v6, v13, s9, v6
	global_store_short v[2:3], v6, off
	global_load_ushort v6, v[4:5], off offset:32
	s_waitcnt vmcnt(0)
	v_mul_f16_e32 v6, s20, v6
	v_fma_f16 v6, v12, s9, v6
	global_store_short v[2:3], v6, off offset:32
	global_load_ushort v6, v[4:5], off offset:64
	s_waitcnt vmcnt(0)
	v_mul_f16_e32 v6, s20, v6
	v_fma_f16 v6, v11, s9, v6
	global_store_short v[2:3], v6, off offset:64
	global_load_ushort v6, v[4:5], off offset:96
	v_add_co_u32_e32 v4, vcc, s2, v4
	v_addc_co_u32_e32 v5, vcc, v5, v7, vcc
	s_waitcnt vmcnt(0)
	v_mul_f16_e32 v6, s20, v6
	v_fma_f16 v6, v10, s9, v6
	global_store_short v[2:3], v6, off offset:96
	global_load_ushort v6, v[4:5], off
	v_add_co_u32_e32 v2, vcc, s0, v2
	v_addc_co_u32_e32 v3, vcc, v3, v17, vcc
	s_waitcnt vmcnt(0)
	v_mul_f16_e32 v6, s20, v6
	v_fma_f16 v6, v9, s9, v6
	global_store_short v[2:3], v6, off
	global_load_ushort v6, v[4:5], off offset:32
	s_waitcnt vmcnt(0)
	v_mul_f16_e32 v6, s20, v6
	v_fma_f16 v6, v8, s9, v6
	global_store_short v[2:3], v6, off offset:32
	global_load_ushort v6, v[4:5], off offset:64
	s_waitcnt vmcnt(0)
	v_mul_f16_e32 v6, s20, v6
	v_fma_f16 v0, v0, s9, v6
	global_store_short v[2:3], v0, off offset:64
	global_load_ushort v0, v[4:5], off offset:96
	s_waitcnt vmcnt(0)
	v_mul_f16_e32 v0, s20, v0
	v_fma_f16 v0, v1, s9, v0
	global_store_short v[2:3], v0, off offset:96
.LBB8_7:
	s_endpgm
.LBB8_8:
	s_branch .LBB8_6
	.section	.rodata,"a",@progbits
	.p2align	6, 0x0
	.amdhsa_kernel _ZN12_GLOBAL__N_127rocblas_gemm_batched_kernelIDF16_Li16ELi16ELi64ELi64ELi4ELi64ELi4ELi4ELi64ELc67ELc84EKDF16_S1_DF16_EEvlllT_PT11_llS4_llS2_PT12_llPT13_lli
		.amdhsa_group_segment_fixed_size 1024
		.amdhsa_private_segment_fixed_size 0
		.amdhsa_kernarg_size 140
		.amdhsa_user_sgpr_count 6
		.amdhsa_user_sgpr_private_segment_buffer 1
		.amdhsa_user_sgpr_dispatch_ptr 0
		.amdhsa_user_sgpr_queue_ptr 0
		.amdhsa_user_sgpr_kernarg_segment_ptr 1
		.amdhsa_user_sgpr_dispatch_id 0
		.amdhsa_user_sgpr_flat_scratch_init 0
		.amdhsa_user_sgpr_kernarg_preload_length 0
		.amdhsa_user_sgpr_kernarg_preload_offset 0
		.amdhsa_user_sgpr_private_segment_size 0
		.amdhsa_uses_dynamic_stack 0
		.amdhsa_system_sgpr_private_segment_wavefront_offset 0
		.amdhsa_system_sgpr_workgroup_id_x 1
		.amdhsa_system_sgpr_workgroup_id_y 1
		.amdhsa_system_sgpr_workgroup_id_z 1
		.amdhsa_system_sgpr_workgroup_info 0
		.amdhsa_system_vgpr_workitem_id 1
		.amdhsa_next_free_vgpr 58
		.amdhsa_next_free_sgpr 24
		.amdhsa_accum_offset 60
		.amdhsa_reserve_vcc 1
		.amdhsa_reserve_flat_scratch 0
		.amdhsa_float_round_mode_32 0
		.amdhsa_float_round_mode_16_64 0
		.amdhsa_float_denorm_mode_32 3
		.amdhsa_float_denorm_mode_16_64 3
		.amdhsa_dx10_clamp 1
		.amdhsa_ieee_mode 1
		.amdhsa_fp16_overflow 0
		.amdhsa_tg_split 0
		.amdhsa_exception_fp_ieee_invalid_op 0
		.amdhsa_exception_fp_denorm_src 0
		.amdhsa_exception_fp_ieee_div_zero 0
		.amdhsa_exception_fp_ieee_overflow 0
		.amdhsa_exception_fp_ieee_underflow 0
		.amdhsa_exception_fp_ieee_inexact 0
		.amdhsa_exception_int_div_zero 0
	.end_amdhsa_kernel
	.section	.text._ZN12_GLOBAL__N_127rocblas_gemm_batched_kernelIDF16_Li16ELi16ELi64ELi64ELi4ELi64ELi4ELi4ELi64ELc67ELc84EKDF16_S1_DF16_EEvlllT_PT11_llS4_llS2_PT12_llPT13_lli,"axG",@progbits,_ZN12_GLOBAL__N_127rocblas_gemm_batched_kernelIDF16_Li16ELi16ELi64ELi64ELi4ELi64ELi4ELi4ELi64ELc67ELc84EKDF16_S1_DF16_EEvlllT_PT11_llS4_llS2_PT12_llPT13_lli,comdat
.Lfunc_end8:
	.size	_ZN12_GLOBAL__N_127rocblas_gemm_batched_kernelIDF16_Li16ELi16ELi64ELi64ELi4ELi64ELi4ELi4ELi64ELc67ELc84EKDF16_S1_DF16_EEvlllT_PT11_llS4_llS2_PT12_llPT13_lli, .Lfunc_end8-_ZN12_GLOBAL__N_127rocblas_gemm_batched_kernelIDF16_Li16ELi16ELi64ELi64ELi4ELi64ELi4ELi4ELi64ELc67ELc84EKDF16_S1_DF16_EEvlllT_PT11_llS4_llS2_PT12_llPT13_lli
                                        ; -- End function
	.section	.AMDGPU.csdata,"",@progbits
; Kernel info:
; codeLenInByte = 2456
; NumSgprs: 28
; NumVgprs: 58
; NumAgprs: 0
; TotalNumVgprs: 58
; ScratchSize: 0
; MemoryBound: 0
; FloatMode: 240
; IeeeMode: 1
; LDSByteSize: 1024 bytes/workgroup (compile time only)
; SGPRBlocks: 3
; VGPRBlocks: 7
; NumSGPRsForWavesPerEU: 28
; NumVGPRsForWavesPerEU: 58
; AccumOffset: 60
; Occupancy: 8
; WaveLimiterHint : 0
; COMPUTE_PGM_RSRC2:SCRATCH_EN: 0
; COMPUTE_PGM_RSRC2:USER_SGPR: 6
; COMPUTE_PGM_RSRC2:TRAP_HANDLER: 0
; COMPUTE_PGM_RSRC2:TGID_X_EN: 1
; COMPUTE_PGM_RSRC2:TGID_Y_EN: 1
; COMPUTE_PGM_RSRC2:TGID_Z_EN: 1
; COMPUTE_PGM_RSRC2:TIDIG_COMP_CNT: 1
; COMPUTE_PGM_RSRC3_GFX90A:ACCUM_OFFSET: 14
; COMPUTE_PGM_RSRC3_GFX90A:TG_SPLIT: 0
	.section	.text._ZN12_GLOBAL__N_127rocblas_gemm_batched_kernelIDF16_Li16ELi16ELi64ELi64ELi4ELi64ELi4ELi4ELi64ELc78ELc67EKDF16_S1_DF16_EEvlllT_PT11_llS4_llS2_PT12_llPT13_lli,"axG",@progbits,_ZN12_GLOBAL__N_127rocblas_gemm_batched_kernelIDF16_Li16ELi16ELi64ELi64ELi4ELi64ELi4ELi4ELi64ELc78ELc67EKDF16_S1_DF16_EEvlllT_PT11_llS4_llS2_PT12_llPT13_lli,comdat
	.globl	_ZN12_GLOBAL__N_127rocblas_gemm_batched_kernelIDF16_Li16ELi16ELi64ELi64ELi4ELi64ELi4ELi4ELi64ELc78ELc67EKDF16_S1_DF16_EEvlllT_PT11_llS4_llS2_PT12_llPT13_lli ; -- Begin function _ZN12_GLOBAL__N_127rocblas_gemm_batched_kernelIDF16_Li16ELi16ELi64ELi64ELi4ELi64ELi4ELi4ELi64ELc78ELc67EKDF16_S1_DF16_EEvlllT_PT11_llS4_llS2_PT12_llPT13_lli
	.p2align	8
	.type	_ZN12_GLOBAL__N_127rocblas_gemm_batched_kernelIDF16_Li16ELi16ELi64ELi64ELi4ELi64ELi4ELi4ELi64ELc78ELc67EKDF16_S1_DF16_EEvlllT_PT11_llS4_llS2_PT12_llPT13_lli,@function
_ZN12_GLOBAL__N_127rocblas_gemm_batched_kernelIDF16_Li16ELi16ELi64ELi64ELi4ELi64ELi4ELi4ELi64ELc78ELc67EKDF16_S1_DF16_EEvlllT_PT11_llS4_llS2_PT12_llPT13_lli: ; @_ZN12_GLOBAL__N_127rocblas_gemm_batched_kernelIDF16_Li16ELi16ELi64ELi64ELi4ELi64ELi4ELi4ELi64ELc78ELc67EKDF16_S1_DF16_EEvlllT_PT11_llS4_llS2_PT12_llPT13_lli
; %bb.0:
	s_load_dwordx2 s[20:21], s[4:5], 0x10
	s_mov_b32 s0, s7
	s_ashr_i32 s1, s0, 31
	s_ashr_i32 s7, s6, 31
	s_lshl_b64 s[10:11], s[0:1], 6
	s_waitcnt lgkmcnt(0)
	v_cmp_lt_i64_e64 s[0:1], s[20:21], 1
	v_bfe_u32 v19, v0, 10, 10
	v_and_b32_e32 v17, 0x3ff, v0
	s_lshl_b64 s[6:7], s[6:7], 6
	s_and_b64 vcc, exec, s[0:1]
	s_cbranch_vccnz .LBB9_3
; %bb.1:
	v_lshl_add_u32 v2, v19, 4, v17
	s_load_dwordx8 s[12:19], s[4:5], 0x20
	s_load_dwordx4 s[0:3], s[4:5], 0x40
	v_and_b32_e32 v8, 63, v2
	v_lshrrev_b32_e32 v0, 2, v2
	v_and_b32_e32 v4, 3, v17
	v_lshrrev_b32_e32 v6, 6, v2
	v_lshlrev_b32_e32 v2, 1, v8
	v_lshl_or_b32 v24, v6, 7, v2
	v_lshlrev_b32_e32 v2, 1, v4
	v_lshl_or_b32 v2, v0, 3, v2
	v_mov_b32_e32 v1, 0
	v_add_u32_e32 v25, 0x200, v2
	v_mov_b32_e32 v2, 0x200
	v_lshl_add_u32 v27, v19, 3, v2
	s_waitcnt lgkmcnt(0)
	v_mad_u64_u32 v[2:3], s[22:23], v4, s0, v[0:1]
	s_mul_i32 s3, s3, s8
	s_mul_hi_u32 s9, s2, s8
	v_mov_b32_e32 v0, v3
	s_add_i32 s3, s9, s3
	s_mul_i32 s2, s2, s8
	v_mad_u64_u32 v[4:5], s[22:23], v4, s1, v[0:1]
	s_lshl_b64 s[2:3], s[2:3], 1
	v_mov_b32_e32 v3, v4
	v_mov_b32_e32 v0, s11
	v_add_co_u32_e32 v2, vcc, s10, v2
	v_addc_co_u32_e32 v3, vcc, v3, v0, vcc
	s_add_u32 s2, s18, s2
	v_lshlrev_b64 v[2:3], 1, v[2:3]
	s_addc_u32 s3, s19, s3
	v_mov_b32_e32 v0, s3
	v_add_co_u32_e32 v2, vcc, s2, v2
	s_mul_i32 s2, s17, s8
	s_mul_hi_u32 s3, s16, s8
	v_pk_mov_b32 v[4:5], s[6:7], s[6:7] op_sel:[0,1]
	s_add_i32 s3, s3, s2
	s_mul_i32 s2, s16, s8
	v_mad_u64_u32 v[4:5], s[16:17], v6, s14, v[4:5]
	v_addc_co_u32_e32 v3, vcc, v0, v3, vcc
	v_mov_b32_e32 v0, v5
	v_mad_u64_u32 v[6:7], s[16:17], v6, s15, v[0:1]
	s_lshl_b64 s[0:1], s[0:1], 3
	s_lshl_b64 s[2:3], s[2:3], 1
	v_mov_b32_e32 v5, v6
	v_add_co_u32_e32 v4, vcc, v4, v8
	v_addc_co_u32_e32 v5, vcc, 0, v5, vcc
	s_add_u32 s2, s12, s2
	v_lshlrev_b64 v[4:5], 1, v[4:5]
	s_addc_u32 s3, s13, s3
	v_mov_b32_e32 v0, s3
	v_add_co_u32_e32 v4, vcc, s2, v4
	s_lshl_b64 s[2:3], s[14:15], 3
	v_lshlrev_b32_e32 v26, 1, v17
	v_addc_co_u32_e32 v5, vcc, v0, v5, vcc
	s_mov_b64 s[12:13], 0
	v_mov_b32_e32 v28, s1
	v_mov_b32_e32 v29, s3
	v_pk_mov_b32 v[6:7], s[20:21], s[20:21] op_sel:[0,1]
	v_mov_b32_e32 v0, v1
	v_mov_b32_e32 v8, v1
	;; [unrolled: 1-line block ×15, first 2 shown]
.LBB9_2:                                ; =>This Inner Loop Header: Depth=1
	global_load_ushort v30, v[4:5], off
	global_load_ushort v31, v[2:3], off
	v_add_co_u32_e32 v2, vcc, s0, v2
	v_addc_co_u32_e32 v3, vcc, v3, v28, vcc
	s_add_u32 s12, s12, 4
	v_add_co_u32_e32 v4, vcc, s2, v4
	v_addc_co_u32_e32 v5, vcc, v5, v29, vcc
	s_addc_u32 s13, s13, 0
	v_cmp_lt_i64_e32 vcc, s[12:13], v[6:7]
	s_and_b64 vcc, exec, vcc
	s_waitcnt vmcnt(1)
	ds_write_b16 v24, v30
	s_waitcnt vmcnt(0)
	ds_write_b16 v25, v31
	s_waitcnt lgkmcnt(0)
	s_barrier
	ds_read2_b64 v[30:33], v27 offset1:16
	ds_read2_b64 v[34:37], v27 offset0:32 offset1:48
	ds_read_u16 v38, v26
	ds_read_u16 v39, v26 offset:32
	ds_read_u16 v40, v26 offset:64
	;; [unrolled: 1-line block ×15, first 2 shown]
	s_waitcnt lgkmcnt(14)
	v_lshrrev_b32_e32 v54, 16, v30
	v_fma_f16 v23, v38, v30, v23
	v_fma_f16 v22, v39, v30, v22
	s_waitcnt lgkmcnt(13)
	v_fma_f16 v21, v40, v30, v21
	s_waitcnt lgkmcnt(12)
	v_fma_f16 v20, v41, v30, v20
	v_lshrrev_b32_e32 v30, 16, v32
	v_fma_f16 v18, v38, v32, v18
	v_fma_f16 v16, v39, v32, v16
	v_fma_f16 v15, v40, v32, v15
	v_fma_f16 v14, v41, v32, v14
	v_lshrrev_b32_e32 v32, 16, v34
	v_fma_f16 v13, v38, v34, v13
	v_fma_f16 v12, v39, v34, v12
	v_fma_f16 v11, v40, v34, v11
	;; [unrolled: 5-line block ×3, first 2 shown]
	v_fma_f16 v1, v41, v36, v1
	s_waitcnt lgkmcnt(11)
	v_fma_f16 v23, v42, v54, v23
	s_waitcnt lgkmcnt(10)
	;; [unrolled: 2-line block ×4, first 2 shown]
	v_fma_f16 v20, v45, v54, v20
	v_fma_f16 v18, v42, v30, v18
	;; [unrolled: 1-line block ×13, first 2 shown]
	v_lshrrev_b32_e32 v55, 16, v31
	v_lshrrev_b32_e32 v56, 16, v33
	;; [unrolled: 1-line block ×4, first 2 shown]
	s_waitcnt lgkmcnt(7)
	v_fma_f16 v23, v46, v31, v23
	s_waitcnt lgkmcnt(6)
	v_fma_f16 v22, v47, v31, v22
	;; [unrolled: 2-line block ×4, first 2 shown]
	v_fma_f16 v18, v46, v33, v18
	v_fma_f16 v16, v47, v33, v16
	;; [unrolled: 1-line block ×12, first 2 shown]
	s_waitcnt lgkmcnt(3)
	v_fma_f16 v23, v50, v55, v23
	s_waitcnt lgkmcnt(2)
	v_fma_f16 v22, v51, v55, v22
	;; [unrolled: 2-line block ×4, first 2 shown]
	v_fma_f16 v18, v50, v56, v18
	v_fma_f16 v16, v51, v56, v16
	;; [unrolled: 1-line block ×12, first 2 shown]
	s_barrier
	s_cbranch_vccnz .LBB9_2
	s_branch .LBB9_4
.LBB9_3:
	v_mov_b32_e32 v23, 0
	v_mov_b32_e32 v22, 0
	;; [unrolled: 1-line block ×16, first 2 shown]
.LBB9_4:
	s_load_dwordx4 s[0:3], s[4:5], 0x78
	s_load_dword s9, s[4:5], 0x18
	s_load_dword s20, s[4:5], 0x50
	s_load_dwordx8 s[12:19], s[4:5], 0x58
	v_mov_b32_e32 v2, s11
	s_waitcnt lgkmcnt(0)
	s_mul_i32 s3, s8, s3
	s_mul_hi_u32 s4, s8, s2
	s_add_i32 s3, s4, s3
	s_mul_i32 s2, s8, s2
	v_add_co_u32_e32 v4, vcc, s10, v19
	s_lshl_b64 s[2:3], s[2:3], 1
	v_addc_co_u32_e32 v7, vcc, 0, v2, vcc
	s_add_u32 s4, s18, s2
	v_mov_b32_e32 v3, s7
	v_add_co_u32_e32 v2, vcc, s6, v17
	s_addc_u32 s5, s19, s3
	v_cmp_neq_f16_e64 s[2:3], s20, 0
	v_addc_co_u32_e32 v3, vcc, 0, v3, vcc
	s_and_b64 vcc, exec, s[2:3]
	v_mul_lo_u32 v5, v7, s0
	v_mul_lo_u32 v6, v4, s1
	v_lshlrev_b64 v[2:3], 1, v[2:3]
	s_cbranch_vccnz .LBB9_8
; %bb.5:
	v_mad_u64_u32 v[24:25], s[2:3], v4, s0, 0
	v_add3_u32 v25, v25, v6, v5
	v_lshlrev_b64 v[24:25], 1, v[24:25]
	v_mov_b32_e32 v17, s5
	v_add_co_u32_e32 v19, vcc, s4, v24
	v_addc_co_u32_e32 v17, vcc, v17, v25, vcc
	v_add_co_u32_e32 v24, vcc, v19, v2
	v_addc_co_u32_e32 v25, vcc, v17, v3, vcc
	v_mul_f16_e32 v17, s9, v22
	global_store_short v[24:25], v17, off offset:32
	v_mul_f16_e32 v17, s9, v21
	v_mul_f16_e32 v26, s9, v23
	global_store_short v[24:25], v17, off offset:64
	v_mul_f16_e32 v17, s9, v20
	s_lshl_b64 s[2:3], s[0:1], 5
	global_store_short v[24:25], v26, off
	global_store_short v[24:25], v17, off offset:96
	v_mov_b32_e32 v19, s3
	v_add_co_u32_e32 v24, vcc, s2, v24
	v_mul_f16_e32 v17, s9, v18
	v_addc_co_u32_e32 v25, vcc, v25, v19, vcc
	global_store_short v[24:25], v17, off
	v_mul_f16_e32 v17, s9, v16
	global_store_short v[24:25], v17, off offset:32
	v_mul_f16_e32 v17, s9, v15
	global_store_short v[24:25], v17, off offset:64
	v_mul_f16_e32 v17, s9, v14
	global_store_short v[24:25], v17, off offset:96
	v_add_co_u32_e32 v24, vcc, s2, v24
	v_mul_f16_e32 v17, s9, v13
	v_addc_co_u32_e32 v25, vcc, v25, v19, vcc
	global_store_short v[24:25], v17, off
	v_mul_f16_e32 v17, s9, v12
	global_store_short v[24:25], v17, off offset:32
	v_mul_f16_e32 v17, s9, v11
	global_store_short v[24:25], v17, off offset:64
	v_mul_f16_e32 v17, s9, v10
	global_store_short v[24:25], v17, off offset:96
	;; [unrolled: 10-line block ×3, first 2 shown]
	s_cbranch_execnz .LBB9_7
.LBB9_6:
	s_mul_i32 s2, s8, s17
	s_mul_hi_u32 s3, s8, s16
	s_add_i32 s3, s3, s2
	s_mul_i32 s2, s8, s16
	s_lshl_b64 s[2:3], s[2:3], 1
	s_add_u32 s6, s12, s2
	s_addc_u32 s7, s13, s3
	v_mul_lo_u32 v7, v7, s14
	v_mul_lo_u32 v17, v4, s15
	v_mad_u64_u32 v[24:25], s[2:3], v4, s14, 0
	v_add3_u32 v25, v25, v17, v7
	v_lshlrev_b64 v[24:25], 1, v[24:25]
	v_mov_b32_e32 v7, s7
	v_add_co_u32_e32 v17, vcc, s6, v24
	v_addc_co_u32_e32 v7, vcc, v7, v25, vcc
	v_add_co_u32_e32 v24, vcc, v17, v2
	v_addc_co_u32_e32 v25, vcc, v7, v3, vcc
	global_load_ushort v7, v[24:25], off
	v_mad_u64_u32 v[26:27], s[2:3], v4, s0, 0
	v_add3_u32 v27, v27, v6, v5
	v_lshlrev_b64 v[4:5], 1, v[26:27]
	v_mov_b32_e32 v17, s5
	v_add_co_u32_e32 v4, vcc, s4, v4
	v_addc_co_u32_e32 v5, vcc, v17, v5, vcc
	v_add_co_u32_e32 v2, vcc, v4, v2
	v_addc_co_u32_e32 v3, vcc, v5, v3, vcc
	s_lshl_b64 s[2:3], s[14:15], 5
	s_lshl_b64 s[0:1], s[0:1], 5
	v_mov_b32_e32 v17, s1
	s_waitcnt vmcnt(0)
	v_mul_f16_e32 v4, s20, v7
	v_fma_f16 v4, v23, s9, v4
	global_store_short v[2:3], v4, off
	global_load_ushort v4, v[24:25], off offset:32
	v_mov_b32_e32 v7, s3
	s_waitcnt vmcnt(0)
	v_mul_f16_e32 v4, s20, v4
	v_fma_f16 v4, v22, s9, v4
	global_store_short v[2:3], v4, off offset:32
	global_load_ushort v4, v[24:25], off offset:64
	s_waitcnt vmcnt(0)
	v_mul_f16_e32 v4, s20, v4
	v_fma_f16 v4, v21, s9, v4
	global_store_short v[2:3], v4, off offset:64
	global_load_ushort v6, v[24:25], off offset:96
	v_add_co_u32_e32 v4, vcc, s2, v24
	v_addc_co_u32_e32 v5, vcc, v25, v7, vcc
	s_waitcnt vmcnt(0)
	v_mul_f16_e32 v6, s20, v6
	v_fma_f16 v6, v20, s9, v6
	global_store_short v[2:3], v6, off offset:96
	global_load_ushort v6, v[4:5], off
	v_add_co_u32_e32 v2, vcc, s0, v2
	v_addc_co_u32_e32 v3, vcc, v3, v17, vcc
	s_waitcnt vmcnt(0)
	v_mul_f16_e32 v6, s20, v6
	v_fma_f16 v6, v18, s9, v6
	global_store_short v[2:3], v6, off
	global_load_ushort v6, v[4:5], off offset:32
	s_waitcnt vmcnt(0)
	v_mul_f16_e32 v6, s20, v6
	v_fma_f16 v6, v16, s9, v6
	global_store_short v[2:3], v6, off offset:32
	global_load_ushort v6, v[4:5], off offset:64
	s_waitcnt vmcnt(0)
	v_mul_f16_e32 v6, s20, v6
	v_fma_f16 v6, v15, s9, v6
	global_store_short v[2:3], v6, off offset:64
	global_load_ushort v6, v[4:5], off offset:96
	v_add_co_u32_e32 v4, vcc, s2, v4
	v_addc_co_u32_e32 v5, vcc, v5, v7, vcc
	s_waitcnt vmcnt(0)
	v_mul_f16_e32 v6, s20, v6
	v_fma_f16 v6, v14, s9, v6
	global_store_short v[2:3], v6, off offset:96
	global_load_ushort v6, v[4:5], off
	v_add_co_u32_e32 v2, vcc, s0, v2
	v_addc_co_u32_e32 v3, vcc, v3, v17, vcc
	s_waitcnt vmcnt(0)
	v_mul_f16_e32 v6, s20, v6
	v_fma_f16 v6, v13, s9, v6
	global_store_short v[2:3], v6, off
	global_load_ushort v6, v[4:5], off offset:32
	;; [unrolled: 24-line block ×3, first 2 shown]
	s_waitcnt vmcnt(0)
	v_mul_f16_e32 v6, s20, v6
	v_fma_f16 v6, v8, s9, v6
	global_store_short v[2:3], v6, off offset:32
	global_load_ushort v6, v[4:5], off offset:64
	s_waitcnt vmcnt(0)
	v_mul_f16_e32 v6, s20, v6
	v_fma_f16 v0, v0, s9, v6
	global_store_short v[2:3], v0, off offset:64
	global_load_ushort v0, v[4:5], off offset:96
	s_waitcnt vmcnt(0)
	v_mul_f16_e32 v0, s20, v0
	v_fma_f16 v0, v1, s9, v0
	global_store_short v[2:3], v0, off offset:96
.LBB9_7:
	s_endpgm
.LBB9_8:
	s_branch .LBB9_6
	.section	.rodata,"a",@progbits
	.p2align	6, 0x0
	.amdhsa_kernel _ZN12_GLOBAL__N_127rocblas_gemm_batched_kernelIDF16_Li16ELi16ELi64ELi64ELi4ELi64ELi4ELi4ELi64ELc78ELc67EKDF16_S1_DF16_EEvlllT_PT11_llS4_llS2_PT12_llPT13_lli
		.amdhsa_group_segment_fixed_size 1024
		.amdhsa_private_segment_fixed_size 0
		.amdhsa_kernarg_size 140
		.amdhsa_user_sgpr_count 6
		.amdhsa_user_sgpr_private_segment_buffer 1
		.amdhsa_user_sgpr_dispatch_ptr 0
		.amdhsa_user_sgpr_queue_ptr 0
		.amdhsa_user_sgpr_kernarg_segment_ptr 1
		.amdhsa_user_sgpr_dispatch_id 0
		.amdhsa_user_sgpr_flat_scratch_init 0
		.amdhsa_user_sgpr_kernarg_preload_length 0
		.amdhsa_user_sgpr_kernarg_preload_offset 0
		.amdhsa_user_sgpr_private_segment_size 0
		.amdhsa_uses_dynamic_stack 0
		.amdhsa_system_sgpr_private_segment_wavefront_offset 0
		.amdhsa_system_sgpr_workgroup_id_x 1
		.amdhsa_system_sgpr_workgroup_id_y 1
		.amdhsa_system_sgpr_workgroup_id_z 1
		.amdhsa_system_sgpr_workgroup_info 0
		.amdhsa_system_vgpr_workitem_id 1
		.amdhsa_next_free_vgpr 58
		.amdhsa_next_free_sgpr 24
		.amdhsa_accum_offset 60
		.amdhsa_reserve_vcc 1
		.amdhsa_reserve_flat_scratch 0
		.amdhsa_float_round_mode_32 0
		.amdhsa_float_round_mode_16_64 0
		.amdhsa_float_denorm_mode_32 3
		.amdhsa_float_denorm_mode_16_64 3
		.amdhsa_dx10_clamp 1
		.amdhsa_ieee_mode 1
		.amdhsa_fp16_overflow 0
		.amdhsa_tg_split 0
		.amdhsa_exception_fp_ieee_invalid_op 0
		.amdhsa_exception_fp_denorm_src 0
		.amdhsa_exception_fp_ieee_div_zero 0
		.amdhsa_exception_fp_ieee_overflow 0
		.amdhsa_exception_fp_ieee_underflow 0
		.amdhsa_exception_fp_ieee_inexact 0
		.amdhsa_exception_int_div_zero 0
	.end_amdhsa_kernel
	.section	.text._ZN12_GLOBAL__N_127rocblas_gemm_batched_kernelIDF16_Li16ELi16ELi64ELi64ELi4ELi64ELi4ELi4ELi64ELc78ELc67EKDF16_S1_DF16_EEvlllT_PT11_llS4_llS2_PT12_llPT13_lli,"axG",@progbits,_ZN12_GLOBAL__N_127rocblas_gemm_batched_kernelIDF16_Li16ELi16ELi64ELi64ELi4ELi64ELi4ELi4ELi64ELc78ELc67EKDF16_S1_DF16_EEvlllT_PT11_llS4_llS2_PT12_llPT13_lli,comdat
.Lfunc_end9:
	.size	_ZN12_GLOBAL__N_127rocblas_gemm_batched_kernelIDF16_Li16ELi16ELi64ELi64ELi4ELi64ELi4ELi4ELi64ELc78ELc67EKDF16_S1_DF16_EEvlllT_PT11_llS4_llS2_PT12_llPT13_lli, .Lfunc_end9-_ZN12_GLOBAL__N_127rocblas_gemm_batched_kernelIDF16_Li16ELi16ELi64ELi64ELi4ELi64ELi4ELi4ELi64ELc78ELc67EKDF16_S1_DF16_EEvlllT_PT11_llS4_llS2_PT12_llPT13_lli
                                        ; -- End function
	.section	.AMDGPU.csdata,"",@progbits
; Kernel info:
; codeLenInByte = 2444
; NumSgprs: 28
; NumVgprs: 58
; NumAgprs: 0
; TotalNumVgprs: 58
; ScratchSize: 0
; MemoryBound: 0
; FloatMode: 240
; IeeeMode: 1
; LDSByteSize: 1024 bytes/workgroup (compile time only)
; SGPRBlocks: 3
; VGPRBlocks: 7
; NumSGPRsForWavesPerEU: 28
; NumVGPRsForWavesPerEU: 58
; AccumOffset: 60
; Occupancy: 8
; WaveLimiterHint : 0
; COMPUTE_PGM_RSRC2:SCRATCH_EN: 0
; COMPUTE_PGM_RSRC2:USER_SGPR: 6
; COMPUTE_PGM_RSRC2:TRAP_HANDLER: 0
; COMPUTE_PGM_RSRC2:TGID_X_EN: 1
; COMPUTE_PGM_RSRC2:TGID_Y_EN: 1
; COMPUTE_PGM_RSRC2:TGID_Z_EN: 1
; COMPUTE_PGM_RSRC2:TIDIG_COMP_CNT: 1
; COMPUTE_PGM_RSRC3_GFX90A:ACCUM_OFFSET: 14
; COMPUTE_PGM_RSRC3_GFX90A:TG_SPLIT: 0
	.section	.text._ZN12_GLOBAL__N_127rocblas_gemm_batched_kernelIDF16_Li16ELi16ELi64ELi64ELi4ELi64ELi4ELi4ELi64ELc84ELc67EKDF16_S1_DF16_EEvlllT_PT11_llS4_llS2_PT12_llPT13_lli,"axG",@progbits,_ZN12_GLOBAL__N_127rocblas_gemm_batched_kernelIDF16_Li16ELi16ELi64ELi64ELi4ELi64ELi4ELi4ELi64ELc84ELc67EKDF16_S1_DF16_EEvlllT_PT11_llS4_llS2_PT12_llPT13_lli,comdat
	.globl	_ZN12_GLOBAL__N_127rocblas_gemm_batched_kernelIDF16_Li16ELi16ELi64ELi64ELi4ELi64ELi4ELi4ELi64ELc84ELc67EKDF16_S1_DF16_EEvlllT_PT11_llS4_llS2_PT12_llPT13_lli ; -- Begin function _ZN12_GLOBAL__N_127rocblas_gemm_batched_kernelIDF16_Li16ELi16ELi64ELi64ELi4ELi64ELi4ELi4ELi64ELc84ELc67EKDF16_S1_DF16_EEvlllT_PT11_llS4_llS2_PT12_llPT13_lli
	.p2align	8
	.type	_ZN12_GLOBAL__N_127rocblas_gemm_batched_kernelIDF16_Li16ELi16ELi64ELi64ELi4ELi64ELi4ELi4ELi64ELc84ELc67EKDF16_S1_DF16_EEvlllT_PT11_llS4_llS2_PT12_llPT13_lli,@function
_ZN12_GLOBAL__N_127rocblas_gemm_batched_kernelIDF16_Li16ELi16ELi64ELi64ELi4ELi64ELi4ELi4ELi64ELc84ELc67EKDF16_S1_DF16_EEvlllT_PT11_llS4_llS2_PT12_llPT13_lli: ; @_ZN12_GLOBAL__N_127rocblas_gemm_batched_kernelIDF16_Li16ELi16ELi64ELi64ELi4ELi64ELi4ELi4ELi64ELc84ELc67EKDF16_S1_DF16_EEvlllT_PT11_llS4_llS2_PT12_llPT13_lli
; %bb.0:
	s_load_dwordx2 s[20:21], s[4:5], 0x10
	s_mov_b32 s0, s7
	s_ashr_i32 s1, s0, 31
	s_ashr_i32 s7, s6, 31
	s_lshl_b64 s[10:11], s[0:1], 6
	s_waitcnt lgkmcnt(0)
	v_cmp_lt_i64_e64 s[0:1], s[20:21], 1
	v_bfe_u32 v19, v0, 10, 10
	v_and_b32_e32 v17, 0x3ff, v0
	s_lshl_b64 s[6:7], s[6:7], 6
	s_and_b64 vcc, exec, s[0:1]
	s_cbranch_vccnz .LBB10_3
; %bb.1:
	v_lshl_add_u32 v2, v19, 4, v17
	s_load_dwordx8 s[12:19], s[4:5], 0x20
	s_load_dwordx4 s[0:3], s[4:5], 0x40
	v_and_b32_e32 v6, 63, v2
	v_lshrrev_b32_e32 v0, 2, v2
	v_and_b32_e32 v4, 3, v17
	v_lshrrev_b32_e32 v7, 6, v2
	v_lshlrev_b32_e32 v2, 1, v6
	v_lshl_or_b32 v24, v7, 7, v2
	v_lshlrev_b32_e32 v2, 1, v4
	v_lshl_or_b32 v2, v0, 3, v2
	v_mov_b32_e32 v1, 0
	v_add_u32_e32 v25, 0x200, v2
	v_mov_b32_e32 v2, 0x200
	v_lshl_add_u32 v27, v19, 3, v2
	s_waitcnt lgkmcnt(0)
	v_mad_u64_u32 v[2:3], s[22:23], v4, s0, v[0:1]
	s_mul_i32 s3, s3, s8
	s_mul_hi_u32 s9, s2, s8
	v_mov_b32_e32 v0, v3
	s_add_i32 s3, s9, s3
	s_mul_i32 s2, s2, s8
	v_mad_u64_u32 v[4:5], s[22:23], v4, s1, v[0:1]
	s_lshl_b64 s[2:3], s[2:3], 1
	v_mov_b32_e32 v3, v4
	v_mov_b32_e32 v0, s11
	v_add_co_u32_e32 v2, vcc, s10, v2
	v_addc_co_u32_e32 v3, vcc, v3, v0, vcc
	s_add_u32 s2, s18, s2
	v_lshlrev_b64 v[2:3], 1, v[2:3]
	s_addc_u32 s3, s19, s3
	v_mov_b32_e32 v0, s3
	v_add_co_u32_e32 v2, vcc, s2, v2
	v_addc_co_u32_e32 v3, vcc, v0, v3, vcc
	v_mov_b32_e32 v0, s7
	v_add_co_u32_e32 v4, vcc, s6, v6
	v_addc_co_u32_e32 v0, vcc, 0, v0, vcc
	v_mul_lo_u32 v6, s15, v4
	v_mad_u64_u32 v[4:5], s[2:3], s14, v4, 0
	v_mul_lo_u32 v0, s14, v0
	s_mul_i32 s2, s17, s8
	s_mul_hi_u32 s3, s16, s8
	v_add3_u32 v5, v5, v0, v6
	s_add_i32 s3, s3, s2
	s_mul_i32 s2, s16, s8
	v_lshlrev_b64 v[4:5], 1, v[4:5]
	s_lshl_b64 s[2:3], s[2:3], 1
	v_mov_b32_e32 v0, s3
	v_add_co_u32_e32 v4, vcc, s2, v4
	v_addc_co_u32_e32 v0, vcc, v5, v0, vcc
	v_lshlrev_b32_e32 v5, 1, v7
	v_add_co_u32_e32 v4, vcc, v4, v5
	v_addc_co_u32_e32 v0, vcc, 0, v0, vcc
	s_lshl_b64 s[0:1], s[0:1], 3
	v_mov_b32_e32 v5, s13
	v_add_co_u32_e32 v4, vcc, s12, v4
	v_lshlrev_b32_e32 v26, 1, v17
	v_addc_co_u32_e32 v5, vcc, v5, v0, vcc
	s_mov_b64 s[2:3], 0
	v_mov_b32_e32 v28, s1
	v_pk_mov_b32 v[6:7], s[20:21], s[20:21] op_sel:[0,1]
	v_mov_b32_e32 v0, v1
	v_mov_b32_e32 v8, v1
	;; [unrolled: 1-line block ×15, first 2 shown]
.LBB10_2:                               ; =>This Inner Loop Header: Depth=1
	global_load_ushort v29, v[4:5], off
	global_load_ushort v30, v[2:3], off
	v_add_co_u32_e32 v2, vcc, s0, v2
	v_addc_co_u32_e32 v3, vcc, v3, v28, vcc
	s_add_u32 s2, s2, 4
	v_add_co_u32_e32 v4, vcc, 8, v4
	v_addc_co_u32_e32 v5, vcc, 0, v5, vcc
	s_addc_u32 s3, s3, 0
	v_cmp_lt_i64_e32 vcc, s[2:3], v[6:7]
	s_and_b64 vcc, exec, vcc
	s_waitcnt vmcnt(1)
	ds_write_b16 v24, v29
	s_waitcnt vmcnt(0)
	ds_write_b16 v25, v30
	s_waitcnt lgkmcnt(0)
	s_barrier
	ds_read2_b64 v[30:33], v27 offset1:16
	ds_read2_b64 v[34:37], v27 offset0:32 offset1:48
	ds_read_u16 v29, v26
	ds_read_u16 v38, v26 offset:32
	ds_read_u16 v39, v26 offset:64
	;; [unrolled: 1-line block ×15, first 2 shown]
	s_waitcnt lgkmcnt(14)
	v_lshrrev_b32_e32 v53, 16, v30
	v_fma_f16 v23, v29, v30, v23
	v_fma_f16 v22, v38, v30, v22
	s_waitcnt lgkmcnt(13)
	v_fma_f16 v21, v39, v30, v21
	s_waitcnt lgkmcnt(12)
	v_fma_f16 v20, v40, v30, v20
	v_lshrrev_b32_e32 v30, 16, v32
	v_fma_f16 v18, v29, v32, v18
	v_fma_f16 v16, v38, v32, v16
	v_fma_f16 v15, v39, v32, v15
	v_fma_f16 v14, v40, v32, v14
	v_lshrrev_b32_e32 v32, 16, v34
	v_fma_f16 v13, v29, v34, v13
	v_fma_f16 v12, v38, v34, v12
	v_fma_f16 v11, v39, v34, v11
	v_fma_f16 v10, v40, v34, v10
	v_lshrrev_b32_e32 v34, 16, v36
	v_fma_f16 v9, v29, v36, v9
	v_fma_f16 v8, v38, v36, v8
	v_fma_f16 v0, v39, v36, v0
	v_fma_f16 v1, v40, v36, v1
	s_waitcnt lgkmcnt(11)
	v_fma_f16 v23, v41, v53, v23
	s_waitcnt lgkmcnt(10)
	;; [unrolled: 2-line block ×4, first 2 shown]
	v_fma_f16 v20, v44, v53, v20
	v_fma_f16 v18, v41, v30, v18
	;; [unrolled: 1-line block ×13, first 2 shown]
	v_lshrrev_b32_e32 v54, 16, v31
	v_lshrrev_b32_e32 v55, 16, v33
	;; [unrolled: 1-line block ×4, first 2 shown]
	s_waitcnt lgkmcnt(7)
	v_fma_f16 v23, v45, v31, v23
	s_waitcnt lgkmcnt(6)
	v_fma_f16 v22, v46, v31, v22
	;; [unrolled: 2-line block ×4, first 2 shown]
	v_fma_f16 v18, v45, v33, v18
	v_fma_f16 v16, v46, v33, v16
	;; [unrolled: 1-line block ×12, first 2 shown]
	s_waitcnt lgkmcnt(3)
	v_fma_f16 v23, v49, v54, v23
	s_waitcnt lgkmcnt(2)
	v_fma_f16 v22, v50, v54, v22
	;; [unrolled: 2-line block ×4, first 2 shown]
	v_fma_f16 v18, v49, v55, v18
	v_fma_f16 v16, v50, v55, v16
	;; [unrolled: 1-line block ×12, first 2 shown]
	s_barrier
	s_cbranch_vccnz .LBB10_2
	s_branch .LBB10_4
.LBB10_3:
	v_mov_b32_e32 v23, 0
	v_mov_b32_e32 v22, 0
	;; [unrolled: 1-line block ×16, first 2 shown]
.LBB10_4:
	s_load_dwordx4 s[0:3], s[4:5], 0x78
	s_load_dword s9, s[4:5], 0x18
	s_load_dword s20, s[4:5], 0x50
	s_load_dwordx8 s[12:19], s[4:5], 0x58
	v_mov_b32_e32 v2, s11
	s_waitcnt lgkmcnt(0)
	s_mul_i32 s3, s8, s3
	s_mul_hi_u32 s4, s8, s2
	s_add_i32 s3, s4, s3
	s_mul_i32 s2, s8, s2
	v_add_co_u32_e32 v4, vcc, s10, v19
	s_lshl_b64 s[2:3], s[2:3], 1
	v_addc_co_u32_e32 v7, vcc, 0, v2, vcc
	s_add_u32 s4, s18, s2
	v_mov_b32_e32 v3, s7
	v_add_co_u32_e32 v2, vcc, s6, v17
	s_addc_u32 s5, s19, s3
	v_cmp_neq_f16_e64 s[2:3], s20, 0
	v_addc_co_u32_e32 v3, vcc, 0, v3, vcc
	s_and_b64 vcc, exec, s[2:3]
	v_mul_lo_u32 v5, v7, s0
	v_mul_lo_u32 v6, v4, s1
	v_lshlrev_b64 v[2:3], 1, v[2:3]
	s_cbranch_vccnz .LBB10_8
; %bb.5:
	v_mad_u64_u32 v[24:25], s[2:3], v4, s0, 0
	v_add3_u32 v25, v25, v6, v5
	v_lshlrev_b64 v[24:25], 1, v[24:25]
	v_mov_b32_e32 v17, s5
	v_add_co_u32_e32 v19, vcc, s4, v24
	v_addc_co_u32_e32 v17, vcc, v17, v25, vcc
	v_add_co_u32_e32 v24, vcc, v19, v2
	v_addc_co_u32_e32 v25, vcc, v17, v3, vcc
	v_mul_f16_e32 v17, s9, v22
	global_store_short v[24:25], v17, off offset:32
	v_mul_f16_e32 v17, s9, v21
	v_mul_f16_e32 v26, s9, v23
	global_store_short v[24:25], v17, off offset:64
	v_mul_f16_e32 v17, s9, v20
	s_lshl_b64 s[2:3], s[0:1], 5
	global_store_short v[24:25], v26, off
	global_store_short v[24:25], v17, off offset:96
	v_mov_b32_e32 v19, s3
	v_add_co_u32_e32 v24, vcc, s2, v24
	v_mul_f16_e32 v17, s9, v18
	v_addc_co_u32_e32 v25, vcc, v25, v19, vcc
	global_store_short v[24:25], v17, off
	v_mul_f16_e32 v17, s9, v16
	global_store_short v[24:25], v17, off offset:32
	v_mul_f16_e32 v17, s9, v15
	global_store_short v[24:25], v17, off offset:64
	v_mul_f16_e32 v17, s9, v14
	global_store_short v[24:25], v17, off offset:96
	v_add_co_u32_e32 v24, vcc, s2, v24
	v_mul_f16_e32 v17, s9, v13
	v_addc_co_u32_e32 v25, vcc, v25, v19, vcc
	global_store_short v[24:25], v17, off
	v_mul_f16_e32 v17, s9, v12
	global_store_short v[24:25], v17, off offset:32
	v_mul_f16_e32 v17, s9, v11
	global_store_short v[24:25], v17, off offset:64
	v_mul_f16_e32 v17, s9, v10
	global_store_short v[24:25], v17, off offset:96
	;; [unrolled: 10-line block ×3, first 2 shown]
	s_cbranch_execnz .LBB10_7
.LBB10_6:
	s_mul_i32 s2, s8, s17
	s_mul_hi_u32 s3, s8, s16
	s_add_i32 s3, s3, s2
	s_mul_i32 s2, s8, s16
	s_lshl_b64 s[2:3], s[2:3], 1
	s_add_u32 s6, s12, s2
	s_addc_u32 s7, s13, s3
	v_mul_lo_u32 v7, v7, s14
	v_mul_lo_u32 v17, v4, s15
	v_mad_u64_u32 v[24:25], s[2:3], v4, s14, 0
	v_add3_u32 v25, v25, v17, v7
	v_lshlrev_b64 v[24:25], 1, v[24:25]
	v_mov_b32_e32 v7, s7
	v_add_co_u32_e32 v17, vcc, s6, v24
	v_addc_co_u32_e32 v7, vcc, v7, v25, vcc
	v_add_co_u32_e32 v24, vcc, v17, v2
	v_addc_co_u32_e32 v25, vcc, v7, v3, vcc
	global_load_ushort v7, v[24:25], off
	v_mad_u64_u32 v[26:27], s[2:3], v4, s0, 0
	v_add3_u32 v27, v27, v6, v5
	v_lshlrev_b64 v[4:5], 1, v[26:27]
	v_mov_b32_e32 v17, s5
	v_add_co_u32_e32 v4, vcc, s4, v4
	v_addc_co_u32_e32 v5, vcc, v17, v5, vcc
	v_add_co_u32_e32 v2, vcc, v4, v2
	v_addc_co_u32_e32 v3, vcc, v5, v3, vcc
	s_lshl_b64 s[2:3], s[14:15], 5
	s_lshl_b64 s[0:1], s[0:1], 5
	v_mov_b32_e32 v17, s1
	s_waitcnt vmcnt(0)
	v_mul_f16_e32 v4, s20, v7
	v_fma_f16 v4, v23, s9, v4
	global_store_short v[2:3], v4, off
	global_load_ushort v4, v[24:25], off offset:32
	v_mov_b32_e32 v7, s3
	s_waitcnt vmcnt(0)
	v_mul_f16_e32 v4, s20, v4
	v_fma_f16 v4, v22, s9, v4
	global_store_short v[2:3], v4, off offset:32
	global_load_ushort v4, v[24:25], off offset:64
	s_waitcnt vmcnt(0)
	v_mul_f16_e32 v4, s20, v4
	v_fma_f16 v4, v21, s9, v4
	global_store_short v[2:3], v4, off offset:64
	global_load_ushort v6, v[24:25], off offset:96
	v_add_co_u32_e32 v4, vcc, s2, v24
	v_addc_co_u32_e32 v5, vcc, v25, v7, vcc
	s_waitcnt vmcnt(0)
	v_mul_f16_e32 v6, s20, v6
	v_fma_f16 v6, v20, s9, v6
	global_store_short v[2:3], v6, off offset:96
	global_load_ushort v6, v[4:5], off
	v_add_co_u32_e32 v2, vcc, s0, v2
	v_addc_co_u32_e32 v3, vcc, v3, v17, vcc
	s_waitcnt vmcnt(0)
	v_mul_f16_e32 v6, s20, v6
	v_fma_f16 v6, v18, s9, v6
	global_store_short v[2:3], v6, off
	global_load_ushort v6, v[4:5], off offset:32
	s_waitcnt vmcnt(0)
	v_mul_f16_e32 v6, s20, v6
	v_fma_f16 v6, v16, s9, v6
	global_store_short v[2:3], v6, off offset:32
	global_load_ushort v6, v[4:5], off offset:64
	s_waitcnt vmcnt(0)
	v_mul_f16_e32 v6, s20, v6
	v_fma_f16 v6, v15, s9, v6
	global_store_short v[2:3], v6, off offset:64
	global_load_ushort v6, v[4:5], off offset:96
	v_add_co_u32_e32 v4, vcc, s2, v4
	v_addc_co_u32_e32 v5, vcc, v5, v7, vcc
	s_waitcnt vmcnt(0)
	v_mul_f16_e32 v6, s20, v6
	v_fma_f16 v6, v14, s9, v6
	global_store_short v[2:3], v6, off offset:96
	global_load_ushort v6, v[4:5], off
	v_add_co_u32_e32 v2, vcc, s0, v2
	v_addc_co_u32_e32 v3, vcc, v3, v17, vcc
	s_waitcnt vmcnt(0)
	v_mul_f16_e32 v6, s20, v6
	v_fma_f16 v6, v13, s9, v6
	global_store_short v[2:3], v6, off
	global_load_ushort v6, v[4:5], off offset:32
	;; [unrolled: 24-line block ×3, first 2 shown]
	s_waitcnt vmcnt(0)
	v_mul_f16_e32 v6, s20, v6
	v_fma_f16 v6, v8, s9, v6
	global_store_short v[2:3], v6, off offset:32
	global_load_ushort v6, v[4:5], off offset:64
	s_waitcnt vmcnt(0)
	v_mul_f16_e32 v6, s20, v6
	v_fma_f16 v0, v0, s9, v6
	global_store_short v[2:3], v0, off offset:64
	global_load_ushort v0, v[4:5], off offset:96
	s_waitcnt vmcnt(0)
	v_mul_f16_e32 v0, s20, v0
	v_fma_f16 v0, v1, s9, v0
	global_store_short v[2:3], v0, off offset:96
.LBB10_7:
	s_endpgm
.LBB10_8:
	s_branch .LBB10_6
	.section	.rodata,"a",@progbits
	.p2align	6, 0x0
	.amdhsa_kernel _ZN12_GLOBAL__N_127rocblas_gemm_batched_kernelIDF16_Li16ELi16ELi64ELi64ELi4ELi64ELi4ELi4ELi64ELc84ELc67EKDF16_S1_DF16_EEvlllT_PT11_llS4_llS2_PT12_llPT13_lli
		.amdhsa_group_segment_fixed_size 1024
		.amdhsa_private_segment_fixed_size 0
		.amdhsa_kernarg_size 140
		.amdhsa_user_sgpr_count 6
		.amdhsa_user_sgpr_private_segment_buffer 1
		.amdhsa_user_sgpr_dispatch_ptr 0
		.amdhsa_user_sgpr_queue_ptr 0
		.amdhsa_user_sgpr_kernarg_segment_ptr 1
		.amdhsa_user_sgpr_dispatch_id 0
		.amdhsa_user_sgpr_flat_scratch_init 0
		.amdhsa_user_sgpr_kernarg_preload_length 0
		.amdhsa_user_sgpr_kernarg_preload_offset 0
		.amdhsa_user_sgpr_private_segment_size 0
		.amdhsa_uses_dynamic_stack 0
		.amdhsa_system_sgpr_private_segment_wavefront_offset 0
		.amdhsa_system_sgpr_workgroup_id_x 1
		.amdhsa_system_sgpr_workgroup_id_y 1
		.amdhsa_system_sgpr_workgroup_id_z 1
		.amdhsa_system_sgpr_workgroup_info 0
		.amdhsa_system_vgpr_workitem_id 1
		.amdhsa_next_free_vgpr 58
		.amdhsa_next_free_sgpr 24
		.amdhsa_accum_offset 60
		.amdhsa_reserve_vcc 1
		.amdhsa_reserve_flat_scratch 0
		.amdhsa_float_round_mode_32 0
		.amdhsa_float_round_mode_16_64 0
		.amdhsa_float_denorm_mode_32 3
		.amdhsa_float_denorm_mode_16_64 3
		.amdhsa_dx10_clamp 1
		.amdhsa_ieee_mode 1
		.amdhsa_fp16_overflow 0
		.amdhsa_tg_split 0
		.amdhsa_exception_fp_ieee_invalid_op 0
		.amdhsa_exception_fp_denorm_src 0
		.amdhsa_exception_fp_ieee_div_zero 0
		.amdhsa_exception_fp_ieee_overflow 0
		.amdhsa_exception_fp_ieee_underflow 0
		.amdhsa_exception_fp_ieee_inexact 0
		.amdhsa_exception_int_div_zero 0
	.end_amdhsa_kernel
	.section	.text._ZN12_GLOBAL__N_127rocblas_gemm_batched_kernelIDF16_Li16ELi16ELi64ELi64ELi4ELi64ELi4ELi4ELi64ELc84ELc67EKDF16_S1_DF16_EEvlllT_PT11_llS4_llS2_PT12_llPT13_lli,"axG",@progbits,_ZN12_GLOBAL__N_127rocblas_gemm_batched_kernelIDF16_Li16ELi16ELi64ELi64ELi4ELi64ELi4ELi4ELi64ELc84ELc67EKDF16_S1_DF16_EEvlllT_PT11_llS4_llS2_PT12_llPT13_lli,comdat
.Lfunc_end10:
	.size	_ZN12_GLOBAL__N_127rocblas_gemm_batched_kernelIDF16_Li16ELi16ELi64ELi64ELi4ELi64ELi4ELi4ELi64ELc84ELc67EKDF16_S1_DF16_EEvlllT_PT11_llS4_llS2_PT12_llPT13_lli, .Lfunc_end10-_ZN12_GLOBAL__N_127rocblas_gemm_batched_kernelIDF16_Li16ELi16ELi64ELi64ELi4ELi64ELi4ELi4ELi64ELc84ELc67EKDF16_S1_DF16_EEvlllT_PT11_llS4_llS2_PT12_llPT13_lli
                                        ; -- End function
	.section	.AMDGPU.csdata,"",@progbits
; Kernel info:
; codeLenInByte = 2456
; NumSgprs: 28
; NumVgprs: 58
; NumAgprs: 0
; TotalNumVgprs: 58
; ScratchSize: 0
; MemoryBound: 0
; FloatMode: 240
; IeeeMode: 1
; LDSByteSize: 1024 bytes/workgroup (compile time only)
; SGPRBlocks: 3
; VGPRBlocks: 7
; NumSGPRsForWavesPerEU: 28
; NumVGPRsForWavesPerEU: 58
; AccumOffset: 60
; Occupancy: 8
; WaveLimiterHint : 0
; COMPUTE_PGM_RSRC2:SCRATCH_EN: 0
; COMPUTE_PGM_RSRC2:USER_SGPR: 6
; COMPUTE_PGM_RSRC2:TRAP_HANDLER: 0
; COMPUTE_PGM_RSRC2:TGID_X_EN: 1
; COMPUTE_PGM_RSRC2:TGID_Y_EN: 1
; COMPUTE_PGM_RSRC2:TGID_Z_EN: 1
; COMPUTE_PGM_RSRC2:TIDIG_COMP_CNT: 1
; COMPUTE_PGM_RSRC3_GFX90A:ACCUM_OFFSET: 14
; COMPUTE_PGM_RSRC3_GFX90A:TG_SPLIT: 0
	.section	.text._ZN12_GLOBAL__N_127rocblas_gemm_batched_kernelIDF16_Li16ELi16ELi32ELi32ELi8ELi32ELi8ELi8ELi32ELc78ELc78EKDF16_S1_DF16_EEvlllT_PT11_llS4_llS2_PT12_llPT13_lli,"axG",@progbits,_ZN12_GLOBAL__N_127rocblas_gemm_batched_kernelIDF16_Li16ELi16ELi32ELi32ELi8ELi32ELi8ELi8ELi32ELc78ELc78EKDF16_S1_DF16_EEvlllT_PT11_llS4_llS2_PT12_llPT13_lli,comdat
	.globl	_ZN12_GLOBAL__N_127rocblas_gemm_batched_kernelIDF16_Li16ELi16ELi32ELi32ELi8ELi32ELi8ELi8ELi32ELc78ELc78EKDF16_S1_DF16_EEvlllT_PT11_llS4_llS2_PT12_llPT13_lli ; -- Begin function _ZN12_GLOBAL__N_127rocblas_gemm_batched_kernelIDF16_Li16ELi16ELi32ELi32ELi8ELi32ELi8ELi8ELi32ELc78ELc78EKDF16_S1_DF16_EEvlllT_PT11_llS4_llS2_PT12_llPT13_lli
	.p2align	8
	.type	_ZN12_GLOBAL__N_127rocblas_gemm_batched_kernelIDF16_Li16ELi16ELi32ELi32ELi8ELi32ELi8ELi8ELi32ELc78ELc78EKDF16_S1_DF16_EEvlllT_PT11_llS4_llS2_PT12_llPT13_lli,@function
_ZN12_GLOBAL__N_127rocblas_gemm_batched_kernelIDF16_Li16ELi16ELi32ELi32ELi8ELi32ELi8ELi8ELi32ELc78ELc78EKDF16_S1_DF16_EEvlllT_PT11_llS4_llS2_PT12_llPT13_lli: ; @_ZN12_GLOBAL__N_127rocblas_gemm_batched_kernelIDF16_Li16ELi16ELi32ELi32ELi8ELi32ELi8ELi8ELi32ELc78ELc78EKDF16_S1_DF16_EEvlllT_PT11_llS4_llS2_PT12_llPT13_lli
; %bb.0:
	s_load_dwordx2 s[20:21], s[4:5], 0x10
	s_mov_b32 s0, s7
	s_ashr_i32 s1, s0, 31
	s_ashr_i32 s7, s6, 31
	s_lshl_b64 s[10:11], s[0:1], 5
	s_waitcnt lgkmcnt(0)
	v_cmp_lt_i64_e64 s[0:1], s[20:21], 1
	v_bfe_u32 v9, v0, 10, 10
	v_and_b32_e32 v7, 0x3ff, v0
	s_lshl_b64 s[6:7], s[6:7], 5
	s_and_b64 vcc, exec, s[0:1]
	s_cbranch_vccnz .LBB11_3
; %bb.1:
	s_load_dwordx8 s[12:19], s[4:5], 0x20
	s_load_dwordx4 s[0:3], s[4:5], 0x40
	v_lshlrev_b32_e32 v0, 4, v9
	v_add_u32_e32 v1, v0, v7
	v_lshrrev_b32_e32 v2, 3, v1
	v_and_b32_e32 v5, 7, v7
	v_and_b32_e32 v6, 31, v1
	v_mov_b32_e32 v3, s11
	v_add_co_u32_e32 v4, vcc, s10, v2
	v_lshrrev_b32_e32 v8, 5, v1
	v_lshlrev_b32_e32 v1, 1, v6
	v_lshlrev_b32_e32 v5, 1, v5
	v_addc_co_u32_e32 v3, vcc, 0, v3, vcc
	v_lshl_or_b32 v12, v8, 6, v1
	v_lshl_or_b32 v1, v2, 4, v5
	v_add_u32_e32 v13, 0x200, v1
	v_add_u32_e32 v15, 0x200, v0
	s_waitcnt lgkmcnt(0)
	v_mul_lo_u32 v2, s1, v4
	v_mul_lo_u32 v3, s0, v3
	v_mad_u64_u32 v[0:1], s[0:1], s0, v4, 0
	s_mul_i32 s0, s3, s8
	s_mul_hi_u32 s1, s2, s8
	v_add3_u32 v1, v1, v3, v2
	s_add_i32 s1, s1, s0
	s_mul_i32 s0, s2, s8
	v_lshlrev_b64 v[0:1], 1, v[0:1]
	s_lshl_b64 s[0:1], s[0:1], 1
	v_mov_b32_e32 v2, s1
	v_add_co_u32_e32 v0, vcc, s0, v0
	v_addc_co_u32_e32 v1, vcc, v1, v2, vcc
	v_add_co_u32_e32 v0, vcc, v0, v5
	v_addc_co_u32_e32 v1, vcc, 0, v1, vcc
	v_mov_b32_e32 v2, s19
	v_add_co_u32_e32 v0, vcc, s18, v0
	v_addc_co_u32_e32 v1, vcc, v2, v1, vcc
	v_pk_mov_b32 v[2:3], s[6:7], s[6:7] op_sel:[0,1]
	v_mad_u64_u32 v[2:3], s[2:3], v8, s14, v[2:3]
	s_mul_i32 s0, s17, s8
	s_mul_hi_u32 s1, s16, s8
	v_mov_b32_e32 v4, v3
	s_add_i32 s1, s1, s0
	s_mul_i32 s0, s16, s8
	v_mad_u64_u32 v[4:5], s[2:3], v8, s15, v[4:5]
	s_lshl_b64 s[0:1], s[0:1], 1
	v_mov_b32_e32 v3, v4
	v_add_co_u32_e32 v2, vcc, v2, v6
	v_addc_co_u32_e32 v3, vcc, 0, v3, vcc
	s_add_u32 s0, s12, s0
	v_lshlrev_b64 v[2:3], 1, v[2:3]
	s_addc_u32 s1, s13, s1
	v_mov_b32_e32 v4, s1
	v_add_co_u32_e32 v2, vcc, s0, v2
	s_lshl_b64 s[0:1], s[14:15], 4
	v_lshlrev_b32_e32 v14, 1, v7
	v_addc_co_u32_e32 v3, vcc, v4, v3, vcc
	s_mov_b64 s[2:3], 0
	v_mov_b32_e32 v6, 0
	v_mov_b32_e32 v16, s1
	v_pk_mov_b32 v[4:5], s[20:21], s[20:21] op_sel:[0,1]
	v_mov_b32_e32 v8, 0
	v_mov_b32_e32 v10, 0
	;; [unrolled: 1-line block ×3, first 2 shown]
.LBB11_2:                               ; =>This Inner Loop Header: Depth=1
	global_load_ushort v17, v[2:3], off
	global_load_ushort v18, v[0:1], off
	v_add_co_u32_e32 v0, vcc, 16, v0
	v_addc_co_u32_e32 v1, vcc, 0, v1, vcc
	s_add_u32 s2, s2, 8
	v_add_co_u32_e32 v2, vcc, s0, v2
	v_addc_co_u32_e32 v3, vcc, v3, v16, vcc
	s_addc_u32 s3, s3, 0
	v_cmp_lt_i64_e32 vcc, s[2:3], v[4:5]
	s_and_b64 vcc, exec, vcc
	s_waitcnt vmcnt(1)
	ds_write_b16 v12, v17
	s_waitcnt vmcnt(0)
	ds_write_b16 v13, v18
	s_waitcnt lgkmcnt(0)
	s_barrier
	ds_read_b128 v[18:21], v15
	ds_read_b128 v[22:25], v15 offset:256
	ds_read_u16 v17, v14
	ds_read_u16 v26, v14 offset:32
	ds_read_u16 v27, v14 offset:64
	;; [unrolled: 1-line block ×15, first 2 shown]
	s_waitcnt lgkmcnt(14)
	v_lshrrev_b32_e32 v41, 16, v18
	v_fma_f16 v11, v17, v18, v11
	v_fma_f16 v10, v26, v18, v10
	v_lshrrev_b32_e32 v18, 16, v22
	v_fma_f16 v8, v17, v22, v8
	v_fma_f16 v6, v26, v22, v6
	s_waitcnt lgkmcnt(13)
	v_fma_f16 v11, v27, v41, v11
	s_waitcnt lgkmcnt(12)
	v_fma_f16 v10, v28, v41, v10
	v_fma_f16 v8, v27, v18, v8
	v_fma_f16 v6, v28, v18, v6
	v_lshrrev_b32_e32 v42, 16, v19
	v_lshrrev_b32_e32 v45, 16, v23
	s_waitcnt lgkmcnt(11)
	v_fma_f16 v11, v29, v19, v11
	s_waitcnt lgkmcnt(10)
	v_fma_f16 v10, v30, v19, v10
	v_fma_f16 v8, v29, v23, v8
	v_fma_f16 v6, v30, v23, v6
	s_waitcnt lgkmcnt(9)
	v_fma_f16 v11, v31, v42, v11
	s_waitcnt lgkmcnt(8)
	v_fma_f16 v10, v32, v42, v10
	v_fma_f16 v8, v31, v45, v8
	v_fma_f16 v6, v32, v45, v6
	v_lshrrev_b32_e32 v43, 16, v20
	v_lshrrev_b32_e32 v46, 16, v24
	s_waitcnt lgkmcnt(7)
	v_fma_f16 v11, v33, v20, v11
	s_waitcnt lgkmcnt(6)
	v_fma_f16 v10, v34, v20, v10
	;; [unrolled: 14-line block ×3, first 2 shown]
	v_fma_f16 v8, v37, v25, v8
	v_fma_f16 v6, v38, v25, v6
	s_waitcnt lgkmcnt(1)
	v_fma_f16 v11, v39, v44, v11
	s_waitcnt lgkmcnt(0)
	v_fma_f16 v10, v40, v44, v10
	v_fma_f16 v8, v39, v47, v8
	;; [unrolled: 1-line block ×3, first 2 shown]
	s_barrier
	s_cbranch_vccnz .LBB11_2
	s_branch .LBB11_4
.LBB11_3:
	v_mov_b32_e32 v11, 0
	v_mov_b32_e32 v10, 0
	;; [unrolled: 1-line block ×4, first 2 shown]
.LBB11_4:
	s_load_dwordx4 s[0:3], s[4:5], 0x78
	s_load_dword s9, s[4:5], 0x18
	s_load_dword s20, s[4:5], 0x50
	s_load_dwordx8 s[12:19], s[4:5], 0x58
	v_mov_b32_e32 v0, s11
	s_waitcnt lgkmcnt(0)
	s_mul_i32 s3, s8, s3
	s_mul_hi_u32 s4, s8, s2
	s_add_i32 s3, s4, s3
	s_mul_i32 s2, s8, s2
	v_add_co_u32_e32 v2, vcc, s10, v9
	s_lshl_b64 s[2:3], s[2:3], 1
	v_addc_co_u32_e32 v5, vcc, 0, v0, vcc
	s_add_u32 s4, s18, s2
	v_mov_b32_e32 v1, s7
	v_add_co_u32_e32 v0, vcc, s6, v7
	s_addc_u32 s5, s19, s3
	v_cmp_neq_f16_e64 s[2:3], s20, 0
	v_addc_co_u32_e32 v1, vcc, 0, v1, vcc
	s_and_b64 vcc, exec, s[2:3]
	v_mul_lo_u32 v3, v5, s0
	v_mul_lo_u32 v4, v2, s1
	v_lshlrev_b64 v[0:1], 1, v[0:1]
	s_cbranch_vccnz .LBB11_8
; %bb.5:
	v_mad_u64_u32 v[12:13], s[2:3], v2, s0, 0
	v_add3_u32 v13, v13, v4, v3
	v_lshlrev_b64 v[12:13], 1, v[12:13]
	v_mov_b32_e32 v7, s5
	v_add_co_u32_e32 v9, vcc, s4, v12
	v_addc_co_u32_e32 v7, vcc, v7, v13, vcc
	v_add_co_u32_e32 v12, vcc, v9, v0
	v_mul_f16_e32 v14, s9, v11
	v_addc_co_u32_e32 v13, vcc, v7, v1, vcc
	v_mul_f16_e32 v7, s9, v10
	s_lshl_b64 s[2:3], s[0:1], 5
	global_store_short v[12:13], v14, off
	global_store_short v[12:13], v7, off offset:32
	v_mov_b32_e32 v9, s3
	v_add_co_u32_e32 v12, vcc, s2, v12
	v_mul_f16_e32 v7, s9, v8
	v_addc_co_u32_e32 v13, vcc, v13, v9, vcc
	global_store_short v[12:13], v7, off
	v_mul_f16_e32 v7, s9, v6
	global_store_short v[12:13], v7, off offset:32
	s_cbranch_execnz .LBB11_7
.LBB11_6:
	s_mul_i32 s2, s8, s17
	s_mul_hi_u32 s3, s8, s16
	s_add_i32 s3, s3, s2
	s_mul_i32 s2, s8, s16
	s_lshl_b64 s[2:3], s[2:3], 1
	s_add_u32 s6, s12, s2
	s_addc_u32 s7, s13, s3
	v_mul_lo_u32 v5, v5, s14
	v_mul_lo_u32 v7, v2, s15
	v_mad_u64_u32 v[12:13], s[2:3], v2, s14, 0
	v_add3_u32 v13, v13, v7, v5
	v_lshlrev_b64 v[12:13], 1, v[12:13]
	v_mov_b32_e32 v5, s7
	v_add_co_u32_e32 v7, vcc, s6, v12
	v_addc_co_u32_e32 v5, vcc, v5, v13, vcc
	v_add_co_u32_e32 v12, vcc, v7, v0
	v_addc_co_u32_e32 v13, vcc, v5, v1, vcc
	global_load_ushort v5, v[12:13], off
	v_mad_u64_u32 v[14:15], s[2:3], v2, s0, 0
	v_add3_u32 v15, v15, v4, v3
	v_lshlrev_b64 v[2:3], 1, v[14:15]
	v_mov_b32_e32 v7, s5
	v_add_co_u32_e32 v2, vcc, s4, v2
	v_addc_co_u32_e32 v3, vcc, v7, v3, vcc
	v_add_co_u32_e32 v0, vcc, v2, v0
	v_addc_co_u32_e32 v1, vcc, v3, v1, vcc
	s_lshl_b64 s[2:3], s[14:15], 5
	v_mov_b32_e32 v3, s3
	s_lshl_b64 s[0:1], s[0:1], 5
	s_waitcnt vmcnt(0)
	v_mul_f16_e32 v2, s20, v5
	v_fma_f16 v2, v11, s9, v2
	global_store_short v[0:1], v2, off
	global_load_ushort v4, v[12:13], off offset:32
	v_add_co_u32_e32 v2, vcc, s2, v12
	v_addc_co_u32_e32 v3, vcc, v13, v3, vcc
	v_mov_b32_e32 v5, s1
	s_waitcnt vmcnt(0)
	v_mul_f16_e32 v4, s20, v4
	v_fma_f16 v4, v10, s9, v4
	global_store_short v[0:1], v4, off offset:32
	global_load_ushort v4, v[2:3], off
	v_add_co_u32_e32 v0, vcc, s0, v0
	v_addc_co_u32_e32 v1, vcc, v1, v5, vcc
	s_waitcnt vmcnt(0)
	v_mul_f16_e32 v4, s20, v4
	v_fma_f16 v4, v8, s9, v4
	global_store_short v[0:1], v4, off
	global_load_ushort v2, v[2:3], off offset:32
	s_waitcnt vmcnt(0)
	v_mul_f16_e32 v2, s20, v2
	v_fma_f16 v2, v6, s9, v2
	global_store_short v[0:1], v2, off offset:32
.LBB11_7:
	s_endpgm
.LBB11_8:
	s_branch .LBB11_6
	.section	.rodata,"a",@progbits
	.p2align	6, 0x0
	.amdhsa_kernel _ZN12_GLOBAL__N_127rocblas_gemm_batched_kernelIDF16_Li16ELi16ELi32ELi32ELi8ELi32ELi8ELi8ELi32ELc78ELc78EKDF16_S1_DF16_EEvlllT_PT11_llS4_llS2_PT12_llPT13_lli
		.amdhsa_group_segment_fixed_size 1024
		.amdhsa_private_segment_fixed_size 0
		.amdhsa_kernarg_size 140
		.amdhsa_user_sgpr_count 6
		.amdhsa_user_sgpr_private_segment_buffer 1
		.amdhsa_user_sgpr_dispatch_ptr 0
		.amdhsa_user_sgpr_queue_ptr 0
		.amdhsa_user_sgpr_kernarg_segment_ptr 1
		.amdhsa_user_sgpr_dispatch_id 0
		.amdhsa_user_sgpr_flat_scratch_init 0
		.amdhsa_user_sgpr_kernarg_preload_length 0
		.amdhsa_user_sgpr_kernarg_preload_offset 0
		.amdhsa_user_sgpr_private_segment_size 0
		.amdhsa_uses_dynamic_stack 0
		.amdhsa_system_sgpr_private_segment_wavefront_offset 0
		.amdhsa_system_sgpr_workgroup_id_x 1
		.amdhsa_system_sgpr_workgroup_id_y 1
		.amdhsa_system_sgpr_workgroup_id_z 1
		.amdhsa_system_sgpr_workgroup_info 0
		.amdhsa_system_vgpr_workitem_id 1
		.amdhsa_next_free_vgpr 48
		.amdhsa_next_free_sgpr 22
		.amdhsa_accum_offset 48
		.amdhsa_reserve_vcc 1
		.amdhsa_reserve_flat_scratch 0
		.amdhsa_float_round_mode_32 0
		.amdhsa_float_round_mode_16_64 0
		.amdhsa_float_denorm_mode_32 3
		.amdhsa_float_denorm_mode_16_64 3
		.amdhsa_dx10_clamp 1
		.amdhsa_ieee_mode 1
		.amdhsa_fp16_overflow 0
		.amdhsa_tg_split 0
		.amdhsa_exception_fp_ieee_invalid_op 0
		.amdhsa_exception_fp_denorm_src 0
		.amdhsa_exception_fp_ieee_div_zero 0
		.amdhsa_exception_fp_ieee_overflow 0
		.amdhsa_exception_fp_ieee_underflow 0
		.amdhsa_exception_fp_ieee_inexact 0
		.amdhsa_exception_int_div_zero 0
	.end_amdhsa_kernel
	.section	.text._ZN12_GLOBAL__N_127rocblas_gemm_batched_kernelIDF16_Li16ELi16ELi32ELi32ELi8ELi32ELi8ELi8ELi32ELc78ELc78EKDF16_S1_DF16_EEvlllT_PT11_llS4_llS2_PT12_llPT13_lli,"axG",@progbits,_ZN12_GLOBAL__N_127rocblas_gemm_batched_kernelIDF16_Li16ELi16ELi32ELi32ELi8ELi32ELi8ELi8ELi32ELc78ELc78EKDF16_S1_DF16_EEvlllT_PT11_llS4_llS2_PT12_llPT13_lli,comdat
.Lfunc_end11:
	.size	_ZN12_GLOBAL__N_127rocblas_gemm_batched_kernelIDF16_Li16ELi16ELi32ELi32ELi8ELi32ELi8ELi8ELi32ELc78ELc78EKDF16_S1_DF16_EEvlllT_PT11_llS4_llS2_PT12_llPT13_lli, .Lfunc_end11-_ZN12_GLOBAL__N_127rocblas_gemm_batched_kernelIDF16_Li16ELi16ELi32ELi32ELi8ELi32ELi8ELi8ELi32ELc78ELc78EKDF16_S1_DF16_EEvlllT_PT11_llS4_llS2_PT12_llPT13_lli
                                        ; -- End function
	.section	.AMDGPU.csdata,"",@progbits
; Kernel info:
; codeLenInByte = 1520
; NumSgprs: 26
; NumVgprs: 48
; NumAgprs: 0
; TotalNumVgprs: 48
; ScratchSize: 0
; MemoryBound: 0
; FloatMode: 240
; IeeeMode: 1
; LDSByteSize: 1024 bytes/workgroup (compile time only)
; SGPRBlocks: 3
; VGPRBlocks: 5
; NumSGPRsForWavesPerEU: 26
; NumVGPRsForWavesPerEU: 48
; AccumOffset: 48
; Occupancy: 8
; WaveLimiterHint : 0
; COMPUTE_PGM_RSRC2:SCRATCH_EN: 0
; COMPUTE_PGM_RSRC2:USER_SGPR: 6
; COMPUTE_PGM_RSRC2:TRAP_HANDLER: 0
; COMPUTE_PGM_RSRC2:TGID_X_EN: 1
; COMPUTE_PGM_RSRC2:TGID_Y_EN: 1
; COMPUTE_PGM_RSRC2:TGID_Z_EN: 1
; COMPUTE_PGM_RSRC2:TIDIG_COMP_CNT: 1
; COMPUTE_PGM_RSRC3_GFX90A:ACCUM_OFFSET: 11
; COMPUTE_PGM_RSRC3_GFX90A:TG_SPLIT: 0
	.section	.text._ZN12_GLOBAL__N_127rocblas_gemm_batched_kernelIDF16_Li16ELi16ELi32ELi32ELi8ELi32ELi8ELi8ELi32ELc84ELc78EKDF16_S1_DF16_EEvlllT_PT11_llS4_llS2_PT12_llPT13_lli,"axG",@progbits,_ZN12_GLOBAL__N_127rocblas_gemm_batched_kernelIDF16_Li16ELi16ELi32ELi32ELi8ELi32ELi8ELi8ELi32ELc84ELc78EKDF16_S1_DF16_EEvlllT_PT11_llS4_llS2_PT12_llPT13_lli,comdat
	.globl	_ZN12_GLOBAL__N_127rocblas_gemm_batched_kernelIDF16_Li16ELi16ELi32ELi32ELi8ELi32ELi8ELi8ELi32ELc84ELc78EKDF16_S1_DF16_EEvlllT_PT11_llS4_llS2_PT12_llPT13_lli ; -- Begin function _ZN12_GLOBAL__N_127rocblas_gemm_batched_kernelIDF16_Li16ELi16ELi32ELi32ELi8ELi32ELi8ELi8ELi32ELc84ELc78EKDF16_S1_DF16_EEvlllT_PT11_llS4_llS2_PT12_llPT13_lli
	.p2align	8
	.type	_ZN12_GLOBAL__N_127rocblas_gemm_batched_kernelIDF16_Li16ELi16ELi32ELi32ELi8ELi32ELi8ELi8ELi32ELc84ELc78EKDF16_S1_DF16_EEvlllT_PT11_llS4_llS2_PT12_llPT13_lli,@function
_ZN12_GLOBAL__N_127rocblas_gemm_batched_kernelIDF16_Li16ELi16ELi32ELi32ELi8ELi32ELi8ELi8ELi32ELc84ELc78EKDF16_S1_DF16_EEvlllT_PT11_llS4_llS2_PT12_llPT13_lli: ; @_ZN12_GLOBAL__N_127rocblas_gemm_batched_kernelIDF16_Li16ELi16ELi32ELi32ELi8ELi32ELi8ELi8ELi32ELc84ELc78EKDF16_S1_DF16_EEvlllT_PT11_llS4_llS2_PT12_llPT13_lli
; %bb.0:
	s_load_dwordx2 s[2:3], s[4:5], 0x10
	s_mov_b32 s0, s7
	s_ashr_i32 s1, s0, 31
	s_ashr_i32 s7, s6, 31
	s_lshl_b64 s[10:11], s[0:1], 5
	s_waitcnt lgkmcnt(0)
	v_cmp_lt_i64_e64 s[0:1], s[2:3], 1
	v_bfe_u32 v9, v0, 10, 10
	v_and_b32_e32 v7, 0x3ff, v0
	s_lshl_b64 s[6:7], s[6:7], 5
	s_and_b64 vcc, exec, s[0:1]
	s_cbranch_vccnz .LBB12_3
; %bb.1:
	s_load_dwordx8 s[12:19], s[4:5], 0x20
	s_load_dwordx4 s[20:23], s[4:5], 0x40
	v_lshlrev_b32_e32 v0, 4, v9
	v_add_u32_e32 v1, v0, v7
	v_and_b32_e32 v5, 7, v7
	v_and_b32_e32 v6, 31, v1
	v_lshrrev_b32_e32 v2, 3, v1
	v_lshrrev_b32_e32 v8, 5, v1
	v_lshlrev_b32_e32 v1, 1, v6
	v_lshlrev_b32_e32 v5, 1, v5
	v_mov_b32_e32 v3, s11
	v_add_co_u32_e32 v4, vcc, s10, v2
	v_lshl_or_b32 v12, v8, 6, v1
	v_lshl_or_b32 v1, v2, 4, v5
	v_addc_co_u32_e32 v3, vcc, 0, v3, vcc
	v_add_u32_e32 v13, 0x200, v1
	v_add_u32_e32 v15, 0x200, v0
	s_waitcnt lgkmcnt(0)
	v_mad_u64_u32 v[0:1], s[0:1], s20, v4, 0
	v_mul_lo_u32 v2, s21, v4
	v_mul_lo_u32 v3, s20, v3
	s_mul_i32 s0, s23, s8
	s_mul_hi_u32 s1, s22, s8
	v_add3_u32 v1, v1, v3, v2
	s_add_i32 s1, s1, s0
	s_mul_i32 s0, s22, s8
	v_lshlrev_b64 v[0:1], 1, v[0:1]
	s_lshl_b64 s[0:1], s[0:1], 1
	v_mov_b32_e32 v2, s1
	v_add_co_u32_e32 v0, vcc, s0, v0
	v_addc_co_u32_e32 v1, vcc, v1, v2, vcc
	v_add_co_u32_e32 v0, vcc, v0, v5
	v_addc_co_u32_e32 v1, vcc, 0, v1, vcc
	v_mov_b32_e32 v2, s19
	v_add_co_u32_e32 v0, vcc, s18, v0
	v_addc_co_u32_e32 v1, vcc, v2, v1, vcc
	v_mov_b32_e32 v2, s7
	v_add_co_u32_e32 v3, vcc, s6, v6
	v_addc_co_u32_e32 v2, vcc, 0, v2, vcc
	v_mul_lo_u32 v4, s15, v3
	v_mul_lo_u32 v5, s14, v2
	v_mad_u64_u32 v[2:3], s[0:1], s14, v3, 0
	s_mul_i32 s0, s17, s8
	s_mul_hi_u32 s1, s16, s8
	v_add3_u32 v3, v3, v5, v4
	s_add_i32 s1, s1, s0
	s_mul_i32 s0, s16, s8
	v_lshlrev_b64 v[2:3], 1, v[2:3]
	s_lshl_b64 s[0:1], s[0:1], 1
	v_mov_b32_e32 v4, s1
	v_add_co_u32_e32 v2, vcc, s0, v2
	v_addc_co_u32_e32 v3, vcc, v3, v4, vcc
	v_lshlrev_b32_e32 v4, 1, v8
	v_add_co_u32_e32 v2, vcc, v2, v4
	v_addc_co_u32_e32 v3, vcc, 0, v3, vcc
	v_mov_b32_e32 v4, s13
	v_add_co_u32_e32 v2, vcc, s12, v2
	v_lshlrev_b32_e32 v14, 1, v7
	v_addc_co_u32_e32 v3, vcc, v4, v3, vcc
	s_mov_b64 s[0:1], 0
	v_mov_b32_e32 v6, 0
	v_pk_mov_b32 v[4:5], s[2:3], s[2:3] op_sel:[0,1]
	v_mov_b32_e32 v8, 0
	v_mov_b32_e32 v10, 0
	;; [unrolled: 1-line block ×3, first 2 shown]
.LBB12_2:                               ; =>This Inner Loop Header: Depth=1
	global_load_ushort v16, v[2:3], off
	global_load_ushort v17, v[0:1], off
	v_add_co_u32_e32 v0, vcc, 16, v0
	v_addc_co_u32_e32 v1, vcc, 0, v1, vcc
	s_add_u32 s0, s0, 8
	v_add_co_u32_e32 v2, vcc, 16, v2
	v_addc_co_u32_e32 v3, vcc, 0, v3, vcc
	s_addc_u32 s1, s1, 0
	v_cmp_lt_i64_e32 vcc, s[0:1], v[4:5]
	s_and_b64 vcc, exec, vcc
	s_waitcnt vmcnt(1)
	ds_write_b16 v12, v16
	s_waitcnt vmcnt(0)
	ds_write_b16 v13, v17
	s_waitcnt lgkmcnt(0)
	s_barrier
	ds_read_b128 v[16:19], v15
	ds_read_b128 v[20:23], v15 offset:256
	ds_read_u16 v24, v14
	ds_read_u16 v25, v14 offset:32
	ds_read_u16 v26, v14 offset:64
	;; [unrolled: 1-line block ×15, first 2 shown]
	s_waitcnt lgkmcnt(14)
	v_lshrrev_b32_e32 v40, 16, v16
	v_fma_f16 v11, v24, v16, v11
	v_fma_f16 v10, v25, v16, v10
	v_lshrrev_b32_e32 v16, 16, v20
	v_fma_f16 v8, v24, v20, v8
	v_fma_f16 v6, v25, v20, v6
	s_waitcnt lgkmcnt(13)
	v_fma_f16 v11, v26, v40, v11
	s_waitcnt lgkmcnt(12)
	v_fma_f16 v10, v27, v40, v10
	v_fma_f16 v8, v26, v16, v8
	v_fma_f16 v6, v27, v16, v6
	v_lshrrev_b32_e32 v41, 16, v17
	v_lshrrev_b32_e32 v44, 16, v21
	s_waitcnt lgkmcnt(11)
	v_fma_f16 v11, v28, v17, v11
	s_waitcnt lgkmcnt(10)
	v_fma_f16 v10, v29, v17, v10
	v_fma_f16 v8, v28, v21, v8
	v_fma_f16 v6, v29, v21, v6
	s_waitcnt lgkmcnt(9)
	v_fma_f16 v11, v30, v41, v11
	s_waitcnt lgkmcnt(8)
	v_fma_f16 v10, v31, v41, v10
	v_fma_f16 v8, v30, v44, v8
	v_fma_f16 v6, v31, v44, v6
	v_lshrrev_b32_e32 v42, 16, v18
	v_lshrrev_b32_e32 v45, 16, v22
	s_waitcnt lgkmcnt(7)
	v_fma_f16 v11, v32, v18, v11
	s_waitcnt lgkmcnt(6)
	v_fma_f16 v10, v33, v18, v10
	;; [unrolled: 14-line block ×3, first 2 shown]
	v_fma_f16 v8, v36, v23, v8
	v_fma_f16 v6, v37, v23, v6
	s_waitcnt lgkmcnt(1)
	v_fma_f16 v11, v38, v43, v11
	s_waitcnt lgkmcnt(0)
	v_fma_f16 v10, v39, v43, v10
	v_fma_f16 v8, v38, v46, v8
	;; [unrolled: 1-line block ×3, first 2 shown]
	s_barrier
	s_cbranch_vccnz .LBB12_2
	s_branch .LBB12_4
.LBB12_3:
	v_mov_b32_e32 v11, 0
	v_mov_b32_e32 v10, 0
	;; [unrolled: 1-line block ×4, first 2 shown]
.LBB12_4:
	s_load_dwordx4 s[0:3], s[4:5], 0x78
	s_load_dword s9, s[4:5], 0x18
	s_load_dword s20, s[4:5], 0x50
	s_load_dwordx8 s[12:19], s[4:5], 0x58
	v_mov_b32_e32 v0, s11
	s_waitcnt lgkmcnt(0)
	s_mul_i32 s3, s8, s3
	s_mul_hi_u32 s4, s8, s2
	s_add_i32 s3, s4, s3
	s_mul_i32 s2, s8, s2
	v_add_co_u32_e32 v2, vcc, s10, v9
	s_lshl_b64 s[2:3], s[2:3], 1
	v_addc_co_u32_e32 v5, vcc, 0, v0, vcc
	s_add_u32 s4, s18, s2
	v_mov_b32_e32 v1, s7
	v_add_co_u32_e32 v0, vcc, s6, v7
	s_addc_u32 s5, s19, s3
	v_cmp_neq_f16_e64 s[2:3], s20, 0
	v_addc_co_u32_e32 v1, vcc, 0, v1, vcc
	s_and_b64 vcc, exec, s[2:3]
	v_mul_lo_u32 v3, v5, s0
	v_mul_lo_u32 v4, v2, s1
	v_lshlrev_b64 v[0:1], 1, v[0:1]
	s_cbranch_vccnz .LBB12_8
; %bb.5:
	v_mad_u64_u32 v[12:13], s[2:3], v2, s0, 0
	v_add3_u32 v13, v13, v4, v3
	v_lshlrev_b64 v[12:13], 1, v[12:13]
	v_mov_b32_e32 v7, s5
	v_add_co_u32_e32 v9, vcc, s4, v12
	v_addc_co_u32_e32 v7, vcc, v7, v13, vcc
	v_add_co_u32_e32 v12, vcc, v9, v0
	v_mul_f16_e32 v14, s9, v11
	v_addc_co_u32_e32 v13, vcc, v7, v1, vcc
	v_mul_f16_e32 v7, s9, v10
	s_lshl_b64 s[2:3], s[0:1], 5
	global_store_short v[12:13], v14, off
	global_store_short v[12:13], v7, off offset:32
	v_mov_b32_e32 v9, s3
	v_add_co_u32_e32 v12, vcc, s2, v12
	v_mul_f16_e32 v7, s9, v8
	v_addc_co_u32_e32 v13, vcc, v13, v9, vcc
	global_store_short v[12:13], v7, off
	v_mul_f16_e32 v7, s9, v6
	global_store_short v[12:13], v7, off offset:32
	s_cbranch_execnz .LBB12_7
.LBB12_6:
	s_mul_i32 s2, s8, s17
	s_mul_hi_u32 s3, s8, s16
	s_add_i32 s3, s3, s2
	s_mul_i32 s2, s8, s16
	s_lshl_b64 s[2:3], s[2:3], 1
	s_add_u32 s6, s12, s2
	s_addc_u32 s7, s13, s3
	v_mul_lo_u32 v5, v5, s14
	v_mul_lo_u32 v7, v2, s15
	v_mad_u64_u32 v[12:13], s[2:3], v2, s14, 0
	v_add3_u32 v13, v13, v7, v5
	v_lshlrev_b64 v[12:13], 1, v[12:13]
	v_mov_b32_e32 v5, s7
	v_add_co_u32_e32 v7, vcc, s6, v12
	v_addc_co_u32_e32 v5, vcc, v5, v13, vcc
	v_add_co_u32_e32 v12, vcc, v7, v0
	v_addc_co_u32_e32 v13, vcc, v5, v1, vcc
	global_load_ushort v5, v[12:13], off
	v_mad_u64_u32 v[14:15], s[2:3], v2, s0, 0
	v_add3_u32 v15, v15, v4, v3
	v_lshlrev_b64 v[2:3], 1, v[14:15]
	v_mov_b32_e32 v7, s5
	v_add_co_u32_e32 v2, vcc, s4, v2
	v_addc_co_u32_e32 v3, vcc, v7, v3, vcc
	v_add_co_u32_e32 v0, vcc, v2, v0
	v_addc_co_u32_e32 v1, vcc, v3, v1, vcc
	s_lshl_b64 s[2:3], s[14:15], 5
	v_mov_b32_e32 v3, s3
	s_lshl_b64 s[0:1], s[0:1], 5
	s_waitcnt vmcnt(0)
	v_mul_f16_e32 v2, s20, v5
	v_fma_f16 v2, v11, s9, v2
	global_store_short v[0:1], v2, off
	global_load_ushort v4, v[12:13], off offset:32
	v_add_co_u32_e32 v2, vcc, s2, v12
	v_addc_co_u32_e32 v3, vcc, v13, v3, vcc
	v_mov_b32_e32 v5, s1
	s_waitcnt vmcnt(0)
	v_mul_f16_e32 v4, s20, v4
	v_fma_f16 v4, v10, s9, v4
	global_store_short v[0:1], v4, off offset:32
	global_load_ushort v4, v[2:3], off
	v_add_co_u32_e32 v0, vcc, s0, v0
	v_addc_co_u32_e32 v1, vcc, v1, v5, vcc
	s_waitcnt vmcnt(0)
	v_mul_f16_e32 v4, s20, v4
	v_fma_f16 v4, v8, s9, v4
	global_store_short v[0:1], v4, off
	global_load_ushort v2, v[2:3], off offset:32
	s_waitcnt vmcnt(0)
	v_mul_f16_e32 v2, s20, v2
	v_fma_f16 v2, v6, s9, v2
	global_store_short v[0:1], v2, off offset:32
.LBB12_7:
	s_endpgm
.LBB12_8:
	s_branch .LBB12_6
	.section	.rodata,"a",@progbits
	.p2align	6, 0x0
	.amdhsa_kernel _ZN12_GLOBAL__N_127rocblas_gemm_batched_kernelIDF16_Li16ELi16ELi32ELi32ELi8ELi32ELi8ELi8ELi32ELc84ELc78EKDF16_S1_DF16_EEvlllT_PT11_llS4_llS2_PT12_llPT13_lli
		.amdhsa_group_segment_fixed_size 1024
		.amdhsa_private_segment_fixed_size 0
		.amdhsa_kernarg_size 140
		.amdhsa_user_sgpr_count 6
		.amdhsa_user_sgpr_private_segment_buffer 1
		.amdhsa_user_sgpr_dispatch_ptr 0
		.amdhsa_user_sgpr_queue_ptr 0
		.amdhsa_user_sgpr_kernarg_segment_ptr 1
		.amdhsa_user_sgpr_dispatch_id 0
		.amdhsa_user_sgpr_flat_scratch_init 0
		.amdhsa_user_sgpr_kernarg_preload_length 0
		.amdhsa_user_sgpr_kernarg_preload_offset 0
		.amdhsa_user_sgpr_private_segment_size 0
		.amdhsa_uses_dynamic_stack 0
		.amdhsa_system_sgpr_private_segment_wavefront_offset 0
		.amdhsa_system_sgpr_workgroup_id_x 1
		.amdhsa_system_sgpr_workgroup_id_y 1
		.amdhsa_system_sgpr_workgroup_id_z 1
		.amdhsa_system_sgpr_workgroup_info 0
		.amdhsa_system_vgpr_workitem_id 1
		.amdhsa_next_free_vgpr 47
		.amdhsa_next_free_sgpr 24
		.amdhsa_accum_offset 48
		.amdhsa_reserve_vcc 1
		.amdhsa_reserve_flat_scratch 0
		.amdhsa_float_round_mode_32 0
		.amdhsa_float_round_mode_16_64 0
		.amdhsa_float_denorm_mode_32 3
		.amdhsa_float_denorm_mode_16_64 3
		.amdhsa_dx10_clamp 1
		.amdhsa_ieee_mode 1
		.amdhsa_fp16_overflow 0
		.amdhsa_tg_split 0
		.amdhsa_exception_fp_ieee_invalid_op 0
		.amdhsa_exception_fp_denorm_src 0
		.amdhsa_exception_fp_ieee_div_zero 0
		.amdhsa_exception_fp_ieee_overflow 0
		.amdhsa_exception_fp_ieee_underflow 0
		.amdhsa_exception_fp_ieee_inexact 0
		.amdhsa_exception_int_div_zero 0
	.end_amdhsa_kernel
	.section	.text._ZN12_GLOBAL__N_127rocblas_gemm_batched_kernelIDF16_Li16ELi16ELi32ELi32ELi8ELi32ELi8ELi8ELi32ELc84ELc78EKDF16_S1_DF16_EEvlllT_PT11_llS4_llS2_PT12_llPT13_lli,"axG",@progbits,_ZN12_GLOBAL__N_127rocblas_gemm_batched_kernelIDF16_Li16ELi16ELi32ELi32ELi8ELi32ELi8ELi8ELi32ELc84ELc78EKDF16_S1_DF16_EEvlllT_PT11_llS4_llS2_PT12_llPT13_lli,comdat
.Lfunc_end12:
	.size	_ZN12_GLOBAL__N_127rocblas_gemm_batched_kernelIDF16_Li16ELi16ELi32ELi32ELi8ELi32ELi8ELi8ELi32ELc84ELc78EKDF16_S1_DF16_EEvlllT_PT11_llS4_llS2_PT12_llPT13_lli, .Lfunc_end12-_ZN12_GLOBAL__N_127rocblas_gemm_batched_kernelIDF16_Li16ELi16ELi32ELi32ELi8ELi32ELi8ELi8ELi32ELc84ELc78EKDF16_S1_DF16_EEvlllT_PT11_llS4_llS2_PT12_llPT13_lli
                                        ; -- End function
	.section	.AMDGPU.csdata,"",@progbits
; Kernel info:
; codeLenInByte = 1532
; NumSgprs: 28
; NumVgprs: 47
; NumAgprs: 0
; TotalNumVgprs: 47
; ScratchSize: 0
; MemoryBound: 0
; FloatMode: 240
; IeeeMode: 1
; LDSByteSize: 1024 bytes/workgroup (compile time only)
; SGPRBlocks: 3
; VGPRBlocks: 5
; NumSGPRsForWavesPerEU: 28
; NumVGPRsForWavesPerEU: 47
; AccumOffset: 48
; Occupancy: 8
; WaveLimiterHint : 0
; COMPUTE_PGM_RSRC2:SCRATCH_EN: 0
; COMPUTE_PGM_RSRC2:USER_SGPR: 6
; COMPUTE_PGM_RSRC2:TRAP_HANDLER: 0
; COMPUTE_PGM_RSRC2:TGID_X_EN: 1
; COMPUTE_PGM_RSRC2:TGID_Y_EN: 1
; COMPUTE_PGM_RSRC2:TGID_Z_EN: 1
; COMPUTE_PGM_RSRC2:TIDIG_COMP_CNT: 1
; COMPUTE_PGM_RSRC3_GFX90A:ACCUM_OFFSET: 11
; COMPUTE_PGM_RSRC3_GFX90A:TG_SPLIT: 0
	.section	.text._ZN12_GLOBAL__N_127rocblas_gemm_batched_kernelIDF16_Li16ELi16ELi32ELi32ELi8ELi32ELi8ELi8ELi32ELc78ELc84EKDF16_S1_DF16_EEvlllT_PT11_llS4_llS2_PT12_llPT13_lli,"axG",@progbits,_ZN12_GLOBAL__N_127rocblas_gemm_batched_kernelIDF16_Li16ELi16ELi32ELi32ELi8ELi32ELi8ELi8ELi32ELc78ELc84EKDF16_S1_DF16_EEvlllT_PT11_llS4_llS2_PT12_llPT13_lli,comdat
	.globl	_ZN12_GLOBAL__N_127rocblas_gemm_batched_kernelIDF16_Li16ELi16ELi32ELi32ELi8ELi32ELi8ELi8ELi32ELc78ELc84EKDF16_S1_DF16_EEvlllT_PT11_llS4_llS2_PT12_llPT13_lli ; -- Begin function _ZN12_GLOBAL__N_127rocblas_gemm_batched_kernelIDF16_Li16ELi16ELi32ELi32ELi8ELi32ELi8ELi8ELi32ELc78ELc84EKDF16_S1_DF16_EEvlllT_PT11_llS4_llS2_PT12_llPT13_lli
	.p2align	8
	.type	_ZN12_GLOBAL__N_127rocblas_gemm_batched_kernelIDF16_Li16ELi16ELi32ELi32ELi8ELi32ELi8ELi8ELi32ELc78ELc84EKDF16_S1_DF16_EEvlllT_PT11_llS4_llS2_PT12_llPT13_lli,@function
_ZN12_GLOBAL__N_127rocblas_gemm_batched_kernelIDF16_Li16ELi16ELi32ELi32ELi8ELi32ELi8ELi8ELi32ELc78ELc84EKDF16_S1_DF16_EEvlllT_PT11_llS4_llS2_PT12_llPT13_lli: ; @_ZN12_GLOBAL__N_127rocblas_gemm_batched_kernelIDF16_Li16ELi16ELi32ELi32ELi8ELi32ELi8ELi8ELi32ELc78ELc84EKDF16_S1_DF16_EEvlllT_PT11_llS4_llS2_PT12_llPT13_lli
; %bb.0:
	s_load_dwordx2 s[20:21], s[4:5], 0x10
	s_mov_b32 s0, s7
	s_ashr_i32 s1, s0, 31
	s_ashr_i32 s7, s6, 31
	s_lshl_b64 s[10:11], s[0:1], 5
	s_waitcnt lgkmcnt(0)
	v_cmp_lt_i64_e64 s[0:1], s[20:21], 1
	v_bfe_u32 v9, v0, 10, 10
	v_and_b32_e32 v8, 0x3ff, v0
	s_lshl_b64 s[6:7], s[6:7], 5
	s_and_b64 vcc, exec, s[0:1]
	s_cbranch_vccnz .LBB13_3
; %bb.1:
	v_lshlrev_b32_e32 v2, 4, v9
	s_load_dwordx8 s[12:19], s[4:5], 0x20
	s_load_dwordx4 s[0:3], s[4:5], 0x40
	v_add_u32_e32 v3, v2, v8
	v_and_b32_e32 v10, 31, v3
	v_lshrrev_b32_e32 v0, 3, v3
	v_and_b32_e32 v4, 7, v8
	v_lshrrev_b32_e32 v6, 5, v3
	v_lshlrev_b32_e32 v3, 1, v10
	v_lshl_or_b32 v12, v6, 6, v3
	v_lshlrev_b32_e32 v3, 1, v4
	v_mov_b32_e32 v1, 0
	v_lshl_or_b32 v3, v0, 4, v3
	v_add_u32_e32 v13, 0x200, v3
	v_add_u32_e32 v15, 0x200, v2
	s_waitcnt lgkmcnt(0)
	v_mad_u64_u32 v[2:3], s[22:23], v4, s0, v[0:1]
	s_mul_i32 s3, s3, s8
	s_mul_hi_u32 s9, s2, s8
	v_mov_b32_e32 v0, v3
	s_add_i32 s3, s9, s3
	s_mul_i32 s2, s2, s8
	v_mad_u64_u32 v[4:5], s[22:23], v4, s1, v[0:1]
	s_lshl_b64 s[2:3], s[2:3], 1
	v_mov_b32_e32 v3, v4
	v_mov_b32_e32 v0, s11
	v_add_co_u32_e32 v2, vcc, s10, v2
	v_addc_co_u32_e32 v3, vcc, v3, v0, vcc
	s_add_u32 s2, s18, s2
	v_lshlrev_b64 v[2:3], 1, v[2:3]
	s_addc_u32 s3, s19, s3
	v_mov_b32_e32 v0, s3
	v_add_co_u32_e32 v2, vcc, s2, v2
	s_mul_i32 s2, s17, s8
	s_mul_hi_u32 s3, s16, s8
	v_pk_mov_b32 v[4:5], s[6:7], s[6:7] op_sel:[0,1]
	s_add_i32 s3, s3, s2
	s_mul_i32 s2, s16, s8
	v_mad_u64_u32 v[4:5], s[16:17], v6, s14, v[4:5]
	v_addc_co_u32_e32 v3, vcc, v0, v3, vcc
	v_mov_b32_e32 v0, v5
	v_mad_u64_u32 v[6:7], s[16:17], v6, s15, v[0:1]
	s_lshl_b64 s[0:1], s[0:1], 4
	s_lshl_b64 s[2:3], s[2:3], 1
	v_mov_b32_e32 v5, v6
	v_add_co_u32_e32 v4, vcc, v4, v10
	v_addc_co_u32_e32 v5, vcc, 0, v5, vcc
	s_add_u32 s2, s12, s2
	v_lshlrev_b64 v[4:5], 1, v[4:5]
	s_addc_u32 s3, s13, s3
	v_mov_b32_e32 v0, s3
	v_add_co_u32_e32 v4, vcc, s2, v4
	s_lshl_b64 s[2:3], s[14:15], 4
	v_lshlrev_b32_e32 v14, 1, v8
	v_addc_co_u32_e32 v5, vcc, v0, v5, vcc
	s_mov_b64 s[12:13], 0
	v_mov_b32_e32 v16, s1
	v_mov_b32_e32 v17, s3
	v_pk_mov_b32 v[6:7], s[20:21], s[20:21] op_sel:[0,1]
	v_mov_b32_e32 v0, v1
	v_mov_b32_e32 v10, v1
	;; [unrolled: 1-line block ×3, first 2 shown]
.LBB13_2:                               ; =>This Inner Loop Header: Depth=1
	global_load_ushort v18, v[4:5], off
	global_load_ushort v19, v[2:3], off
	v_add_co_u32_e32 v2, vcc, s0, v2
	v_addc_co_u32_e32 v3, vcc, v3, v16, vcc
	s_add_u32 s12, s12, 8
	v_add_co_u32_e32 v4, vcc, s2, v4
	v_addc_co_u32_e32 v5, vcc, v5, v17, vcc
	s_addc_u32 s13, s13, 0
	v_cmp_lt_i64_e32 vcc, s[12:13], v[6:7]
	s_and_b64 vcc, exec, vcc
	s_waitcnt vmcnt(1)
	ds_write_b16 v12, v18
	s_waitcnt vmcnt(0)
	ds_write_b16 v13, v19
	s_waitcnt lgkmcnt(0)
	s_barrier
	ds_read_b128 v[18:21], v15
	ds_read_b128 v[22:25], v15 offset:256
	ds_read_u16 v26, v14
	ds_read_u16 v27, v14 offset:32
	ds_read_u16 v28, v14 offset:64
	;; [unrolled: 1-line block ×15, first 2 shown]
	s_waitcnt lgkmcnt(14)
	v_lshrrev_b32_e32 v42, 16, v18
	v_fma_f16 v11, v26, v18, v11
	v_fma_f16 v10, v27, v18, v10
	v_lshrrev_b32_e32 v18, 16, v22
	v_fma_f16 v0, v26, v22, v0
	v_fma_f16 v1, v27, v22, v1
	s_waitcnt lgkmcnt(13)
	v_fma_f16 v11, v28, v42, v11
	s_waitcnt lgkmcnt(12)
	v_fma_f16 v10, v29, v42, v10
	v_fma_f16 v0, v28, v18, v0
	v_fma_f16 v1, v29, v18, v1
	v_lshrrev_b32_e32 v43, 16, v19
	v_lshrrev_b32_e32 v46, 16, v23
	s_waitcnt lgkmcnt(11)
	v_fma_f16 v11, v30, v19, v11
	s_waitcnt lgkmcnt(10)
	v_fma_f16 v10, v31, v19, v10
	v_fma_f16 v0, v30, v23, v0
	v_fma_f16 v1, v31, v23, v1
	s_waitcnt lgkmcnt(9)
	v_fma_f16 v11, v32, v43, v11
	s_waitcnt lgkmcnt(8)
	v_fma_f16 v10, v33, v43, v10
	v_fma_f16 v0, v32, v46, v0
	v_fma_f16 v1, v33, v46, v1
	v_lshrrev_b32_e32 v44, 16, v20
	v_lshrrev_b32_e32 v47, 16, v24
	s_waitcnt lgkmcnt(7)
	v_fma_f16 v11, v34, v20, v11
	s_waitcnt lgkmcnt(6)
	v_fma_f16 v10, v35, v20, v10
	;; [unrolled: 14-line block ×3, first 2 shown]
	v_fma_f16 v0, v38, v25, v0
	v_fma_f16 v1, v39, v25, v1
	s_waitcnt lgkmcnt(1)
	v_fma_f16 v11, v40, v45, v11
	s_waitcnt lgkmcnt(0)
	v_fma_f16 v10, v41, v45, v10
	v_fma_f16 v0, v40, v48, v0
	;; [unrolled: 1-line block ×3, first 2 shown]
	s_barrier
	s_cbranch_vccnz .LBB13_2
	s_branch .LBB13_4
.LBB13_3:
	v_mov_b32_e32 v11, 0
	v_mov_b32_e32 v10, 0
	;; [unrolled: 1-line block ×4, first 2 shown]
.LBB13_4:
	s_load_dwordx4 s[0:3], s[4:5], 0x78
	s_load_dword s9, s[4:5], 0x18
	s_load_dword s20, s[4:5], 0x50
	s_load_dwordx8 s[12:19], s[4:5], 0x58
	v_mov_b32_e32 v2, s11
	s_waitcnt lgkmcnt(0)
	s_mul_i32 s3, s8, s3
	s_mul_hi_u32 s4, s8, s2
	s_add_i32 s3, s4, s3
	s_mul_i32 s2, s8, s2
	v_add_co_u32_e32 v4, vcc, s10, v9
	s_lshl_b64 s[2:3], s[2:3], 1
	v_addc_co_u32_e32 v7, vcc, 0, v2, vcc
	s_add_u32 s4, s18, s2
	v_mov_b32_e32 v3, s7
	v_add_co_u32_e32 v2, vcc, s6, v8
	s_addc_u32 s5, s19, s3
	v_cmp_neq_f16_e64 s[2:3], s20, 0
	v_addc_co_u32_e32 v3, vcc, 0, v3, vcc
	s_and_b64 vcc, exec, s[2:3]
	v_mul_lo_u32 v5, v7, s0
	v_mul_lo_u32 v6, v4, s1
	v_lshlrev_b64 v[2:3], 1, v[2:3]
	s_cbranch_vccnz .LBB13_8
; %bb.5:
	v_mad_u64_u32 v[8:9], s[2:3], v4, s0, 0
	v_add3_u32 v9, v9, v6, v5
	v_lshlrev_b64 v[8:9], 1, v[8:9]
	v_mov_b32_e32 v12, s5
	v_add_co_u32_e32 v8, vcc, s4, v8
	v_addc_co_u32_e32 v9, vcc, v12, v9, vcc
	v_add_co_u32_e32 v8, vcc, v8, v2
	v_mul_f16_e32 v12, s9, v11
	v_addc_co_u32_e32 v9, vcc, v9, v3, vcc
	global_store_short v[8:9], v12, off
	v_mul_f16_e32 v12, s9, v10
	s_lshl_b64 s[2:3], s[0:1], 5
	global_store_short v[8:9], v12, off offset:32
	v_mov_b32_e32 v13, s3
	v_add_co_u32_e32 v8, vcc, s2, v8
	v_mul_f16_e32 v12, s9, v0
	v_addc_co_u32_e32 v9, vcc, v9, v13, vcc
	global_store_short v[8:9], v12, off
	v_mul_f16_e32 v12, s9, v1
	global_store_short v[8:9], v12, off offset:32
	s_cbranch_execnz .LBB13_7
.LBB13_6:
	s_mul_i32 s2, s8, s17
	s_mul_hi_u32 s3, s8, s16
	s_add_i32 s3, s3, s2
	s_mul_i32 s2, s8, s16
	s_lshl_b64 s[2:3], s[2:3], 1
	s_add_u32 s6, s12, s2
	s_addc_u32 s7, s13, s3
	v_mul_lo_u32 v7, v7, s14
	v_mul_lo_u32 v12, v4, s15
	v_mad_u64_u32 v[8:9], s[2:3], v4, s14, 0
	v_add3_u32 v9, v9, v12, v7
	v_lshlrev_b64 v[8:9], 1, v[8:9]
	v_mov_b32_e32 v7, s7
	v_add_co_u32_e32 v8, vcc, s6, v8
	v_addc_co_u32_e32 v7, vcc, v7, v9, vcc
	v_add_co_u32_e32 v8, vcc, v8, v2
	v_addc_co_u32_e32 v9, vcc, v7, v3, vcc
	global_load_ushort v7, v[8:9], off
	v_mad_u64_u32 v[12:13], s[2:3], v4, s0, 0
	v_add3_u32 v13, v13, v6, v5
	v_lshlrev_b64 v[4:5], 1, v[12:13]
	v_mov_b32_e32 v14, s5
	v_add_co_u32_e32 v4, vcc, s4, v4
	v_addc_co_u32_e32 v5, vcc, v14, v5, vcc
	v_add_co_u32_e32 v2, vcc, v4, v2
	v_addc_co_u32_e32 v3, vcc, v5, v3, vcc
	s_lshl_b64 s[2:3], s[14:15], 5
	v_mov_b32_e32 v5, s3
	s_lshl_b64 s[0:1], s[0:1], 5
	s_waitcnt vmcnt(0)
	v_mul_f16_e32 v4, s20, v7
	v_fma_f16 v4, v11, s9, v4
	global_store_short v[2:3], v4, off
	global_load_ushort v6, v[8:9], off offset:32
	v_add_co_u32_e32 v4, vcc, s2, v8
	v_addc_co_u32_e32 v5, vcc, v9, v5, vcc
	v_mov_b32_e32 v7, s1
	s_waitcnt vmcnt(0)
	v_mul_f16_e32 v6, s20, v6
	v_fma_f16 v6, v10, s9, v6
	global_store_short v[2:3], v6, off offset:32
	global_load_ushort v6, v[4:5], off
	v_add_co_u32_e32 v2, vcc, s0, v2
	v_addc_co_u32_e32 v3, vcc, v3, v7, vcc
	s_waitcnt vmcnt(0)
	v_mul_f16_e32 v6, s20, v6
	v_fma_f16 v0, v0, s9, v6
	global_store_short v[2:3], v0, off
	global_load_ushort v0, v[4:5], off offset:32
	s_waitcnt vmcnt(0)
	v_mul_f16_e32 v0, s20, v0
	v_fma_f16 v0, v1, s9, v0
	global_store_short v[2:3], v0, off offset:32
.LBB13_7:
	s_endpgm
.LBB13_8:
	s_branch .LBB13_6
	.section	.rodata,"a",@progbits
	.p2align	6, 0x0
	.amdhsa_kernel _ZN12_GLOBAL__N_127rocblas_gemm_batched_kernelIDF16_Li16ELi16ELi32ELi32ELi8ELi32ELi8ELi8ELi32ELc78ELc84EKDF16_S1_DF16_EEvlllT_PT11_llS4_llS2_PT12_llPT13_lli
		.amdhsa_group_segment_fixed_size 1024
		.amdhsa_private_segment_fixed_size 0
		.amdhsa_kernarg_size 140
		.amdhsa_user_sgpr_count 6
		.amdhsa_user_sgpr_private_segment_buffer 1
		.amdhsa_user_sgpr_dispatch_ptr 0
		.amdhsa_user_sgpr_queue_ptr 0
		.amdhsa_user_sgpr_kernarg_segment_ptr 1
		.amdhsa_user_sgpr_dispatch_id 0
		.amdhsa_user_sgpr_flat_scratch_init 0
		.amdhsa_user_sgpr_kernarg_preload_length 0
		.amdhsa_user_sgpr_kernarg_preload_offset 0
		.amdhsa_user_sgpr_private_segment_size 0
		.amdhsa_uses_dynamic_stack 0
		.amdhsa_system_sgpr_private_segment_wavefront_offset 0
		.amdhsa_system_sgpr_workgroup_id_x 1
		.amdhsa_system_sgpr_workgroup_id_y 1
		.amdhsa_system_sgpr_workgroup_id_z 1
		.amdhsa_system_sgpr_workgroup_info 0
		.amdhsa_system_vgpr_workitem_id 1
		.amdhsa_next_free_vgpr 49
		.amdhsa_next_free_sgpr 24
		.amdhsa_accum_offset 52
		.amdhsa_reserve_vcc 1
		.amdhsa_reserve_flat_scratch 0
		.amdhsa_float_round_mode_32 0
		.amdhsa_float_round_mode_16_64 0
		.amdhsa_float_denorm_mode_32 3
		.amdhsa_float_denorm_mode_16_64 3
		.amdhsa_dx10_clamp 1
		.amdhsa_ieee_mode 1
		.amdhsa_fp16_overflow 0
		.amdhsa_tg_split 0
		.amdhsa_exception_fp_ieee_invalid_op 0
		.amdhsa_exception_fp_denorm_src 0
		.amdhsa_exception_fp_ieee_div_zero 0
		.amdhsa_exception_fp_ieee_overflow 0
		.amdhsa_exception_fp_ieee_underflow 0
		.amdhsa_exception_fp_ieee_inexact 0
		.amdhsa_exception_int_div_zero 0
	.end_amdhsa_kernel
	.section	.text._ZN12_GLOBAL__N_127rocblas_gemm_batched_kernelIDF16_Li16ELi16ELi32ELi32ELi8ELi32ELi8ELi8ELi32ELc78ELc84EKDF16_S1_DF16_EEvlllT_PT11_llS4_llS2_PT12_llPT13_lli,"axG",@progbits,_ZN12_GLOBAL__N_127rocblas_gemm_batched_kernelIDF16_Li16ELi16ELi32ELi32ELi8ELi32ELi8ELi8ELi32ELc78ELc84EKDF16_S1_DF16_EEvlllT_PT11_llS4_llS2_PT12_llPT13_lli,comdat
.Lfunc_end13:
	.size	_ZN12_GLOBAL__N_127rocblas_gemm_batched_kernelIDF16_Li16ELi16ELi32ELi32ELi8ELi32ELi8ELi8ELi32ELc78ELc84EKDF16_S1_DF16_EEvlllT_PT11_llS4_llS2_PT12_llPT13_lli, .Lfunc_end13-_ZN12_GLOBAL__N_127rocblas_gemm_batched_kernelIDF16_Li16ELi16ELi32ELi32ELi8ELi32ELi8ELi8ELi32ELc78ELc84EKDF16_S1_DF16_EEvlllT_PT11_llS4_llS2_PT12_llPT13_lli
                                        ; -- End function
	.section	.AMDGPU.csdata,"",@progbits
; Kernel info:
; codeLenInByte = 1508
; NumSgprs: 28
; NumVgprs: 49
; NumAgprs: 0
; TotalNumVgprs: 49
; ScratchSize: 0
; MemoryBound: 0
; FloatMode: 240
; IeeeMode: 1
; LDSByteSize: 1024 bytes/workgroup (compile time only)
; SGPRBlocks: 3
; VGPRBlocks: 6
; NumSGPRsForWavesPerEU: 28
; NumVGPRsForWavesPerEU: 49
; AccumOffset: 52
; Occupancy: 8
; WaveLimiterHint : 0
; COMPUTE_PGM_RSRC2:SCRATCH_EN: 0
; COMPUTE_PGM_RSRC2:USER_SGPR: 6
; COMPUTE_PGM_RSRC2:TRAP_HANDLER: 0
; COMPUTE_PGM_RSRC2:TGID_X_EN: 1
; COMPUTE_PGM_RSRC2:TGID_Y_EN: 1
; COMPUTE_PGM_RSRC2:TGID_Z_EN: 1
; COMPUTE_PGM_RSRC2:TIDIG_COMP_CNT: 1
; COMPUTE_PGM_RSRC3_GFX90A:ACCUM_OFFSET: 12
; COMPUTE_PGM_RSRC3_GFX90A:TG_SPLIT: 0
	.section	.text._ZN12_GLOBAL__N_127rocblas_gemm_batched_kernelIDF16_Li16ELi16ELi32ELi32ELi8ELi32ELi8ELi8ELi32ELc84ELc84EKDF16_S1_DF16_EEvlllT_PT11_llS4_llS2_PT12_llPT13_lli,"axG",@progbits,_ZN12_GLOBAL__N_127rocblas_gemm_batched_kernelIDF16_Li16ELi16ELi32ELi32ELi8ELi32ELi8ELi8ELi32ELc84ELc84EKDF16_S1_DF16_EEvlllT_PT11_llS4_llS2_PT12_llPT13_lli,comdat
	.globl	_ZN12_GLOBAL__N_127rocblas_gemm_batched_kernelIDF16_Li16ELi16ELi32ELi32ELi8ELi32ELi8ELi8ELi32ELc84ELc84EKDF16_S1_DF16_EEvlllT_PT11_llS4_llS2_PT12_llPT13_lli ; -- Begin function _ZN12_GLOBAL__N_127rocblas_gemm_batched_kernelIDF16_Li16ELi16ELi32ELi32ELi8ELi32ELi8ELi8ELi32ELc84ELc84EKDF16_S1_DF16_EEvlllT_PT11_llS4_llS2_PT12_llPT13_lli
	.p2align	8
	.type	_ZN12_GLOBAL__N_127rocblas_gemm_batched_kernelIDF16_Li16ELi16ELi32ELi32ELi8ELi32ELi8ELi8ELi32ELc84ELc84EKDF16_S1_DF16_EEvlllT_PT11_llS4_llS2_PT12_llPT13_lli,@function
_ZN12_GLOBAL__N_127rocblas_gemm_batched_kernelIDF16_Li16ELi16ELi32ELi32ELi8ELi32ELi8ELi8ELi32ELc84ELc84EKDF16_S1_DF16_EEvlllT_PT11_llS4_llS2_PT12_llPT13_lli: ; @_ZN12_GLOBAL__N_127rocblas_gemm_batched_kernelIDF16_Li16ELi16ELi32ELi32ELi8ELi32ELi8ELi8ELi32ELc84ELc84EKDF16_S1_DF16_EEvlllT_PT11_llS4_llS2_PT12_llPT13_lli
; %bb.0:
	s_load_dwordx2 s[20:21], s[4:5], 0x10
	s_mov_b32 s0, s7
	s_ashr_i32 s1, s0, 31
	s_ashr_i32 s7, s6, 31
	s_lshl_b64 s[10:11], s[0:1], 5
	s_waitcnt lgkmcnt(0)
	v_cmp_lt_i64_e64 s[0:1], s[20:21], 1
	v_bfe_u32 v9, v0, 10, 10
	v_and_b32_e32 v8, 0x3ff, v0
	s_lshl_b64 s[6:7], s[6:7], 5
	s_and_b64 vcc, exec, s[0:1]
	s_cbranch_vccnz .LBB14_3
; %bb.1:
	v_lshlrev_b32_e32 v2, 4, v9
	s_load_dwordx8 s[12:19], s[4:5], 0x20
	s_load_dwordx4 s[0:3], s[4:5], 0x40
	v_add_u32_e32 v3, v2, v8
	v_and_b32_e32 v6, 31, v3
	v_lshrrev_b32_e32 v0, 3, v3
	v_and_b32_e32 v4, 7, v8
	v_lshrrev_b32_e32 v7, 5, v3
	v_lshlrev_b32_e32 v3, 1, v6
	v_lshl_or_b32 v12, v7, 6, v3
	v_lshlrev_b32_e32 v3, 1, v4
	v_mov_b32_e32 v1, 0
	v_lshl_or_b32 v3, v0, 4, v3
	v_add_u32_e32 v13, 0x200, v3
	v_add_u32_e32 v15, 0x200, v2
	s_waitcnt lgkmcnt(0)
	v_mad_u64_u32 v[2:3], s[22:23], v4, s0, v[0:1]
	s_mul_i32 s3, s3, s8
	s_mul_hi_u32 s9, s2, s8
	v_mov_b32_e32 v0, v3
	s_add_i32 s3, s9, s3
	s_mul_i32 s2, s2, s8
	v_mad_u64_u32 v[4:5], s[22:23], v4, s1, v[0:1]
	s_lshl_b64 s[2:3], s[2:3], 1
	v_mov_b32_e32 v3, v4
	v_mov_b32_e32 v0, s11
	v_add_co_u32_e32 v2, vcc, s10, v2
	v_addc_co_u32_e32 v3, vcc, v3, v0, vcc
	s_add_u32 s2, s18, s2
	v_lshlrev_b64 v[2:3], 1, v[2:3]
	s_addc_u32 s3, s19, s3
	v_mov_b32_e32 v0, s3
	v_add_co_u32_e32 v2, vcc, s2, v2
	v_addc_co_u32_e32 v3, vcc, v0, v3, vcc
	v_mov_b32_e32 v0, s7
	v_add_co_u32_e32 v4, vcc, s6, v6
	v_addc_co_u32_e32 v0, vcc, 0, v0, vcc
	v_mul_lo_u32 v6, s15, v4
	v_mad_u64_u32 v[4:5], s[2:3], s14, v4, 0
	v_mul_lo_u32 v0, s14, v0
	s_mul_i32 s2, s17, s8
	s_mul_hi_u32 s3, s16, s8
	v_add3_u32 v5, v5, v0, v6
	s_add_i32 s3, s3, s2
	s_mul_i32 s2, s16, s8
	v_lshlrev_b64 v[4:5], 1, v[4:5]
	s_lshl_b64 s[2:3], s[2:3], 1
	v_mov_b32_e32 v0, s3
	v_add_co_u32_e32 v4, vcc, s2, v4
	v_addc_co_u32_e32 v0, vcc, v5, v0, vcc
	v_lshlrev_b32_e32 v5, 1, v7
	v_add_co_u32_e32 v4, vcc, v4, v5
	v_addc_co_u32_e32 v0, vcc, 0, v0, vcc
	s_lshl_b64 s[0:1], s[0:1], 4
	v_mov_b32_e32 v5, s13
	v_add_co_u32_e32 v4, vcc, s12, v4
	v_lshlrev_b32_e32 v14, 1, v8
	v_addc_co_u32_e32 v5, vcc, v5, v0, vcc
	s_mov_b64 s[2:3], 0
	v_mov_b32_e32 v16, s1
	v_pk_mov_b32 v[6:7], s[20:21], s[20:21] op_sel:[0,1]
	v_mov_b32_e32 v0, v1
	v_mov_b32_e32 v10, v1
	v_mov_b32_e32 v11, v1
.LBB14_2:                               ; =>This Inner Loop Header: Depth=1
	global_load_ushort v17, v[4:5], off
	global_load_ushort v18, v[2:3], off
	v_add_co_u32_e32 v2, vcc, s0, v2
	v_addc_co_u32_e32 v3, vcc, v3, v16, vcc
	s_add_u32 s2, s2, 8
	v_add_co_u32_e32 v4, vcc, 16, v4
	v_addc_co_u32_e32 v5, vcc, 0, v5, vcc
	s_addc_u32 s3, s3, 0
	v_cmp_lt_i64_e32 vcc, s[2:3], v[6:7]
	s_and_b64 vcc, exec, vcc
	s_waitcnt vmcnt(1)
	ds_write_b16 v12, v17
	s_waitcnt vmcnt(0)
	ds_write_b16 v13, v18
	s_waitcnt lgkmcnt(0)
	s_barrier
	ds_read_b128 v[18:21], v15
	ds_read_b128 v[22:25], v15 offset:256
	ds_read_u16 v17, v14
	ds_read_u16 v26, v14 offset:32
	ds_read_u16 v27, v14 offset:64
	;; [unrolled: 1-line block ×15, first 2 shown]
	s_waitcnt lgkmcnt(14)
	v_lshrrev_b32_e32 v41, 16, v18
	v_fma_f16 v11, v17, v18, v11
	v_fma_f16 v10, v26, v18, v10
	v_lshrrev_b32_e32 v18, 16, v22
	v_fma_f16 v0, v17, v22, v0
	v_fma_f16 v1, v26, v22, v1
	s_waitcnt lgkmcnt(13)
	v_fma_f16 v11, v27, v41, v11
	s_waitcnt lgkmcnt(12)
	v_fma_f16 v10, v28, v41, v10
	v_fma_f16 v0, v27, v18, v0
	v_fma_f16 v1, v28, v18, v1
	v_lshrrev_b32_e32 v42, 16, v19
	v_lshrrev_b32_e32 v45, 16, v23
	s_waitcnt lgkmcnt(11)
	v_fma_f16 v11, v29, v19, v11
	s_waitcnt lgkmcnt(10)
	v_fma_f16 v10, v30, v19, v10
	v_fma_f16 v0, v29, v23, v0
	v_fma_f16 v1, v30, v23, v1
	s_waitcnt lgkmcnt(9)
	v_fma_f16 v11, v31, v42, v11
	s_waitcnt lgkmcnt(8)
	v_fma_f16 v10, v32, v42, v10
	v_fma_f16 v0, v31, v45, v0
	v_fma_f16 v1, v32, v45, v1
	v_lshrrev_b32_e32 v43, 16, v20
	v_lshrrev_b32_e32 v46, 16, v24
	s_waitcnt lgkmcnt(7)
	v_fma_f16 v11, v33, v20, v11
	s_waitcnt lgkmcnt(6)
	v_fma_f16 v10, v34, v20, v10
	;; [unrolled: 14-line block ×3, first 2 shown]
	v_fma_f16 v0, v37, v25, v0
	v_fma_f16 v1, v38, v25, v1
	s_waitcnt lgkmcnt(1)
	v_fma_f16 v11, v39, v44, v11
	s_waitcnt lgkmcnt(0)
	v_fma_f16 v10, v40, v44, v10
	v_fma_f16 v0, v39, v47, v0
	;; [unrolled: 1-line block ×3, first 2 shown]
	s_barrier
	s_cbranch_vccnz .LBB14_2
	s_branch .LBB14_4
.LBB14_3:
	v_mov_b32_e32 v11, 0
	v_mov_b32_e32 v10, 0
	;; [unrolled: 1-line block ×4, first 2 shown]
.LBB14_4:
	s_load_dwordx4 s[0:3], s[4:5], 0x78
	s_load_dword s9, s[4:5], 0x18
	s_load_dword s20, s[4:5], 0x50
	s_load_dwordx8 s[12:19], s[4:5], 0x58
	v_mov_b32_e32 v2, s11
	s_waitcnt lgkmcnt(0)
	s_mul_i32 s3, s8, s3
	s_mul_hi_u32 s4, s8, s2
	s_add_i32 s3, s4, s3
	s_mul_i32 s2, s8, s2
	v_add_co_u32_e32 v4, vcc, s10, v9
	s_lshl_b64 s[2:3], s[2:3], 1
	v_addc_co_u32_e32 v7, vcc, 0, v2, vcc
	s_add_u32 s4, s18, s2
	v_mov_b32_e32 v3, s7
	v_add_co_u32_e32 v2, vcc, s6, v8
	s_addc_u32 s5, s19, s3
	v_cmp_neq_f16_e64 s[2:3], s20, 0
	v_addc_co_u32_e32 v3, vcc, 0, v3, vcc
	s_and_b64 vcc, exec, s[2:3]
	v_mul_lo_u32 v5, v7, s0
	v_mul_lo_u32 v6, v4, s1
	v_lshlrev_b64 v[2:3], 1, v[2:3]
	s_cbranch_vccnz .LBB14_8
; %bb.5:
	v_mad_u64_u32 v[8:9], s[2:3], v4, s0, 0
	v_add3_u32 v9, v9, v6, v5
	v_lshlrev_b64 v[8:9], 1, v[8:9]
	v_mov_b32_e32 v12, s5
	v_add_co_u32_e32 v8, vcc, s4, v8
	v_addc_co_u32_e32 v9, vcc, v12, v9, vcc
	v_add_co_u32_e32 v8, vcc, v8, v2
	v_mul_f16_e32 v12, s9, v11
	v_addc_co_u32_e32 v9, vcc, v9, v3, vcc
	global_store_short v[8:9], v12, off
	v_mul_f16_e32 v12, s9, v10
	s_lshl_b64 s[2:3], s[0:1], 5
	global_store_short v[8:9], v12, off offset:32
	v_mov_b32_e32 v13, s3
	v_add_co_u32_e32 v8, vcc, s2, v8
	v_mul_f16_e32 v12, s9, v0
	v_addc_co_u32_e32 v9, vcc, v9, v13, vcc
	global_store_short v[8:9], v12, off
	v_mul_f16_e32 v12, s9, v1
	global_store_short v[8:9], v12, off offset:32
	s_cbranch_execnz .LBB14_7
.LBB14_6:
	s_mul_i32 s2, s8, s17
	s_mul_hi_u32 s3, s8, s16
	s_add_i32 s3, s3, s2
	s_mul_i32 s2, s8, s16
	s_lshl_b64 s[2:3], s[2:3], 1
	s_add_u32 s6, s12, s2
	s_addc_u32 s7, s13, s3
	v_mul_lo_u32 v7, v7, s14
	v_mul_lo_u32 v12, v4, s15
	v_mad_u64_u32 v[8:9], s[2:3], v4, s14, 0
	v_add3_u32 v9, v9, v12, v7
	v_lshlrev_b64 v[8:9], 1, v[8:9]
	v_mov_b32_e32 v7, s7
	v_add_co_u32_e32 v8, vcc, s6, v8
	v_addc_co_u32_e32 v7, vcc, v7, v9, vcc
	v_add_co_u32_e32 v8, vcc, v8, v2
	v_addc_co_u32_e32 v9, vcc, v7, v3, vcc
	global_load_ushort v7, v[8:9], off
	v_mad_u64_u32 v[12:13], s[2:3], v4, s0, 0
	v_add3_u32 v13, v13, v6, v5
	v_lshlrev_b64 v[4:5], 1, v[12:13]
	v_mov_b32_e32 v14, s5
	v_add_co_u32_e32 v4, vcc, s4, v4
	v_addc_co_u32_e32 v5, vcc, v14, v5, vcc
	v_add_co_u32_e32 v2, vcc, v4, v2
	v_addc_co_u32_e32 v3, vcc, v5, v3, vcc
	s_lshl_b64 s[2:3], s[14:15], 5
	v_mov_b32_e32 v5, s3
	s_lshl_b64 s[0:1], s[0:1], 5
	s_waitcnt vmcnt(0)
	v_mul_f16_e32 v4, s20, v7
	v_fma_f16 v4, v11, s9, v4
	global_store_short v[2:3], v4, off
	global_load_ushort v6, v[8:9], off offset:32
	v_add_co_u32_e32 v4, vcc, s2, v8
	v_addc_co_u32_e32 v5, vcc, v9, v5, vcc
	v_mov_b32_e32 v7, s1
	s_waitcnt vmcnt(0)
	v_mul_f16_e32 v6, s20, v6
	v_fma_f16 v6, v10, s9, v6
	global_store_short v[2:3], v6, off offset:32
	global_load_ushort v6, v[4:5], off
	v_add_co_u32_e32 v2, vcc, s0, v2
	v_addc_co_u32_e32 v3, vcc, v3, v7, vcc
	s_waitcnt vmcnt(0)
	v_mul_f16_e32 v6, s20, v6
	v_fma_f16 v0, v0, s9, v6
	global_store_short v[2:3], v0, off
	global_load_ushort v0, v[4:5], off offset:32
	s_waitcnt vmcnt(0)
	v_mul_f16_e32 v0, s20, v0
	v_fma_f16 v0, v1, s9, v0
	global_store_short v[2:3], v0, off offset:32
.LBB14_7:
	s_endpgm
.LBB14_8:
	s_branch .LBB14_6
	.section	.rodata,"a",@progbits
	.p2align	6, 0x0
	.amdhsa_kernel _ZN12_GLOBAL__N_127rocblas_gemm_batched_kernelIDF16_Li16ELi16ELi32ELi32ELi8ELi32ELi8ELi8ELi32ELc84ELc84EKDF16_S1_DF16_EEvlllT_PT11_llS4_llS2_PT12_llPT13_lli
		.amdhsa_group_segment_fixed_size 1024
		.amdhsa_private_segment_fixed_size 0
		.amdhsa_kernarg_size 140
		.amdhsa_user_sgpr_count 6
		.amdhsa_user_sgpr_private_segment_buffer 1
		.amdhsa_user_sgpr_dispatch_ptr 0
		.amdhsa_user_sgpr_queue_ptr 0
		.amdhsa_user_sgpr_kernarg_segment_ptr 1
		.amdhsa_user_sgpr_dispatch_id 0
		.amdhsa_user_sgpr_flat_scratch_init 0
		.amdhsa_user_sgpr_kernarg_preload_length 0
		.amdhsa_user_sgpr_kernarg_preload_offset 0
		.amdhsa_user_sgpr_private_segment_size 0
		.amdhsa_uses_dynamic_stack 0
		.amdhsa_system_sgpr_private_segment_wavefront_offset 0
		.amdhsa_system_sgpr_workgroup_id_x 1
		.amdhsa_system_sgpr_workgroup_id_y 1
		.amdhsa_system_sgpr_workgroup_id_z 1
		.amdhsa_system_sgpr_workgroup_info 0
		.amdhsa_system_vgpr_workitem_id 1
		.amdhsa_next_free_vgpr 48
		.amdhsa_next_free_sgpr 24
		.amdhsa_accum_offset 48
		.amdhsa_reserve_vcc 1
		.amdhsa_reserve_flat_scratch 0
		.amdhsa_float_round_mode_32 0
		.amdhsa_float_round_mode_16_64 0
		.amdhsa_float_denorm_mode_32 3
		.amdhsa_float_denorm_mode_16_64 3
		.amdhsa_dx10_clamp 1
		.amdhsa_ieee_mode 1
		.amdhsa_fp16_overflow 0
		.amdhsa_tg_split 0
		.amdhsa_exception_fp_ieee_invalid_op 0
		.amdhsa_exception_fp_denorm_src 0
		.amdhsa_exception_fp_ieee_div_zero 0
		.amdhsa_exception_fp_ieee_overflow 0
		.amdhsa_exception_fp_ieee_underflow 0
		.amdhsa_exception_fp_ieee_inexact 0
		.amdhsa_exception_int_div_zero 0
	.end_amdhsa_kernel
	.section	.text._ZN12_GLOBAL__N_127rocblas_gemm_batched_kernelIDF16_Li16ELi16ELi32ELi32ELi8ELi32ELi8ELi8ELi32ELc84ELc84EKDF16_S1_DF16_EEvlllT_PT11_llS4_llS2_PT12_llPT13_lli,"axG",@progbits,_ZN12_GLOBAL__N_127rocblas_gemm_batched_kernelIDF16_Li16ELi16ELi32ELi32ELi8ELi32ELi8ELi8ELi32ELc84ELc84EKDF16_S1_DF16_EEvlllT_PT11_llS4_llS2_PT12_llPT13_lli,comdat
.Lfunc_end14:
	.size	_ZN12_GLOBAL__N_127rocblas_gemm_batched_kernelIDF16_Li16ELi16ELi32ELi32ELi8ELi32ELi8ELi8ELi32ELc84ELc84EKDF16_S1_DF16_EEvlllT_PT11_llS4_llS2_PT12_llPT13_lli, .Lfunc_end14-_ZN12_GLOBAL__N_127rocblas_gemm_batched_kernelIDF16_Li16ELi16ELi32ELi32ELi8ELi32ELi8ELi8ELi32ELc84ELc84EKDF16_S1_DF16_EEvlllT_PT11_llS4_llS2_PT12_llPT13_lli
                                        ; -- End function
	.section	.AMDGPU.csdata,"",@progbits
; Kernel info:
; codeLenInByte = 1520
; NumSgprs: 28
; NumVgprs: 48
; NumAgprs: 0
; TotalNumVgprs: 48
; ScratchSize: 0
; MemoryBound: 0
; FloatMode: 240
; IeeeMode: 1
; LDSByteSize: 1024 bytes/workgroup (compile time only)
; SGPRBlocks: 3
; VGPRBlocks: 5
; NumSGPRsForWavesPerEU: 28
; NumVGPRsForWavesPerEU: 48
; AccumOffset: 48
; Occupancy: 8
; WaveLimiterHint : 0
; COMPUTE_PGM_RSRC2:SCRATCH_EN: 0
; COMPUTE_PGM_RSRC2:USER_SGPR: 6
; COMPUTE_PGM_RSRC2:TRAP_HANDLER: 0
; COMPUTE_PGM_RSRC2:TGID_X_EN: 1
; COMPUTE_PGM_RSRC2:TGID_Y_EN: 1
; COMPUTE_PGM_RSRC2:TGID_Z_EN: 1
; COMPUTE_PGM_RSRC2:TIDIG_COMP_CNT: 1
; COMPUTE_PGM_RSRC3_GFX90A:ACCUM_OFFSET: 11
; COMPUTE_PGM_RSRC3_GFX90A:TG_SPLIT: 0
	.section	.text._ZN12_GLOBAL__N_127rocblas_gemm_batched_kernelIDF16_Li16ELi16ELi32ELi32ELi8ELi32ELi8ELi8ELi32ELc67ELc67EKDF16_S1_DF16_EEvlllT_PT11_llS4_llS2_PT12_llPT13_lli,"axG",@progbits,_ZN12_GLOBAL__N_127rocblas_gemm_batched_kernelIDF16_Li16ELi16ELi32ELi32ELi8ELi32ELi8ELi8ELi32ELc67ELc67EKDF16_S1_DF16_EEvlllT_PT11_llS4_llS2_PT12_llPT13_lli,comdat
	.globl	_ZN12_GLOBAL__N_127rocblas_gemm_batched_kernelIDF16_Li16ELi16ELi32ELi32ELi8ELi32ELi8ELi8ELi32ELc67ELc67EKDF16_S1_DF16_EEvlllT_PT11_llS4_llS2_PT12_llPT13_lli ; -- Begin function _ZN12_GLOBAL__N_127rocblas_gemm_batched_kernelIDF16_Li16ELi16ELi32ELi32ELi8ELi32ELi8ELi8ELi32ELc67ELc67EKDF16_S1_DF16_EEvlllT_PT11_llS4_llS2_PT12_llPT13_lli
	.p2align	8
	.type	_ZN12_GLOBAL__N_127rocblas_gemm_batched_kernelIDF16_Li16ELi16ELi32ELi32ELi8ELi32ELi8ELi8ELi32ELc67ELc67EKDF16_S1_DF16_EEvlllT_PT11_llS4_llS2_PT12_llPT13_lli,@function
_ZN12_GLOBAL__N_127rocblas_gemm_batched_kernelIDF16_Li16ELi16ELi32ELi32ELi8ELi32ELi8ELi8ELi32ELc67ELc67EKDF16_S1_DF16_EEvlllT_PT11_llS4_llS2_PT12_llPT13_lli: ; @_ZN12_GLOBAL__N_127rocblas_gemm_batched_kernelIDF16_Li16ELi16ELi32ELi32ELi8ELi32ELi8ELi8ELi32ELc67ELc67EKDF16_S1_DF16_EEvlllT_PT11_llS4_llS2_PT12_llPT13_lli
; %bb.0:
	s_load_dwordx2 s[20:21], s[4:5], 0x10
	s_mov_b32 s0, s7
	s_ashr_i32 s1, s0, 31
	s_ashr_i32 s7, s6, 31
	s_lshl_b64 s[10:11], s[0:1], 5
	s_waitcnt lgkmcnt(0)
	v_cmp_lt_i64_e64 s[0:1], s[20:21], 1
	v_bfe_u32 v9, v0, 10, 10
	v_and_b32_e32 v8, 0x3ff, v0
	s_lshl_b64 s[6:7], s[6:7], 5
	s_and_b64 vcc, exec, s[0:1]
	s_cbranch_vccnz .LBB15_3
; %bb.1:
	v_lshlrev_b32_e32 v2, 4, v9
	s_load_dwordx8 s[12:19], s[4:5], 0x20
	s_load_dwordx4 s[0:3], s[4:5], 0x40
	v_add_u32_e32 v3, v2, v8
	v_and_b32_e32 v6, 31, v3
	v_lshrrev_b32_e32 v0, 3, v3
	v_and_b32_e32 v4, 7, v8
	v_lshrrev_b32_e32 v7, 5, v3
	v_lshlrev_b32_e32 v3, 1, v6
	v_lshl_or_b32 v12, v7, 6, v3
	v_lshlrev_b32_e32 v3, 1, v4
	v_mov_b32_e32 v1, 0
	v_lshl_or_b32 v3, v0, 4, v3
	v_add_u32_e32 v13, 0x200, v3
	v_add_u32_e32 v15, 0x200, v2
	s_waitcnt lgkmcnt(0)
	v_mad_u64_u32 v[2:3], s[22:23], v4, s0, v[0:1]
	s_mul_i32 s3, s3, s8
	s_mul_hi_u32 s9, s2, s8
	v_mov_b32_e32 v0, v3
	s_add_i32 s3, s9, s3
	s_mul_i32 s2, s2, s8
	v_mad_u64_u32 v[4:5], s[22:23], v4, s1, v[0:1]
	s_lshl_b64 s[2:3], s[2:3], 1
	v_mov_b32_e32 v3, v4
	v_mov_b32_e32 v0, s11
	v_add_co_u32_e32 v2, vcc, s10, v2
	v_addc_co_u32_e32 v3, vcc, v3, v0, vcc
	s_add_u32 s2, s18, s2
	v_lshlrev_b64 v[2:3], 1, v[2:3]
	s_addc_u32 s3, s19, s3
	v_mov_b32_e32 v0, s3
	v_add_co_u32_e32 v2, vcc, s2, v2
	v_addc_co_u32_e32 v3, vcc, v0, v3, vcc
	v_mov_b32_e32 v0, s7
	v_add_co_u32_e32 v4, vcc, s6, v6
	v_addc_co_u32_e32 v0, vcc, 0, v0, vcc
	v_mul_lo_u32 v6, s15, v4
	v_mad_u64_u32 v[4:5], s[2:3], s14, v4, 0
	v_mul_lo_u32 v0, s14, v0
	s_mul_i32 s2, s17, s8
	s_mul_hi_u32 s3, s16, s8
	v_add3_u32 v5, v5, v0, v6
	s_add_i32 s3, s3, s2
	s_mul_i32 s2, s16, s8
	v_lshlrev_b64 v[4:5], 1, v[4:5]
	s_lshl_b64 s[2:3], s[2:3], 1
	v_mov_b32_e32 v0, s3
	v_add_co_u32_e32 v4, vcc, s2, v4
	v_addc_co_u32_e32 v0, vcc, v5, v0, vcc
	v_lshlrev_b32_e32 v5, 1, v7
	v_add_co_u32_e32 v4, vcc, v4, v5
	v_addc_co_u32_e32 v0, vcc, 0, v0, vcc
	s_lshl_b64 s[0:1], s[0:1], 4
	v_mov_b32_e32 v5, s13
	v_add_co_u32_e32 v4, vcc, s12, v4
	v_lshlrev_b32_e32 v14, 1, v8
	v_addc_co_u32_e32 v5, vcc, v5, v0, vcc
	s_mov_b64 s[2:3], 0
	v_mov_b32_e32 v16, s1
	v_pk_mov_b32 v[6:7], s[20:21], s[20:21] op_sel:[0,1]
	v_mov_b32_e32 v0, v1
	v_mov_b32_e32 v10, v1
	v_mov_b32_e32 v11, v1
.LBB15_2:                               ; =>This Inner Loop Header: Depth=1
	global_load_ushort v17, v[4:5], off
	global_load_ushort v18, v[2:3], off
	v_add_co_u32_e32 v2, vcc, s0, v2
	v_addc_co_u32_e32 v3, vcc, v3, v16, vcc
	s_add_u32 s2, s2, 8
	v_add_co_u32_e32 v4, vcc, 16, v4
	v_addc_co_u32_e32 v5, vcc, 0, v5, vcc
	s_addc_u32 s3, s3, 0
	v_cmp_lt_i64_e32 vcc, s[2:3], v[6:7]
	s_and_b64 vcc, exec, vcc
	s_waitcnt vmcnt(1)
	ds_write_b16 v12, v17
	s_waitcnt vmcnt(0)
	ds_write_b16 v13, v18
	s_waitcnt lgkmcnt(0)
	s_barrier
	ds_read_b128 v[18:21], v15
	ds_read_b128 v[22:25], v15 offset:256
	ds_read_u16 v17, v14
	ds_read_u16 v26, v14 offset:32
	ds_read_u16 v27, v14 offset:64
	;; [unrolled: 1-line block ×15, first 2 shown]
	s_waitcnt lgkmcnt(14)
	v_lshrrev_b32_e32 v41, 16, v18
	v_fma_f16 v11, v17, v18, v11
	v_fma_f16 v10, v26, v18, v10
	v_lshrrev_b32_e32 v18, 16, v22
	v_fma_f16 v0, v17, v22, v0
	v_fma_f16 v1, v26, v22, v1
	s_waitcnt lgkmcnt(13)
	v_fma_f16 v11, v27, v41, v11
	s_waitcnt lgkmcnt(12)
	v_fma_f16 v10, v28, v41, v10
	v_fma_f16 v0, v27, v18, v0
	v_fma_f16 v1, v28, v18, v1
	v_lshrrev_b32_e32 v42, 16, v19
	v_lshrrev_b32_e32 v45, 16, v23
	s_waitcnt lgkmcnt(11)
	v_fma_f16 v11, v29, v19, v11
	s_waitcnt lgkmcnt(10)
	v_fma_f16 v10, v30, v19, v10
	v_fma_f16 v0, v29, v23, v0
	v_fma_f16 v1, v30, v23, v1
	s_waitcnt lgkmcnt(9)
	v_fma_f16 v11, v31, v42, v11
	s_waitcnt lgkmcnt(8)
	v_fma_f16 v10, v32, v42, v10
	v_fma_f16 v0, v31, v45, v0
	v_fma_f16 v1, v32, v45, v1
	v_lshrrev_b32_e32 v43, 16, v20
	v_lshrrev_b32_e32 v46, 16, v24
	s_waitcnt lgkmcnt(7)
	v_fma_f16 v11, v33, v20, v11
	s_waitcnt lgkmcnt(6)
	v_fma_f16 v10, v34, v20, v10
	;; [unrolled: 14-line block ×3, first 2 shown]
	v_fma_f16 v0, v37, v25, v0
	v_fma_f16 v1, v38, v25, v1
	s_waitcnt lgkmcnt(1)
	v_fma_f16 v11, v39, v44, v11
	s_waitcnt lgkmcnt(0)
	v_fma_f16 v10, v40, v44, v10
	v_fma_f16 v0, v39, v47, v0
	;; [unrolled: 1-line block ×3, first 2 shown]
	s_barrier
	s_cbranch_vccnz .LBB15_2
	s_branch .LBB15_4
.LBB15_3:
	v_mov_b32_e32 v11, 0
	v_mov_b32_e32 v10, 0
	;; [unrolled: 1-line block ×4, first 2 shown]
.LBB15_4:
	s_load_dwordx4 s[0:3], s[4:5], 0x78
	s_load_dword s9, s[4:5], 0x18
	s_load_dword s20, s[4:5], 0x50
	s_load_dwordx8 s[12:19], s[4:5], 0x58
	v_mov_b32_e32 v2, s11
	s_waitcnt lgkmcnt(0)
	s_mul_i32 s3, s8, s3
	s_mul_hi_u32 s4, s8, s2
	s_add_i32 s3, s4, s3
	s_mul_i32 s2, s8, s2
	v_add_co_u32_e32 v4, vcc, s10, v9
	s_lshl_b64 s[2:3], s[2:3], 1
	v_addc_co_u32_e32 v7, vcc, 0, v2, vcc
	s_add_u32 s4, s18, s2
	v_mov_b32_e32 v3, s7
	v_add_co_u32_e32 v2, vcc, s6, v8
	s_addc_u32 s5, s19, s3
	v_cmp_neq_f16_e64 s[2:3], s20, 0
	v_addc_co_u32_e32 v3, vcc, 0, v3, vcc
	s_and_b64 vcc, exec, s[2:3]
	v_mul_lo_u32 v5, v7, s0
	v_mul_lo_u32 v6, v4, s1
	v_lshlrev_b64 v[2:3], 1, v[2:3]
	s_cbranch_vccnz .LBB15_8
; %bb.5:
	v_mad_u64_u32 v[8:9], s[2:3], v4, s0, 0
	v_add3_u32 v9, v9, v6, v5
	v_lshlrev_b64 v[8:9], 1, v[8:9]
	v_mov_b32_e32 v12, s5
	v_add_co_u32_e32 v8, vcc, s4, v8
	v_addc_co_u32_e32 v9, vcc, v12, v9, vcc
	v_add_co_u32_e32 v8, vcc, v8, v2
	v_mul_f16_e32 v12, s9, v11
	v_addc_co_u32_e32 v9, vcc, v9, v3, vcc
	global_store_short v[8:9], v12, off
	v_mul_f16_e32 v12, s9, v10
	s_lshl_b64 s[2:3], s[0:1], 5
	global_store_short v[8:9], v12, off offset:32
	v_mov_b32_e32 v13, s3
	v_add_co_u32_e32 v8, vcc, s2, v8
	v_mul_f16_e32 v12, s9, v0
	v_addc_co_u32_e32 v9, vcc, v9, v13, vcc
	global_store_short v[8:9], v12, off
	v_mul_f16_e32 v12, s9, v1
	global_store_short v[8:9], v12, off offset:32
	s_cbranch_execnz .LBB15_7
.LBB15_6:
	s_mul_i32 s2, s8, s17
	s_mul_hi_u32 s3, s8, s16
	s_add_i32 s3, s3, s2
	s_mul_i32 s2, s8, s16
	s_lshl_b64 s[2:3], s[2:3], 1
	s_add_u32 s6, s12, s2
	s_addc_u32 s7, s13, s3
	v_mul_lo_u32 v7, v7, s14
	v_mul_lo_u32 v12, v4, s15
	v_mad_u64_u32 v[8:9], s[2:3], v4, s14, 0
	v_add3_u32 v9, v9, v12, v7
	v_lshlrev_b64 v[8:9], 1, v[8:9]
	v_mov_b32_e32 v7, s7
	v_add_co_u32_e32 v8, vcc, s6, v8
	v_addc_co_u32_e32 v7, vcc, v7, v9, vcc
	v_add_co_u32_e32 v8, vcc, v8, v2
	v_addc_co_u32_e32 v9, vcc, v7, v3, vcc
	global_load_ushort v7, v[8:9], off
	v_mad_u64_u32 v[12:13], s[2:3], v4, s0, 0
	v_add3_u32 v13, v13, v6, v5
	v_lshlrev_b64 v[4:5], 1, v[12:13]
	v_mov_b32_e32 v14, s5
	v_add_co_u32_e32 v4, vcc, s4, v4
	v_addc_co_u32_e32 v5, vcc, v14, v5, vcc
	v_add_co_u32_e32 v2, vcc, v4, v2
	v_addc_co_u32_e32 v3, vcc, v5, v3, vcc
	s_lshl_b64 s[2:3], s[14:15], 5
	v_mov_b32_e32 v5, s3
	s_lshl_b64 s[0:1], s[0:1], 5
	s_waitcnt vmcnt(0)
	v_mul_f16_e32 v4, s20, v7
	v_fma_f16 v4, v11, s9, v4
	global_store_short v[2:3], v4, off
	global_load_ushort v6, v[8:9], off offset:32
	v_add_co_u32_e32 v4, vcc, s2, v8
	v_addc_co_u32_e32 v5, vcc, v9, v5, vcc
	v_mov_b32_e32 v7, s1
	s_waitcnt vmcnt(0)
	v_mul_f16_e32 v6, s20, v6
	v_fma_f16 v6, v10, s9, v6
	global_store_short v[2:3], v6, off offset:32
	global_load_ushort v6, v[4:5], off
	v_add_co_u32_e32 v2, vcc, s0, v2
	v_addc_co_u32_e32 v3, vcc, v3, v7, vcc
	s_waitcnt vmcnt(0)
	v_mul_f16_e32 v6, s20, v6
	v_fma_f16 v0, v0, s9, v6
	global_store_short v[2:3], v0, off
	global_load_ushort v0, v[4:5], off offset:32
	s_waitcnt vmcnt(0)
	v_mul_f16_e32 v0, s20, v0
	v_fma_f16 v0, v1, s9, v0
	global_store_short v[2:3], v0, off offset:32
.LBB15_7:
	s_endpgm
.LBB15_8:
	s_branch .LBB15_6
	.section	.rodata,"a",@progbits
	.p2align	6, 0x0
	.amdhsa_kernel _ZN12_GLOBAL__N_127rocblas_gemm_batched_kernelIDF16_Li16ELi16ELi32ELi32ELi8ELi32ELi8ELi8ELi32ELc67ELc67EKDF16_S1_DF16_EEvlllT_PT11_llS4_llS2_PT12_llPT13_lli
		.amdhsa_group_segment_fixed_size 1024
		.amdhsa_private_segment_fixed_size 0
		.amdhsa_kernarg_size 140
		.amdhsa_user_sgpr_count 6
		.amdhsa_user_sgpr_private_segment_buffer 1
		.amdhsa_user_sgpr_dispatch_ptr 0
		.amdhsa_user_sgpr_queue_ptr 0
		.amdhsa_user_sgpr_kernarg_segment_ptr 1
		.amdhsa_user_sgpr_dispatch_id 0
		.amdhsa_user_sgpr_flat_scratch_init 0
		.amdhsa_user_sgpr_kernarg_preload_length 0
		.amdhsa_user_sgpr_kernarg_preload_offset 0
		.amdhsa_user_sgpr_private_segment_size 0
		.amdhsa_uses_dynamic_stack 0
		.amdhsa_system_sgpr_private_segment_wavefront_offset 0
		.amdhsa_system_sgpr_workgroup_id_x 1
		.amdhsa_system_sgpr_workgroup_id_y 1
		.amdhsa_system_sgpr_workgroup_id_z 1
		.amdhsa_system_sgpr_workgroup_info 0
		.amdhsa_system_vgpr_workitem_id 1
		.amdhsa_next_free_vgpr 48
		.amdhsa_next_free_sgpr 24
		.amdhsa_accum_offset 48
		.amdhsa_reserve_vcc 1
		.amdhsa_reserve_flat_scratch 0
		.amdhsa_float_round_mode_32 0
		.amdhsa_float_round_mode_16_64 0
		.amdhsa_float_denorm_mode_32 3
		.amdhsa_float_denorm_mode_16_64 3
		.amdhsa_dx10_clamp 1
		.amdhsa_ieee_mode 1
		.amdhsa_fp16_overflow 0
		.amdhsa_tg_split 0
		.amdhsa_exception_fp_ieee_invalid_op 0
		.amdhsa_exception_fp_denorm_src 0
		.amdhsa_exception_fp_ieee_div_zero 0
		.amdhsa_exception_fp_ieee_overflow 0
		.amdhsa_exception_fp_ieee_underflow 0
		.amdhsa_exception_fp_ieee_inexact 0
		.amdhsa_exception_int_div_zero 0
	.end_amdhsa_kernel
	.section	.text._ZN12_GLOBAL__N_127rocblas_gemm_batched_kernelIDF16_Li16ELi16ELi32ELi32ELi8ELi32ELi8ELi8ELi32ELc67ELc67EKDF16_S1_DF16_EEvlllT_PT11_llS4_llS2_PT12_llPT13_lli,"axG",@progbits,_ZN12_GLOBAL__N_127rocblas_gemm_batched_kernelIDF16_Li16ELi16ELi32ELi32ELi8ELi32ELi8ELi8ELi32ELc67ELc67EKDF16_S1_DF16_EEvlllT_PT11_llS4_llS2_PT12_llPT13_lli,comdat
.Lfunc_end15:
	.size	_ZN12_GLOBAL__N_127rocblas_gemm_batched_kernelIDF16_Li16ELi16ELi32ELi32ELi8ELi32ELi8ELi8ELi32ELc67ELc67EKDF16_S1_DF16_EEvlllT_PT11_llS4_llS2_PT12_llPT13_lli, .Lfunc_end15-_ZN12_GLOBAL__N_127rocblas_gemm_batched_kernelIDF16_Li16ELi16ELi32ELi32ELi8ELi32ELi8ELi8ELi32ELc67ELc67EKDF16_S1_DF16_EEvlllT_PT11_llS4_llS2_PT12_llPT13_lli
                                        ; -- End function
	.section	.AMDGPU.csdata,"",@progbits
; Kernel info:
; codeLenInByte = 1520
; NumSgprs: 28
; NumVgprs: 48
; NumAgprs: 0
; TotalNumVgprs: 48
; ScratchSize: 0
; MemoryBound: 0
; FloatMode: 240
; IeeeMode: 1
; LDSByteSize: 1024 bytes/workgroup (compile time only)
; SGPRBlocks: 3
; VGPRBlocks: 5
; NumSGPRsForWavesPerEU: 28
; NumVGPRsForWavesPerEU: 48
; AccumOffset: 48
; Occupancy: 8
; WaveLimiterHint : 0
; COMPUTE_PGM_RSRC2:SCRATCH_EN: 0
; COMPUTE_PGM_RSRC2:USER_SGPR: 6
; COMPUTE_PGM_RSRC2:TRAP_HANDLER: 0
; COMPUTE_PGM_RSRC2:TGID_X_EN: 1
; COMPUTE_PGM_RSRC2:TGID_Y_EN: 1
; COMPUTE_PGM_RSRC2:TGID_Z_EN: 1
; COMPUTE_PGM_RSRC2:TIDIG_COMP_CNT: 1
; COMPUTE_PGM_RSRC3_GFX90A:ACCUM_OFFSET: 11
; COMPUTE_PGM_RSRC3_GFX90A:TG_SPLIT: 0
	.section	.text._ZN12_GLOBAL__N_127rocblas_gemm_batched_kernelIDF16_Li16ELi16ELi32ELi32ELi8ELi32ELi8ELi8ELi32ELc67ELc78EKDF16_S1_DF16_EEvlllT_PT11_llS4_llS2_PT12_llPT13_lli,"axG",@progbits,_ZN12_GLOBAL__N_127rocblas_gemm_batched_kernelIDF16_Li16ELi16ELi32ELi32ELi8ELi32ELi8ELi8ELi32ELc67ELc78EKDF16_S1_DF16_EEvlllT_PT11_llS4_llS2_PT12_llPT13_lli,comdat
	.globl	_ZN12_GLOBAL__N_127rocblas_gemm_batched_kernelIDF16_Li16ELi16ELi32ELi32ELi8ELi32ELi8ELi8ELi32ELc67ELc78EKDF16_S1_DF16_EEvlllT_PT11_llS4_llS2_PT12_llPT13_lli ; -- Begin function _ZN12_GLOBAL__N_127rocblas_gemm_batched_kernelIDF16_Li16ELi16ELi32ELi32ELi8ELi32ELi8ELi8ELi32ELc67ELc78EKDF16_S1_DF16_EEvlllT_PT11_llS4_llS2_PT12_llPT13_lli
	.p2align	8
	.type	_ZN12_GLOBAL__N_127rocblas_gemm_batched_kernelIDF16_Li16ELi16ELi32ELi32ELi8ELi32ELi8ELi8ELi32ELc67ELc78EKDF16_S1_DF16_EEvlllT_PT11_llS4_llS2_PT12_llPT13_lli,@function
_ZN12_GLOBAL__N_127rocblas_gemm_batched_kernelIDF16_Li16ELi16ELi32ELi32ELi8ELi32ELi8ELi8ELi32ELc67ELc78EKDF16_S1_DF16_EEvlllT_PT11_llS4_llS2_PT12_llPT13_lli: ; @_ZN12_GLOBAL__N_127rocblas_gemm_batched_kernelIDF16_Li16ELi16ELi32ELi32ELi8ELi32ELi8ELi8ELi32ELc67ELc78EKDF16_S1_DF16_EEvlllT_PT11_llS4_llS2_PT12_llPT13_lli
; %bb.0:
	s_load_dwordx2 s[2:3], s[4:5], 0x10
	s_mov_b32 s0, s7
	s_ashr_i32 s1, s0, 31
	s_ashr_i32 s7, s6, 31
	s_lshl_b64 s[10:11], s[0:1], 5
	s_waitcnt lgkmcnt(0)
	v_cmp_lt_i64_e64 s[0:1], s[2:3], 1
	v_bfe_u32 v9, v0, 10, 10
	v_and_b32_e32 v7, 0x3ff, v0
	s_lshl_b64 s[6:7], s[6:7], 5
	s_and_b64 vcc, exec, s[0:1]
	s_cbranch_vccnz .LBB16_3
; %bb.1:
	s_load_dwordx8 s[12:19], s[4:5], 0x20
	s_load_dwordx4 s[20:23], s[4:5], 0x40
	v_lshlrev_b32_e32 v0, 4, v9
	v_add_u32_e32 v1, v0, v7
	v_and_b32_e32 v5, 7, v7
	v_and_b32_e32 v6, 31, v1
	v_lshrrev_b32_e32 v2, 3, v1
	v_lshrrev_b32_e32 v8, 5, v1
	v_lshlrev_b32_e32 v1, 1, v6
	v_lshlrev_b32_e32 v5, 1, v5
	v_mov_b32_e32 v3, s11
	v_add_co_u32_e32 v4, vcc, s10, v2
	v_lshl_or_b32 v12, v8, 6, v1
	v_lshl_or_b32 v1, v2, 4, v5
	v_addc_co_u32_e32 v3, vcc, 0, v3, vcc
	v_add_u32_e32 v13, 0x200, v1
	v_add_u32_e32 v15, 0x200, v0
	s_waitcnt lgkmcnt(0)
	v_mad_u64_u32 v[0:1], s[0:1], s20, v4, 0
	v_mul_lo_u32 v2, s21, v4
	v_mul_lo_u32 v3, s20, v3
	s_mul_i32 s0, s23, s8
	s_mul_hi_u32 s1, s22, s8
	v_add3_u32 v1, v1, v3, v2
	s_add_i32 s1, s1, s0
	s_mul_i32 s0, s22, s8
	v_lshlrev_b64 v[0:1], 1, v[0:1]
	s_lshl_b64 s[0:1], s[0:1], 1
	v_mov_b32_e32 v2, s1
	v_add_co_u32_e32 v0, vcc, s0, v0
	v_addc_co_u32_e32 v1, vcc, v1, v2, vcc
	v_add_co_u32_e32 v0, vcc, v0, v5
	v_addc_co_u32_e32 v1, vcc, 0, v1, vcc
	v_mov_b32_e32 v2, s19
	v_add_co_u32_e32 v0, vcc, s18, v0
	v_addc_co_u32_e32 v1, vcc, v2, v1, vcc
	v_mov_b32_e32 v2, s7
	v_add_co_u32_e32 v3, vcc, s6, v6
	v_addc_co_u32_e32 v2, vcc, 0, v2, vcc
	v_mul_lo_u32 v4, s15, v3
	v_mul_lo_u32 v5, s14, v2
	v_mad_u64_u32 v[2:3], s[0:1], s14, v3, 0
	s_mul_i32 s0, s17, s8
	s_mul_hi_u32 s1, s16, s8
	v_add3_u32 v3, v3, v5, v4
	s_add_i32 s1, s1, s0
	s_mul_i32 s0, s16, s8
	v_lshlrev_b64 v[2:3], 1, v[2:3]
	s_lshl_b64 s[0:1], s[0:1], 1
	v_mov_b32_e32 v4, s1
	v_add_co_u32_e32 v2, vcc, s0, v2
	v_addc_co_u32_e32 v3, vcc, v3, v4, vcc
	v_lshlrev_b32_e32 v4, 1, v8
	v_add_co_u32_e32 v2, vcc, v2, v4
	v_addc_co_u32_e32 v3, vcc, 0, v3, vcc
	v_mov_b32_e32 v4, s13
	v_add_co_u32_e32 v2, vcc, s12, v2
	v_lshlrev_b32_e32 v14, 1, v7
	v_addc_co_u32_e32 v3, vcc, v4, v3, vcc
	s_mov_b64 s[0:1], 0
	v_mov_b32_e32 v6, 0
	v_pk_mov_b32 v[4:5], s[2:3], s[2:3] op_sel:[0,1]
	v_mov_b32_e32 v8, 0
	v_mov_b32_e32 v10, 0
	;; [unrolled: 1-line block ×3, first 2 shown]
.LBB16_2:                               ; =>This Inner Loop Header: Depth=1
	global_load_ushort v16, v[2:3], off
	global_load_ushort v17, v[0:1], off
	v_add_co_u32_e32 v0, vcc, 16, v0
	v_addc_co_u32_e32 v1, vcc, 0, v1, vcc
	s_add_u32 s0, s0, 8
	v_add_co_u32_e32 v2, vcc, 16, v2
	v_addc_co_u32_e32 v3, vcc, 0, v3, vcc
	s_addc_u32 s1, s1, 0
	v_cmp_lt_i64_e32 vcc, s[0:1], v[4:5]
	s_and_b64 vcc, exec, vcc
	s_waitcnt vmcnt(1)
	ds_write_b16 v12, v16
	s_waitcnt vmcnt(0)
	ds_write_b16 v13, v17
	s_waitcnt lgkmcnt(0)
	s_barrier
	ds_read_b128 v[16:19], v15
	ds_read_b128 v[20:23], v15 offset:256
	ds_read_u16 v24, v14
	ds_read_u16 v25, v14 offset:32
	ds_read_u16 v26, v14 offset:64
	;; [unrolled: 1-line block ×15, first 2 shown]
	s_waitcnt lgkmcnt(14)
	v_lshrrev_b32_e32 v40, 16, v16
	v_fma_f16 v11, v24, v16, v11
	v_fma_f16 v10, v25, v16, v10
	v_lshrrev_b32_e32 v16, 16, v20
	v_fma_f16 v8, v24, v20, v8
	v_fma_f16 v6, v25, v20, v6
	s_waitcnt lgkmcnt(13)
	v_fma_f16 v11, v26, v40, v11
	s_waitcnt lgkmcnt(12)
	v_fma_f16 v10, v27, v40, v10
	v_fma_f16 v8, v26, v16, v8
	v_fma_f16 v6, v27, v16, v6
	v_lshrrev_b32_e32 v41, 16, v17
	v_lshrrev_b32_e32 v44, 16, v21
	s_waitcnt lgkmcnt(11)
	v_fma_f16 v11, v28, v17, v11
	s_waitcnt lgkmcnt(10)
	v_fma_f16 v10, v29, v17, v10
	v_fma_f16 v8, v28, v21, v8
	v_fma_f16 v6, v29, v21, v6
	s_waitcnt lgkmcnt(9)
	v_fma_f16 v11, v30, v41, v11
	s_waitcnt lgkmcnt(8)
	v_fma_f16 v10, v31, v41, v10
	v_fma_f16 v8, v30, v44, v8
	v_fma_f16 v6, v31, v44, v6
	v_lshrrev_b32_e32 v42, 16, v18
	v_lshrrev_b32_e32 v45, 16, v22
	s_waitcnt lgkmcnt(7)
	v_fma_f16 v11, v32, v18, v11
	s_waitcnt lgkmcnt(6)
	v_fma_f16 v10, v33, v18, v10
	;; [unrolled: 14-line block ×3, first 2 shown]
	v_fma_f16 v8, v36, v23, v8
	v_fma_f16 v6, v37, v23, v6
	s_waitcnt lgkmcnt(1)
	v_fma_f16 v11, v38, v43, v11
	s_waitcnt lgkmcnt(0)
	v_fma_f16 v10, v39, v43, v10
	v_fma_f16 v8, v38, v46, v8
	;; [unrolled: 1-line block ×3, first 2 shown]
	s_barrier
	s_cbranch_vccnz .LBB16_2
	s_branch .LBB16_4
.LBB16_3:
	v_mov_b32_e32 v11, 0
	v_mov_b32_e32 v10, 0
	;; [unrolled: 1-line block ×4, first 2 shown]
.LBB16_4:
	s_load_dwordx4 s[0:3], s[4:5], 0x78
	s_load_dword s9, s[4:5], 0x18
	s_load_dword s20, s[4:5], 0x50
	s_load_dwordx8 s[12:19], s[4:5], 0x58
	v_mov_b32_e32 v0, s11
	s_waitcnt lgkmcnt(0)
	s_mul_i32 s3, s8, s3
	s_mul_hi_u32 s4, s8, s2
	s_add_i32 s3, s4, s3
	s_mul_i32 s2, s8, s2
	v_add_co_u32_e32 v2, vcc, s10, v9
	s_lshl_b64 s[2:3], s[2:3], 1
	v_addc_co_u32_e32 v5, vcc, 0, v0, vcc
	s_add_u32 s4, s18, s2
	v_mov_b32_e32 v1, s7
	v_add_co_u32_e32 v0, vcc, s6, v7
	s_addc_u32 s5, s19, s3
	v_cmp_neq_f16_e64 s[2:3], s20, 0
	v_addc_co_u32_e32 v1, vcc, 0, v1, vcc
	s_and_b64 vcc, exec, s[2:3]
	v_mul_lo_u32 v3, v5, s0
	v_mul_lo_u32 v4, v2, s1
	v_lshlrev_b64 v[0:1], 1, v[0:1]
	s_cbranch_vccnz .LBB16_8
; %bb.5:
	v_mad_u64_u32 v[12:13], s[2:3], v2, s0, 0
	v_add3_u32 v13, v13, v4, v3
	v_lshlrev_b64 v[12:13], 1, v[12:13]
	v_mov_b32_e32 v7, s5
	v_add_co_u32_e32 v9, vcc, s4, v12
	v_addc_co_u32_e32 v7, vcc, v7, v13, vcc
	v_add_co_u32_e32 v12, vcc, v9, v0
	v_mul_f16_e32 v14, s9, v11
	v_addc_co_u32_e32 v13, vcc, v7, v1, vcc
	v_mul_f16_e32 v7, s9, v10
	s_lshl_b64 s[2:3], s[0:1], 5
	global_store_short v[12:13], v14, off
	global_store_short v[12:13], v7, off offset:32
	v_mov_b32_e32 v9, s3
	v_add_co_u32_e32 v12, vcc, s2, v12
	v_mul_f16_e32 v7, s9, v8
	v_addc_co_u32_e32 v13, vcc, v13, v9, vcc
	global_store_short v[12:13], v7, off
	v_mul_f16_e32 v7, s9, v6
	global_store_short v[12:13], v7, off offset:32
	s_cbranch_execnz .LBB16_7
.LBB16_6:
	s_mul_i32 s2, s8, s17
	s_mul_hi_u32 s3, s8, s16
	s_add_i32 s3, s3, s2
	s_mul_i32 s2, s8, s16
	s_lshl_b64 s[2:3], s[2:3], 1
	s_add_u32 s6, s12, s2
	s_addc_u32 s7, s13, s3
	v_mul_lo_u32 v5, v5, s14
	v_mul_lo_u32 v7, v2, s15
	v_mad_u64_u32 v[12:13], s[2:3], v2, s14, 0
	v_add3_u32 v13, v13, v7, v5
	v_lshlrev_b64 v[12:13], 1, v[12:13]
	v_mov_b32_e32 v5, s7
	v_add_co_u32_e32 v7, vcc, s6, v12
	v_addc_co_u32_e32 v5, vcc, v5, v13, vcc
	v_add_co_u32_e32 v12, vcc, v7, v0
	v_addc_co_u32_e32 v13, vcc, v5, v1, vcc
	global_load_ushort v5, v[12:13], off
	v_mad_u64_u32 v[14:15], s[2:3], v2, s0, 0
	v_add3_u32 v15, v15, v4, v3
	v_lshlrev_b64 v[2:3], 1, v[14:15]
	v_mov_b32_e32 v7, s5
	v_add_co_u32_e32 v2, vcc, s4, v2
	v_addc_co_u32_e32 v3, vcc, v7, v3, vcc
	v_add_co_u32_e32 v0, vcc, v2, v0
	v_addc_co_u32_e32 v1, vcc, v3, v1, vcc
	s_lshl_b64 s[2:3], s[14:15], 5
	v_mov_b32_e32 v3, s3
	s_lshl_b64 s[0:1], s[0:1], 5
	s_waitcnt vmcnt(0)
	v_mul_f16_e32 v2, s20, v5
	v_fma_f16 v2, v11, s9, v2
	global_store_short v[0:1], v2, off
	global_load_ushort v4, v[12:13], off offset:32
	v_add_co_u32_e32 v2, vcc, s2, v12
	v_addc_co_u32_e32 v3, vcc, v13, v3, vcc
	v_mov_b32_e32 v5, s1
	s_waitcnt vmcnt(0)
	v_mul_f16_e32 v4, s20, v4
	v_fma_f16 v4, v10, s9, v4
	global_store_short v[0:1], v4, off offset:32
	global_load_ushort v4, v[2:3], off
	v_add_co_u32_e32 v0, vcc, s0, v0
	v_addc_co_u32_e32 v1, vcc, v1, v5, vcc
	s_waitcnt vmcnt(0)
	v_mul_f16_e32 v4, s20, v4
	v_fma_f16 v4, v8, s9, v4
	global_store_short v[0:1], v4, off
	global_load_ushort v2, v[2:3], off offset:32
	s_waitcnt vmcnt(0)
	v_mul_f16_e32 v2, s20, v2
	v_fma_f16 v2, v6, s9, v2
	global_store_short v[0:1], v2, off offset:32
.LBB16_7:
	s_endpgm
.LBB16_8:
	s_branch .LBB16_6
	.section	.rodata,"a",@progbits
	.p2align	6, 0x0
	.amdhsa_kernel _ZN12_GLOBAL__N_127rocblas_gemm_batched_kernelIDF16_Li16ELi16ELi32ELi32ELi8ELi32ELi8ELi8ELi32ELc67ELc78EKDF16_S1_DF16_EEvlllT_PT11_llS4_llS2_PT12_llPT13_lli
		.amdhsa_group_segment_fixed_size 1024
		.amdhsa_private_segment_fixed_size 0
		.amdhsa_kernarg_size 140
		.amdhsa_user_sgpr_count 6
		.amdhsa_user_sgpr_private_segment_buffer 1
		.amdhsa_user_sgpr_dispatch_ptr 0
		.amdhsa_user_sgpr_queue_ptr 0
		.amdhsa_user_sgpr_kernarg_segment_ptr 1
		.amdhsa_user_sgpr_dispatch_id 0
		.amdhsa_user_sgpr_flat_scratch_init 0
		.amdhsa_user_sgpr_kernarg_preload_length 0
		.amdhsa_user_sgpr_kernarg_preload_offset 0
		.amdhsa_user_sgpr_private_segment_size 0
		.amdhsa_uses_dynamic_stack 0
		.amdhsa_system_sgpr_private_segment_wavefront_offset 0
		.amdhsa_system_sgpr_workgroup_id_x 1
		.amdhsa_system_sgpr_workgroup_id_y 1
		.amdhsa_system_sgpr_workgroup_id_z 1
		.amdhsa_system_sgpr_workgroup_info 0
		.amdhsa_system_vgpr_workitem_id 1
		.amdhsa_next_free_vgpr 47
		.amdhsa_next_free_sgpr 24
		.amdhsa_accum_offset 48
		.amdhsa_reserve_vcc 1
		.amdhsa_reserve_flat_scratch 0
		.amdhsa_float_round_mode_32 0
		.amdhsa_float_round_mode_16_64 0
		.amdhsa_float_denorm_mode_32 3
		.amdhsa_float_denorm_mode_16_64 3
		.amdhsa_dx10_clamp 1
		.amdhsa_ieee_mode 1
		.amdhsa_fp16_overflow 0
		.amdhsa_tg_split 0
		.amdhsa_exception_fp_ieee_invalid_op 0
		.amdhsa_exception_fp_denorm_src 0
		.amdhsa_exception_fp_ieee_div_zero 0
		.amdhsa_exception_fp_ieee_overflow 0
		.amdhsa_exception_fp_ieee_underflow 0
		.amdhsa_exception_fp_ieee_inexact 0
		.amdhsa_exception_int_div_zero 0
	.end_amdhsa_kernel
	.section	.text._ZN12_GLOBAL__N_127rocblas_gemm_batched_kernelIDF16_Li16ELi16ELi32ELi32ELi8ELi32ELi8ELi8ELi32ELc67ELc78EKDF16_S1_DF16_EEvlllT_PT11_llS4_llS2_PT12_llPT13_lli,"axG",@progbits,_ZN12_GLOBAL__N_127rocblas_gemm_batched_kernelIDF16_Li16ELi16ELi32ELi32ELi8ELi32ELi8ELi8ELi32ELc67ELc78EKDF16_S1_DF16_EEvlllT_PT11_llS4_llS2_PT12_llPT13_lli,comdat
.Lfunc_end16:
	.size	_ZN12_GLOBAL__N_127rocblas_gemm_batched_kernelIDF16_Li16ELi16ELi32ELi32ELi8ELi32ELi8ELi8ELi32ELc67ELc78EKDF16_S1_DF16_EEvlllT_PT11_llS4_llS2_PT12_llPT13_lli, .Lfunc_end16-_ZN12_GLOBAL__N_127rocblas_gemm_batched_kernelIDF16_Li16ELi16ELi32ELi32ELi8ELi32ELi8ELi8ELi32ELc67ELc78EKDF16_S1_DF16_EEvlllT_PT11_llS4_llS2_PT12_llPT13_lli
                                        ; -- End function
	.section	.AMDGPU.csdata,"",@progbits
; Kernel info:
; codeLenInByte = 1532
; NumSgprs: 28
; NumVgprs: 47
; NumAgprs: 0
; TotalNumVgprs: 47
; ScratchSize: 0
; MemoryBound: 0
; FloatMode: 240
; IeeeMode: 1
; LDSByteSize: 1024 bytes/workgroup (compile time only)
; SGPRBlocks: 3
; VGPRBlocks: 5
; NumSGPRsForWavesPerEU: 28
; NumVGPRsForWavesPerEU: 47
; AccumOffset: 48
; Occupancy: 8
; WaveLimiterHint : 0
; COMPUTE_PGM_RSRC2:SCRATCH_EN: 0
; COMPUTE_PGM_RSRC2:USER_SGPR: 6
; COMPUTE_PGM_RSRC2:TRAP_HANDLER: 0
; COMPUTE_PGM_RSRC2:TGID_X_EN: 1
; COMPUTE_PGM_RSRC2:TGID_Y_EN: 1
; COMPUTE_PGM_RSRC2:TGID_Z_EN: 1
; COMPUTE_PGM_RSRC2:TIDIG_COMP_CNT: 1
; COMPUTE_PGM_RSRC3_GFX90A:ACCUM_OFFSET: 11
; COMPUTE_PGM_RSRC3_GFX90A:TG_SPLIT: 0
	.section	.text._ZN12_GLOBAL__N_127rocblas_gemm_batched_kernelIDF16_Li16ELi16ELi32ELi32ELi8ELi32ELi8ELi8ELi32ELc67ELc84EKDF16_S1_DF16_EEvlllT_PT11_llS4_llS2_PT12_llPT13_lli,"axG",@progbits,_ZN12_GLOBAL__N_127rocblas_gemm_batched_kernelIDF16_Li16ELi16ELi32ELi32ELi8ELi32ELi8ELi8ELi32ELc67ELc84EKDF16_S1_DF16_EEvlllT_PT11_llS4_llS2_PT12_llPT13_lli,comdat
	.globl	_ZN12_GLOBAL__N_127rocblas_gemm_batched_kernelIDF16_Li16ELi16ELi32ELi32ELi8ELi32ELi8ELi8ELi32ELc67ELc84EKDF16_S1_DF16_EEvlllT_PT11_llS4_llS2_PT12_llPT13_lli ; -- Begin function _ZN12_GLOBAL__N_127rocblas_gemm_batched_kernelIDF16_Li16ELi16ELi32ELi32ELi8ELi32ELi8ELi8ELi32ELc67ELc84EKDF16_S1_DF16_EEvlllT_PT11_llS4_llS2_PT12_llPT13_lli
	.p2align	8
	.type	_ZN12_GLOBAL__N_127rocblas_gemm_batched_kernelIDF16_Li16ELi16ELi32ELi32ELi8ELi32ELi8ELi8ELi32ELc67ELc84EKDF16_S1_DF16_EEvlllT_PT11_llS4_llS2_PT12_llPT13_lli,@function
_ZN12_GLOBAL__N_127rocblas_gemm_batched_kernelIDF16_Li16ELi16ELi32ELi32ELi8ELi32ELi8ELi8ELi32ELc67ELc84EKDF16_S1_DF16_EEvlllT_PT11_llS4_llS2_PT12_llPT13_lli: ; @_ZN12_GLOBAL__N_127rocblas_gemm_batched_kernelIDF16_Li16ELi16ELi32ELi32ELi8ELi32ELi8ELi8ELi32ELc67ELc84EKDF16_S1_DF16_EEvlllT_PT11_llS4_llS2_PT12_llPT13_lli
; %bb.0:
	s_load_dwordx2 s[20:21], s[4:5], 0x10
	s_mov_b32 s0, s7
	s_ashr_i32 s1, s0, 31
	s_ashr_i32 s7, s6, 31
	s_lshl_b64 s[10:11], s[0:1], 5
	s_waitcnt lgkmcnt(0)
	v_cmp_lt_i64_e64 s[0:1], s[20:21], 1
	v_bfe_u32 v9, v0, 10, 10
	v_and_b32_e32 v8, 0x3ff, v0
	s_lshl_b64 s[6:7], s[6:7], 5
	s_and_b64 vcc, exec, s[0:1]
	s_cbranch_vccnz .LBB17_3
; %bb.1:
	v_lshlrev_b32_e32 v2, 4, v9
	s_load_dwordx8 s[12:19], s[4:5], 0x20
	s_load_dwordx4 s[0:3], s[4:5], 0x40
	v_add_u32_e32 v3, v2, v8
	v_and_b32_e32 v6, 31, v3
	v_lshrrev_b32_e32 v0, 3, v3
	v_and_b32_e32 v4, 7, v8
	v_lshrrev_b32_e32 v7, 5, v3
	v_lshlrev_b32_e32 v3, 1, v6
	v_lshl_or_b32 v12, v7, 6, v3
	v_lshlrev_b32_e32 v3, 1, v4
	v_mov_b32_e32 v1, 0
	v_lshl_or_b32 v3, v0, 4, v3
	v_add_u32_e32 v13, 0x200, v3
	v_add_u32_e32 v15, 0x200, v2
	s_waitcnt lgkmcnt(0)
	v_mad_u64_u32 v[2:3], s[22:23], v4, s0, v[0:1]
	s_mul_i32 s3, s3, s8
	s_mul_hi_u32 s9, s2, s8
	v_mov_b32_e32 v0, v3
	s_add_i32 s3, s9, s3
	s_mul_i32 s2, s2, s8
	v_mad_u64_u32 v[4:5], s[22:23], v4, s1, v[0:1]
	s_lshl_b64 s[2:3], s[2:3], 1
	v_mov_b32_e32 v3, v4
	v_mov_b32_e32 v0, s11
	v_add_co_u32_e32 v2, vcc, s10, v2
	v_addc_co_u32_e32 v3, vcc, v3, v0, vcc
	s_add_u32 s2, s18, s2
	v_lshlrev_b64 v[2:3], 1, v[2:3]
	s_addc_u32 s3, s19, s3
	v_mov_b32_e32 v0, s3
	v_add_co_u32_e32 v2, vcc, s2, v2
	v_addc_co_u32_e32 v3, vcc, v0, v3, vcc
	v_mov_b32_e32 v0, s7
	v_add_co_u32_e32 v4, vcc, s6, v6
	v_addc_co_u32_e32 v0, vcc, 0, v0, vcc
	v_mul_lo_u32 v6, s15, v4
	v_mad_u64_u32 v[4:5], s[2:3], s14, v4, 0
	v_mul_lo_u32 v0, s14, v0
	s_mul_i32 s2, s17, s8
	s_mul_hi_u32 s3, s16, s8
	v_add3_u32 v5, v5, v0, v6
	s_add_i32 s3, s3, s2
	s_mul_i32 s2, s16, s8
	v_lshlrev_b64 v[4:5], 1, v[4:5]
	s_lshl_b64 s[2:3], s[2:3], 1
	v_mov_b32_e32 v0, s3
	v_add_co_u32_e32 v4, vcc, s2, v4
	v_addc_co_u32_e32 v0, vcc, v5, v0, vcc
	v_lshlrev_b32_e32 v5, 1, v7
	v_add_co_u32_e32 v4, vcc, v4, v5
	v_addc_co_u32_e32 v0, vcc, 0, v0, vcc
	s_lshl_b64 s[0:1], s[0:1], 4
	v_mov_b32_e32 v5, s13
	v_add_co_u32_e32 v4, vcc, s12, v4
	v_lshlrev_b32_e32 v14, 1, v8
	v_addc_co_u32_e32 v5, vcc, v5, v0, vcc
	s_mov_b64 s[2:3], 0
	v_mov_b32_e32 v16, s1
	v_pk_mov_b32 v[6:7], s[20:21], s[20:21] op_sel:[0,1]
	v_mov_b32_e32 v0, v1
	v_mov_b32_e32 v10, v1
	;; [unrolled: 1-line block ×3, first 2 shown]
.LBB17_2:                               ; =>This Inner Loop Header: Depth=1
	global_load_ushort v17, v[4:5], off
	global_load_ushort v18, v[2:3], off
	v_add_co_u32_e32 v2, vcc, s0, v2
	v_addc_co_u32_e32 v3, vcc, v3, v16, vcc
	s_add_u32 s2, s2, 8
	v_add_co_u32_e32 v4, vcc, 16, v4
	v_addc_co_u32_e32 v5, vcc, 0, v5, vcc
	s_addc_u32 s3, s3, 0
	v_cmp_lt_i64_e32 vcc, s[2:3], v[6:7]
	s_and_b64 vcc, exec, vcc
	s_waitcnt vmcnt(1)
	ds_write_b16 v12, v17
	s_waitcnt vmcnt(0)
	ds_write_b16 v13, v18
	s_waitcnt lgkmcnt(0)
	s_barrier
	ds_read_b128 v[18:21], v15
	ds_read_b128 v[22:25], v15 offset:256
	ds_read_u16 v17, v14
	ds_read_u16 v26, v14 offset:32
	ds_read_u16 v27, v14 offset:64
	;; [unrolled: 1-line block ×15, first 2 shown]
	s_waitcnt lgkmcnt(14)
	v_lshrrev_b32_e32 v41, 16, v18
	v_fma_f16 v11, v17, v18, v11
	v_fma_f16 v10, v26, v18, v10
	v_lshrrev_b32_e32 v18, 16, v22
	v_fma_f16 v0, v17, v22, v0
	v_fma_f16 v1, v26, v22, v1
	s_waitcnt lgkmcnt(13)
	v_fma_f16 v11, v27, v41, v11
	s_waitcnt lgkmcnt(12)
	v_fma_f16 v10, v28, v41, v10
	v_fma_f16 v0, v27, v18, v0
	v_fma_f16 v1, v28, v18, v1
	v_lshrrev_b32_e32 v42, 16, v19
	v_lshrrev_b32_e32 v45, 16, v23
	s_waitcnt lgkmcnt(11)
	v_fma_f16 v11, v29, v19, v11
	s_waitcnt lgkmcnt(10)
	v_fma_f16 v10, v30, v19, v10
	v_fma_f16 v0, v29, v23, v0
	v_fma_f16 v1, v30, v23, v1
	s_waitcnt lgkmcnt(9)
	v_fma_f16 v11, v31, v42, v11
	s_waitcnt lgkmcnt(8)
	v_fma_f16 v10, v32, v42, v10
	v_fma_f16 v0, v31, v45, v0
	v_fma_f16 v1, v32, v45, v1
	v_lshrrev_b32_e32 v43, 16, v20
	v_lshrrev_b32_e32 v46, 16, v24
	s_waitcnt lgkmcnt(7)
	v_fma_f16 v11, v33, v20, v11
	s_waitcnt lgkmcnt(6)
	v_fma_f16 v10, v34, v20, v10
	;; [unrolled: 14-line block ×3, first 2 shown]
	v_fma_f16 v0, v37, v25, v0
	v_fma_f16 v1, v38, v25, v1
	s_waitcnt lgkmcnt(1)
	v_fma_f16 v11, v39, v44, v11
	s_waitcnt lgkmcnt(0)
	v_fma_f16 v10, v40, v44, v10
	v_fma_f16 v0, v39, v47, v0
	;; [unrolled: 1-line block ×3, first 2 shown]
	s_barrier
	s_cbranch_vccnz .LBB17_2
	s_branch .LBB17_4
.LBB17_3:
	v_mov_b32_e32 v11, 0
	v_mov_b32_e32 v10, 0
	;; [unrolled: 1-line block ×4, first 2 shown]
.LBB17_4:
	s_load_dwordx4 s[0:3], s[4:5], 0x78
	s_load_dword s9, s[4:5], 0x18
	s_load_dword s20, s[4:5], 0x50
	s_load_dwordx8 s[12:19], s[4:5], 0x58
	v_mov_b32_e32 v2, s11
	s_waitcnt lgkmcnt(0)
	s_mul_i32 s3, s8, s3
	s_mul_hi_u32 s4, s8, s2
	s_add_i32 s3, s4, s3
	s_mul_i32 s2, s8, s2
	v_add_co_u32_e32 v4, vcc, s10, v9
	s_lshl_b64 s[2:3], s[2:3], 1
	v_addc_co_u32_e32 v7, vcc, 0, v2, vcc
	s_add_u32 s4, s18, s2
	v_mov_b32_e32 v3, s7
	v_add_co_u32_e32 v2, vcc, s6, v8
	s_addc_u32 s5, s19, s3
	v_cmp_neq_f16_e64 s[2:3], s20, 0
	v_addc_co_u32_e32 v3, vcc, 0, v3, vcc
	s_and_b64 vcc, exec, s[2:3]
	v_mul_lo_u32 v5, v7, s0
	v_mul_lo_u32 v6, v4, s1
	v_lshlrev_b64 v[2:3], 1, v[2:3]
	s_cbranch_vccnz .LBB17_8
; %bb.5:
	v_mad_u64_u32 v[8:9], s[2:3], v4, s0, 0
	v_add3_u32 v9, v9, v6, v5
	v_lshlrev_b64 v[8:9], 1, v[8:9]
	v_mov_b32_e32 v12, s5
	v_add_co_u32_e32 v8, vcc, s4, v8
	v_addc_co_u32_e32 v9, vcc, v12, v9, vcc
	v_add_co_u32_e32 v8, vcc, v8, v2
	v_mul_f16_e32 v12, s9, v11
	v_addc_co_u32_e32 v9, vcc, v9, v3, vcc
	global_store_short v[8:9], v12, off
	v_mul_f16_e32 v12, s9, v10
	s_lshl_b64 s[2:3], s[0:1], 5
	global_store_short v[8:9], v12, off offset:32
	v_mov_b32_e32 v13, s3
	v_add_co_u32_e32 v8, vcc, s2, v8
	v_mul_f16_e32 v12, s9, v0
	v_addc_co_u32_e32 v9, vcc, v9, v13, vcc
	global_store_short v[8:9], v12, off
	v_mul_f16_e32 v12, s9, v1
	global_store_short v[8:9], v12, off offset:32
	s_cbranch_execnz .LBB17_7
.LBB17_6:
	s_mul_i32 s2, s8, s17
	s_mul_hi_u32 s3, s8, s16
	s_add_i32 s3, s3, s2
	s_mul_i32 s2, s8, s16
	s_lshl_b64 s[2:3], s[2:3], 1
	s_add_u32 s6, s12, s2
	s_addc_u32 s7, s13, s3
	v_mul_lo_u32 v7, v7, s14
	v_mul_lo_u32 v12, v4, s15
	v_mad_u64_u32 v[8:9], s[2:3], v4, s14, 0
	v_add3_u32 v9, v9, v12, v7
	v_lshlrev_b64 v[8:9], 1, v[8:9]
	v_mov_b32_e32 v7, s7
	v_add_co_u32_e32 v8, vcc, s6, v8
	v_addc_co_u32_e32 v7, vcc, v7, v9, vcc
	v_add_co_u32_e32 v8, vcc, v8, v2
	v_addc_co_u32_e32 v9, vcc, v7, v3, vcc
	global_load_ushort v7, v[8:9], off
	v_mad_u64_u32 v[12:13], s[2:3], v4, s0, 0
	v_add3_u32 v13, v13, v6, v5
	v_lshlrev_b64 v[4:5], 1, v[12:13]
	v_mov_b32_e32 v14, s5
	v_add_co_u32_e32 v4, vcc, s4, v4
	v_addc_co_u32_e32 v5, vcc, v14, v5, vcc
	v_add_co_u32_e32 v2, vcc, v4, v2
	v_addc_co_u32_e32 v3, vcc, v5, v3, vcc
	s_lshl_b64 s[2:3], s[14:15], 5
	v_mov_b32_e32 v5, s3
	s_lshl_b64 s[0:1], s[0:1], 5
	s_waitcnt vmcnt(0)
	v_mul_f16_e32 v4, s20, v7
	v_fma_f16 v4, v11, s9, v4
	global_store_short v[2:3], v4, off
	global_load_ushort v6, v[8:9], off offset:32
	v_add_co_u32_e32 v4, vcc, s2, v8
	v_addc_co_u32_e32 v5, vcc, v9, v5, vcc
	v_mov_b32_e32 v7, s1
	s_waitcnt vmcnt(0)
	v_mul_f16_e32 v6, s20, v6
	v_fma_f16 v6, v10, s9, v6
	global_store_short v[2:3], v6, off offset:32
	global_load_ushort v6, v[4:5], off
	v_add_co_u32_e32 v2, vcc, s0, v2
	v_addc_co_u32_e32 v3, vcc, v3, v7, vcc
	s_waitcnt vmcnt(0)
	v_mul_f16_e32 v6, s20, v6
	v_fma_f16 v0, v0, s9, v6
	global_store_short v[2:3], v0, off
	global_load_ushort v0, v[4:5], off offset:32
	s_waitcnt vmcnt(0)
	v_mul_f16_e32 v0, s20, v0
	v_fma_f16 v0, v1, s9, v0
	global_store_short v[2:3], v0, off offset:32
.LBB17_7:
	s_endpgm
.LBB17_8:
	s_branch .LBB17_6
	.section	.rodata,"a",@progbits
	.p2align	6, 0x0
	.amdhsa_kernel _ZN12_GLOBAL__N_127rocblas_gemm_batched_kernelIDF16_Li16ELi16ELi32ELi32ELi8ELi32ELi8ELi8ELi32ELc67ELc84EKDF16_S1_DF16_EEvlllT_PT11_llS4_llS2_PT12_llPT13_lli
		.amdhsa_group_segment_fixed_size 1024
		.amdhsa_private_segment_fixed_size 0
		.amdhsa_kernarg_size 140
		.amdhsa_user_sgpr_count 6
		.amdhsa_user_sgpr_private_segment_buffer 1
		.amdhsa_user_sgpr_dispatch_ptr 0
		.amdhsa_user_sgpr_queue_ptr 0
		.amdhsa_user_sgpr_kernarg_segment_ptr 1
		.amdhsa_user_sgpr_dispatch_id 0
		.amdhsa_user_sgpr_flat_scratch_init 0
		.amdhsa_user_sgpr_kernarg_preload_length 0
		.amdhsa_user_sgpr_kernarg_preload_offset 0
		.amdhsa_user_sgpr_private_segment_size 0
		.amdhsa_uses_dynamic_stack 0
		.amdhsa_system_sgpr_private_segment_wavefront_offset 0
		.amdhsa_system_sgpr_workgroup_id_x 1
		.amdhsa_system_sgpr_workgroup_id_y 1
		.amdhsa_system_sgpr_workgroup_id_z 1
		.amdhsa_system_sgpr_workgroup_info 0
		.amdhsa_system_vgpr_workitem_id 1
		.amdhsa_next_free_vgpr 48
		.amdhsa_next_free_sgpr 24
		.amdhsa_accum_offset 48
		.amdhsa_reserve_vcc 1
		.amdhsa_reserve_flat_scratch 0
		.amdhsa_float_round_mode_32 0
		.amdhsa_float_round_mode_16_64 0
		.amdhsa_float_denorm_mode_32 3
		.amdhsa_float_denorm_mode_16_64 3
		.amdhsa_dx10_clamp 1
		.amdhsa_ieee_mode 1
		.amdhsa_fp16_overflow 0
		.amdhsa_tg_split 0
		.amdhsa_exception_fp_ieee_invalid_op 0
		.amdhsa_exception_fp_denorm_src 0
		.amdhsa_exception_fp_ieee_div_zero 0
		.amdhsa_exception_fp_ieee_overflow 0
		.amdhsa_exception_fp_ieee_underflow 0
		.amdhsa_exception_fp_ieee_inexact 0
		.amdhsa_exception_int_div_zero 0
	.end_amdhsa_kernel
	.section	.text._ZN12_GLOBAL__N_127rocblas_gemm_batched_kernelIDF16_Li16ELi16ELi32ELi32ELi8ELi32ELi8ELi8ELi32ELc67ELc84EKDF16_S1_DF16_EEvlllT_PT11_llS4_llS2_PT12_llPT13_lli,"axG",@progbits,_ZN12_GLOBAL__N_127rocblas_gemm_batched_kernelIDF16_Li16ELi16ELi32ELi32ELi8ELi32ELi8ELi8ELi32ELc67ELc84EKDF16_S1_DF16_EEvlllT_PT11_llS4_llS2_PT12_llPT13_lli,comdat
.Lfunc_end17:
	.size	_ZN12_GLOBAL__N_127rocblas_gemm_batched_kernelIDF16_Li16ELi16ELi32ELi32ELi8ELi32ELi8ELi8ELi32ELc67ELc84EKDF16_S1_DF16_EEvlllT_PT11_llS4_llS2_PT12_llPT13_lli, .Lfunc_end17-_ZN12_GLOBAL__N_127rocblas_gemm_batched_kernelIDF16_Li16ELi16ELi32ELi32ELi8ELi32ELi8ELi8ELi32ELc67ELc84EKDF16_S1_DF16_EEvlllT_PT11_llS4_llS2_PT12_llPT13_lli
                                        ; -- End function
	.section	.AMDGPU.csdata,"",@progbits
; Kernel info:
; codeLenInByte = 1520
; NumSgprs: 28
; NumVgprs: 48
; NumAgprs: 0
; TotalNumVgprs: 48
; ScratchSize: 0
; MemoryBound: 0
; FloatMode: 240
; IeeeMode: 1
; LDSByteSize: 1024 bytes/workgroup (compile time only)
; SGPRBlocks: 3
; VGPRBlocks: 5
; NumSGPRsForWavesPerEU: 28
; NumVGPRsForWavesPerEU: 48
; AccumOffset: 48
; Occupancy: 8
; WaveLimiterHint : 0
; COMPUTE_PGM_RSRC2:SCRATCH_EN: 0
; COMPUTE_PGM_RSRC2:USER_SGPR: 6
; COMPUTE_PGM_RSRC2:TRAP_HANDLER: 0
; COMPUTE_PGM_RSRC2:TGID_X_EN: 1
; COMPUTE_PGM_RSRC2:TGID_Y_EN: 1
; COMPUTE_PGM_RSRC2:TGID_Z_EN: 1
; COMPUTE_PGM_RSRC2:TIDIG_COMP_CNT: 1
; COMPUTE_PGM_RSRC3_GFX90A:ACCUM_OFFSET: 11
; COMPUTE_PGM_RSRC3_GFX90A:TG_SPLIT: 0
	.section	.text._ZN12_GLOBAL__N_127rocblas_gemm_batched_kernelIDF16_Li16ELi16ELi32ELi32ELi8ELi32ELi8ELi8ELi32ELc78ELc67EKDF16_S1_DF16_EEvlllT_PT11_llS4_llS2_PT12_llPT13_lli,"axG",@progbits,_ZN12_GLOBAL__N_127rocblas_gemm_batched_kernelIDF16_Li16ELi16ELi32ELi32ELi8ELi32ELi8ELi8ELi32ELc78ELc67EKDF16_S1_DF16_EEvlllT_PT11_llS4_llS2_PT12_llPT13_lli,comdat
	.globl	_ZN12_GLOBAL__N_127rocblas_gemm_batched_kernelIDF16_Li16ELi16ELi32ELi32ELi8ELi32ELi8ELi8ELi32ELc78ELc67EKDF16_S1_DF16_EEvlllT_PT11_llS4_llS2_PT12_llPT13_lli ; -- Begin function _ZN12_GLOBAL__N_127rocblas_gemm_batched_kernelIDF16_Li16ELi16ELi32ELi32ELi8ELi32ELi8ELi8ELi32ELc78ELc67EKDF16_S1_DF16_EEvlllT_PT11_llS4_llS2_PT12_llPT13_lli
	.p2align	8
	.type	_ZN12_GLOBAL__N_127rocblas_gemm_batched_kernelIDF16_Li16ELi16ELi32ELi32ELi8ELi32ELi8ELi8ELi32ELc78ELc67EKDF16_S1_DF16_EEvlllT_PT11_llS4_llS2_PT12_llPT13_lli,@function
_ZN12_GLOBAL__N_127rocblas_gemm_batched_kernelIDF16_Li16ELi16ELi32ELi32ELi8ELi32ELi8ELi8ELi32ELc78ELc67EKDF16_S1_DF16_EEvlllT_PT11_llS4_llS2_PT12_llPT13_lli: ; @_ZN12_GLOBAL__N_127rocblas_gemm_batched_kernelIDF16_Li16ELi16ELi32ELi32ELi8ELi32ELi8ELi8ELi32ELc78ELc67EKDF16_S1_DF16_EEvlllT_PT11_llS4_llS2_PT12_llPT13_lli
; %bb.0:
	s_load_dwordx2 s[20:21], s[4:5], 0x10
	s_mov_b32 s0, s7
	s_ashr_i32 s1, s0, 31
	s_ashr_i32 s7, s6, 31
	s_lshl_b64 s[10:11], s[0:1], 5
	s_waitcnt lgkmcnt(0)
	v_cmp_lt_i64_e64 s[0:1], s[20:21], 1
	v_bfe_u32 v9, v0, 10, 10
	v_and_b32_e32 v8, 0x3ff, v0
	s_lshl_b64 s[6:7], s[6:7], 5
	s_and_b64 vcc, exec, s[0:1]
	s_cbranch_vccnz .LBB18_3
; %bb.1:
	v_lshlrev_b32_e32 v2, 4, v9
	s_load_dwordx8 s[12:19], s[4:5], 0x20
	s_load_dwordx4 s[0:3], s[4:5], 0x40
	v_add_u32_e32 v3, v2, v8
	v_and_b32_e32 v10, 31, v3
	v_lshrrev_b32_e32 v0, 3, v3
	v_and_b32_e32 v4, 7, v8
	v_lshrrev_b32_e32 v6, 5, v3
	v_lshlrev_b32_e32 v3, 1, v10
	v_lshl_or_b32 v12, v6, 6, v3
	v_lshlrev_b32_e32 v3, 1, v4
	v_mov_b32_e32 v1, 0
	v_lshl_or_b32 v3, v0, 4, v3
	v_add_u32_e32 v13, 0x200, v3
	v_add_u32_e32 v15, 0x200, v2
	s_waitcnt lgkmcnt(0)
	v_mad_u64_u32 v[2:3], s[22:23], v4, s0, v[0:1]
	s_mul_i32 s3, s3, s8
	s_mul_hi_u32 s9, s2, s8
	v_mov_b32_e32 v0, v3
	s_add_i32 s3, s9, s3
	s_mul_i32 s2, s2, s8
	v_mad_u64_u32 v[4:5], s[22:23], v4, s1, v[0:1]
	s_lshl_b64 s[2:3], s[2:3], 1
	v_mov_b32_e32 v3, v4
	v_mov_b32_e32 v0, s11
	v_add_co_u32_e32 v2, vcc, s10, v2
	v_addc_co_u32_e32 v3, vcc, v3, v0, vcc
	s_add_u32 s2, s18, s2
	v_lshlrev_b64 v[2:3], 1, v[2:3]
	s_addc_u32 s3, s19, s3
	v_mov_b32_e32 v0, s3
	v_add_co_u32_e32 v2, vcc, s2, v2
	s_mul_i32 s2, s17, s8
	s_mul_hi_u32 s3, s16, s8
	v_pk_mov_b32 v[4:5], s[6:7], s[6:7] op_sel:[0,1]
	s_add_i32 s3, s3, s2
	s_mul_i32 s2, s16, s8
	v_mad_u64_u32 v[4:5], s[16:17], v6, s14, v[4:5]
	v_addc_co_u32_e32 v3, vcc, v0, v3, vcc
	v_mov_b32_e32 v0, v5
	v_mad_u64_u32 v[6:7], s[16:17], v6, s15, v[0:1]
	s_lshl_b64 s[0:1], s[0:1], 4
	s_lshl_b64 s[2:3], s[2:3], 1
	v_mov_b32_e32 v5, v6
	v_add_co_u32_e32 v4, vcc, v4, v10
	v_addc_co_u32_e32 v5, vcc, 0, v5, vcc
	s_add_u32 s2, s12, s2
	v_lshlrev_b64 v[4:5], 1, v[4:5]
	s_addc_u32 s3, s13, s3
	v_mov_b32_e32 v0, s3
	v_add_co_u32_e32 v4, vcc, s2, v4
	s_lshl_b64 s[2:3], s[14:15], 4
	v_lshlrev_b32_e32 v14, 1, v8
	v_addc_co_u32_e32 v5, vcc, v0, v5, vcc
	s_mov_b64 s[12:13], 0
	v_mov_b32_e32 v16, s1
	v_mov_b32_e32 v17, s3
	v_pk_mov_b32 v[6:7], s[20:21], s[20:21] op_sel:[0,1]
	v_mov_b32_e32 v0, v1
	v_mov_b32_e32 v10, v1
	;; [unrolled: 1-line block ×3, first 2 shown]
.LBB18_2:                               ; =>This Inner Loop Header: Depth=1
	global_load_ushort v18, v[4:5], off
	global_load_ushort v19, v[2:3], off
	v_add_co_u32_e32 v2, vcc, s0, v2
	v_addc_co_u32_e32 v3, vcc, v3, v16, vcc
	s_add_u32 s12, s12, 8
	v_add_co_u32_e32 v4, vcc, s2, v4
	v_addc_co_u32_e32 v5, vcc, v5, v17, vcc
	s_addc_u32 s13, s13, 0
	v_cmp_lt_i64_e32 vcc, s[12:13], v[6:7]
	s_and_b64 vcc, exec, vcc
	s_waitcnt vmcnt(1)
	ds_write_b16 v12, v18
	s_waitcnt vmcnt(0)
	ds_write_b16 v13, v19
	s_waitcnt lgkmcnt(0)
	s_barrier
	ds_read_b128 v[18:21], v15
	ds_read_b128 v[22:25], v15 offset:256
	ds_read_u16 v26, v14
	ds_read_u16 v27, v14 offset:32
	ds_read_u16 v28, v14 offset:64
	;; [unrolled: 1-line block ×15, first 2 shown]
	s_waitcnt lgkmcnt(14)
	v_lshrrev_b32_e32 v42, 16, v18
	v_fma_f16 v11, v26, v18, v11
	v_fma_f16 v10, v27, v18, v10
	v_lshrrev_b32_e32 v18, 16, v22
	v_fma_f16 v0, v26, v22, v0
	v_fma_f16 v1, v27, v22, v1
	s_waitcnt lgkmcnt(13)
	v_fma_f16 v11, v28, v42, v11
	s_waitcnt lgkmcnt(12)
	v_fma_f16 v10, v29, v42, v10
	v_fma_f16 v0, v28, v18, v0
	v_fma_f16 v1, v29, v18, v1
	v_lshrrev_b32_e32 v43, 16, v19
	v_lshrrev_b32_e32 v46, 16, v23
	s_waitcnt lgkmcnt(11)
	v_fma_f16 v11, v30, v19, v11
	s_waitcnt lgkmcnt(10)
	v_fma_f16 v10, v31, v19, v10
	v_fma_f16 v0, v30, v23, v0
	v_fma_f16 v1, v31, v23, v1
	s_waitcnt lgkmcnt(9)
	v_fma_f16 v11, v32, v43, v11
	s_waitcnt lgkmcnt(8)
	v_fma_f16 v10, v33, v43, v10
	v_fma_f16 v0, v32, v46, v0
	v_fma_f16 v1, v33, v46, v1
	v_lshrrev_b32_e32 v44, 16, v20
	v_lshrrev_b32_e32 v47, 16, v24
	s_waitcnt lgkmcnt(7)
	v_fma_f16 v11, v34, v20, v11
	s_waitcnt lgkmcnt(6)
	v_fma_f16 v10, v35, v20, v10
	;; [unrolled: 14-line block ×3, first 2 shown]
	v_fma_f16 v0, v38, v25, v0
	v_fma_f16 v1, v39, v25, v1
	s_waitcnt lgkmcnt(1)
	v_fma_f16 v11, v40, v45, v11
	s_waitcnt lgkmcnt(0)
	v_fma_f16 v10, v41, v45, v10
	v_fma_f16 v0, v40, v48, v0
	;; [unrolled: 1-line block ×3, first 2 shown]
	s_barrier
	s_cbranch_vccnz .LBB18_2
	s_branch .LBB18_4
.LBB18_3:
	v_mov_b32_e32 v11, 0
	v_mov_b32_e32 v10, 0
	;; [unrolled: 1-line block ×4, first 2 shown]
.LBB18_4:
	s_load_dwordx4 s[0:3], s[4:5], 0x78
	s_load_dword s9, s[4:5], 0x18
	s_load_dword s20, s[4:5], 0x50
	s_load_dwordx8 s[12:19], s[4:5], 0x58
	v_mov_b32_e32 v2, s11
	s_waitcnt lgkmcnt(0)
	s_mul_i32 s3, s8, s3
	s_mul_hi_u32 s4, s8, s2
	s_add_i32 s3, s4, s3
	s_mul_i32 s2, s8, s2
	v_add_co_u32_e32 v4, vcc, s10, v9
	s_lshl_b64 s[2:3], s[2:3], 1
	v_addc_co_u32_e32 v7, vcc, 0, v2, vcc
	s_add_u32 s4, s18, s2
	v_mov_b32_e32 v3, s7
	v_add_co_u32_e32 v2, vcc, s6, v8
	s_addc_u32 s5, s19, s3
	v_cmp_neq_f16_e64 s[2:3], s20, 0
	v_addc_co_u32_e32 v3, vcc, 0, v3, vcc
	s_and_b64 vcc, exec, s[2:3]
	v_mul_lo_u32 v5, v7, s0
	v_mul_lo_u32 v6, v4, s1
	v_lshlrev_b64 v[2:3], 1, v[2:3]
	s_cbranch_vccnz .LBB18_8
; %bb.5:
	v_mad_u64_u32 v[8:9], s[2:3], v4, s0, 0
	v_add3_u32 v9, v9, v6, v5
	v_lshlrev_b64 v[8:9], 1, v[8:9]
	v_mov_b32_e32 v12, s5
	v_add_co_u32_e32 v8, vcc, s4, v8
	v_addc_co_u32_e32 v9, vcc, v12, v9, vcc
	v_add_co_u32_e32 v8, vcc, v8, v2
	v_mul_f16_e32 v12, s9, v11
	v_addc_co_u32_e32 v9, vcc, v9, v3, vcc
	global_store_short v[8:9], v12, off
	v_mul_f16_e32 v12, s9, v10
	s_lshl_b64 s[2:3], s[0:1], 5
	global_store_short v[8:9], v12, off offset:32
	v_mov_b32_e32 v13, s3
	v_add_co_u32_e32 v8, vcc, s2, v8
	v_mul_f16_e32 v12, s9, v0
	v_addc_co_u32_e32 v9, vcc, v9, v13, vcc
	global_store_short v[8:9], v12, off
	v_mul_f16_e32 v12, s9, v1
	global_store_short v[8:9], v12, off offset:32
	s_cbranch_execnz .LBB18_7
.LBB18_6:
	s_mul_i32 s2, s8, s17
	s_mul_hi_u32 s3, s8, s16
	s_add_i32 s3, s3, s2
	s_mul_i32 s2, s8, s16
	s_lshl_b64 s[2:3], s[2:3], 1
	s_add_u32 s6, s12, s2
	s_addc_u32 s7, s13, s3
	v_mul_lo_u32 v7, v7, s14
	v_mul_lo_u32 v12, v4, s15
	v_mad_u64_u32 v[8:9], s[2:3], v4, s14, 0
	v_add3_u32 v9, v9, v12, v7
	v_lshlrev_b64 v[8:9], 1, v[8:9]
	v_mov_b32_e32 v7, s7
	v_add_co_u32_e32 v8, vcc, s6, v8
	v_addc_co_u32_e32 v7, vcc, v7, v9, vcc
	v_add_co_u32_e32 v8, vcc, v8, v2
	v_addc_co_u32_e32 v9, vcc, v7, v3, vcc
	global_load_ushort v7, v[8:9], off
	v_mad_u64_u32 v[12:13], s[2:3], v4, s0, 0
	v_add3_u32 v13, v13, v6, v5
	v_lshlrev_b64 v[4:5], 1, v[12:13]
	v_mov_b32_e32 v14, s5
	v_add_co_u32_e32 v4, vcc, s4, v4
	v_addc_co_u32_e32 v5, vcc, v14, v5, vcc
	v_add_co_u32_e32 v2, vcc, v4, v2
	v_addc_co_u32_e32 v3, vcc, v5, v3, vcc
	s_lshl_b64 s[2:3], s[14:15], 5
	v_mov_b32_e32 v5, s3
	s_lshl_b64 s[0:1], s[0:1], 5
	s_waitcnt vmcnt(0)
	v_mul_f16_e32 v4, s20, v7
	v_fma_f16 v4, v11, s9, v4
	global_store_short v[2:3], v4, off
	global_load_ushort v6, v[8:9], off offset:32
	v_add_co_u32_e32 v4, vcc, s2, v8
	v_addc_co_u32_e32 v5, vcc, v9, v5, vcc
	v_mov_b32_e32 v7, s1
	s_waitcnt vmcnt(0)
	v_mul_f16_e32 v6, s20, v6
	v_fma_f16 v6, v10, s9, v6
	global_store_short v[2:3], v6, off offset:32
	global_load_ushort v6, v[4:5], off
	v_add_co_u32_e32 v2, vcc, s0, v2
	v_addc_co_u32_e32 v3, vcc, v3, v7, vcc
	s_waitcnt vmcnt(0)
	v_mul_f16_e32 v6, s20, v6
	v_fma_f16 v0, v0, s9, v6
	global_store_short v[2:3], v0, off
	global_load_ushort v0, v[4:5], off offset:32
	s_waitcnt vmcnt(0)
	v_mul_f16_e32 v0, s20, v0
	v_fma_f16 v0, v1, s9, v0
	global_store_short v[2:3], v0, off offset:32
.LBB18_7:
	s_endpgm
.LBB18_8:
	s_branch .LBB18_6
	.section	.rodata,"a",@progbits
	.p2align	6, 0x0
	.amdhsa_kernel _ZN12_GLOBAL__N_127rocblas_gemm_batched_kernelIDF16_Li16ELi16ELi32ELi32ELi8ELi32ELi8ELi8ELi32ELc78ELc67EKDF16_S1_DF16_EEvlllT_PT11_llS4_llS2_PT12_llPT13_lli
		.amdhsa_group_segment_fixed_size 1024
		.amdhsa_private_segment_fixed_size 0
		.amdhsa_kernarg_size 140
		.amdhsa_user_sgpr_count 6
		.amdhsa_user_sgpr_private_segment_buffer 1
		.amdhsa_user_sgpr_dispatch_ptr 0
		.amdhsa_user_sgpr_queue_ptr 0
		.amdhsa_user_sgpr_kernarg_segment_ptr 1
		.amdhsa_user_sgpr_dispatch_id 0
		.amdhsa_user_sgpr_flat_scratch_init 0
		.amdhsa_user_sgpr_kernarg_preload_length 0
		.amdhsa_user_sgpr_kernarg_preload_offset 0
		.amdhsa_user_sgpr_private_segment_size 0
		.amdhsa_uses_dynamic_stack 0
		.amdhsa_system_sgpr_private_segment_wavefront_offset 0
		.amdhsa_system_sgpr_workgroup_id_x 1
		.amdhsa_system_sgpr_workgroup_id_y 1
		.amdhsa_system_sgpr_workgroup_id_z 1
		.amdhsa_system_sgpr_workgroup_info 0
		.amdhsa_system_vgpr_workitem_id 1
		.amdhsa_next_free_vgpr 49
		.amdhsa_next_free_sgpr 24
		.amdhsa_accum_offset 52
		.amdhsa_reserve_vcc 1
		.amdhsa_reserve_flat_scratch 0
		.amdhsa_float_round_mode_32 0
		.amdhsa_float_round_mode_16_64 0
		.amdhsa_float_denorm_mode_32 3
		.amdhsa_float_denorm_mode_16_64 3
		.amdhsa_dx10_clamp 1
		.amdhsa_ieee_mode 1
		.amdhsa_fp16_overflow 0
		.amdhsa_tg_split 0
		.amdhsa_exception_fp_ieee_invalid_op 0
		.amdhsa_exception_fp_denorm_src 0
		.amdhsa_exception_fp_ieee_div_zero 0
		.amdhsa_exception_fp_ieee_overflow 0
		.amdhsa_exception_fp_ieee_underflow 0
		.amdhsa_exception_fp_ieee_inexact 0
		.amdhsa_exception_int_div_zero 0
	.end_amdhsa_kernel
	.section	.text._ZN12_GLOBAL__N_127rocblas_gemm_batched_kernelIDF16_Li16ELi16ELi32ELi32ELi8ELi32ELi8ELi8ELi32ELc78ELc67EKDF16_S1_DF16_EEvlllT_PT11_llS4_llS2_PT12_llPT13_lli,"axG",@progbits,_ZN12_GLOBAL__N_127rocblas_gemm_batched_kernelIDF16_Li16ELi16ELi32ELi32ELi8ELi32ELi8ELi8ELi32ELc78ELc67EKDF16_S1_DF16_EEvlllT_PT11_llS4_llS2_PT12_llPT13_lli,comdat
.Lfunc_end18:
	.size	_ZN12_GLOBAL__N_127rocblas_gemm_batched_kernelIDF16_Li16ELi16ELi32ELi32ELi8ELi32ELi8ELi8ELi32ELc78ELc67EKDF16_S1_DF16_EEvlllT_PT11_llS4_llS2_PT12_llPT13_lli, .Lfunc_end18-_ZN12_GLOBAL__N_127rocblas_gemm_batched_kernelIDF16_Li16ELi16ELi32ELi32ELi8ELi32ELi8ELi8ELi32ELc78ELc67EKDF16_S1_DF16_EEvlllT_PT11_llS4_llS2_PT12_llPT13_lli
                                        ; -- End function
	.section	.AMDGPU.csdata,"",@progbits
; Kernel info:
; codeLenInByte = 1508
; NumSgprs: 28
; NumVgprs: 49
; NumAgprs: 0
; TotalNumVgprs: 49
; ScratchSize: 0
; MemoryBound: 0
; FloatMode: 240
; IeeeMode: 1
; LDSByteSize: 1024 bytes/workgroup (compile time only)
; SGPRBlocks: 3
; VGPRBlocks: 6
; NumSGPRsForWavesPerEU: 28
; NumVGPRsForWavesPerEU: 49
; AccumOffset: 52
; Occupancy: 8
; WaveLimiterHint : 0
; COMPUTE_PGM_RSRC2:SCRATCH_EN: 0
; COMPUTE_PGM_RSRC2:USER_SGPR: 6
; COMPUTE_PGM_RSRC2:TRAP_HANDLER: 0
; COMPUTE_PGM_RSRC2:TGID_X_EN: 1
; COMPUTE_PGM_RSRC2:TGID_Y_EN: 1
; COMPUTE_PGM_RSRC2:TGID_Z_EN: 1
; COMPUTE_PGM_RSRC2:TIDIG_COMP_CNT: 1
; COMPUTE_PGM_RSRC3_GFX90A:ACCUM_OFFSET: 12
; COMPUTE_PGM_RSRC3_GFX90A:TG_SPLIT: 0
	.section	.text._ZN12_GLOBAL__N_127rocblas_gemm_batched_kernelIDF16_Li16ELi16ELi32ELi32ELi8ELi32ELi8ELi8ELi32ELc84ELc67EKDF16_S1_DF16_EEvlllT_PT11_llS4_llS2_PT12_llPT13_lli,"axG",@progbits,_ZN12_GLOBAL__N_127rocblas_gemm_batched_kernelIDF16_Li16ELi16ELi32ELi32ELi8ELi32ELi8ELi8ELi32ELc84ELc67EKDF16_S1_DF16_EEvlllT_PT11_llS4_llS2_PT12_llPT13_lli,comdat
	.globl	_ZN12_GLOBAL__N_127rocblas_gemm_batched_kernelIDF16_Li16ELi16ELi32ELi32ELi8ELi32ELi8ELi8ELi32ELc84ELc67EKDF16_S1_DF16_EEvlllT_PT11_llS4_llS2_PT12_llPT13_lli ; -- Begin function _ZN12_GLOBAL__N_127rocblas_gemm_batched_kernelIDF16_Li16ELi16ELi32ELi32ELi8ELi32ELi8ELi8ELi32ELc84ELc67EKDF16_S1_DF16_EEvlllT_PT11_llS4_llS2_PT12_llPT13_lli
	.p2align	8
	.type	_ZN12_GLOBAL__N_127rocblas_gemm_batched_kernelIDF16_Li16ELi16ELi32ELi32ELi8ELi32ELi8ELi8ELi32ELc84ELc67EKDF16_S1_DF16_EEvlllT_PT11_llS4_llS2_PT12_llPT13_lli,@function
_ZN12_GLOBAL__N_127rocblas_gemm_batched_kernelIDF16_Li16ELi16ELi32ELi32ELi8ELi32ELi8ELi8ELi32ELc84ELc67EKDF16_S1_DF16_EEvlllT_PT11_llS4_llS2_PT12_llPT13_lli: ; @_ZN12_GLOBAL__N_127rocblas_gemm_batched_kernelIDF16_Li16ELi16ELi32ELi32ELi8ELi32ELi8ELi8ELi32ELc84ELc67EKDF16_S1_DF16_EEvlllT_PT11_llS4_llS2_PT12_llPT13_lli
; %bb.0:
	s_load_dwordx2 s[20:21], s[4:5], 0x10
	s_mov_b32 s0, s7
	s_ashr_i32 s1, s0, 31
	s_ashr_i32 s7, s6, 31
	s_lshl_b64 s[10:11], s[0:1], 5
	s_waitcnt lgkmcnt(0)
	v_cmp_lt_i64_e64 s[0:1], s[20:21], 1
	v_bfe_u32 v9, v0, 10, 10
	v_and_b32_e32 v8, 0x3ff, v0
	s_lshl_b64 s[6:7], s[6:7], 5
	s_and_b64 vcc, exec, s[0:1]
	s_cbranch_vccnz .LBB19_3
; %bb.1:
	v_lshlrev_b32_e32 v2, 4, v9
	s_load_dwordx8 s[12:19], s[4:5], 0x20
	s_load_dwordx4 s[0:3], s[4:5], 0x40
	v_add_u32_e32 v3, v2, v8
	v_and_b32_e32 v6, 31, v3
	v_lshrrev_b32_e32 v0, 3, v3
	v_and_b32_e32 v4, 7, v8
	v_lshrrev_b32_e32 v7, 5, v3
	v_lshlrev_b32_e32 v3, 1, v6
	v_lshl_or_b32 v12, v7, 6, v3
	v_lshlrev_b32_e32 v3, 1, v4
	v_mov_b32_e32 v1, 0
	v_lshl_or_b32 v3, v0, 4, v3
	v_add_u32_e32 v13, 0x200, v3
	v_add_u32_e32 v15, 0x200, v2
	s_waitcnt lgkmcnt(0)
	v_mad_u64_u32 v[2:3], s[22:23], v4, s0, v[0:1]
	s_mul_i32 s3, s3, s8
	s_mul_hi_u32 s9, s2, s8
	v_mov_b32_e32 v0, v3
	s_add_i32 s3, s9, s3
	s_mul_i32 s2, s2, s8
	v_mad_u64_u32 v[4:5], s[22:23], v4, s1, v[0:1]
	s_lshl_b64 s[2:3], s[2:3], 1
	v_mov_b32_e32 v3, v4
	v_mov_b32_e32 v0, s11
	v_add_co_u32_e32 v2, vcc, s10, v2
	v_addc_co_u32_e32 v3, vcc, v3, v0, vcc
	s_add_u32 s2, s18, s2
	v_lshlrev_b64 v[2:3], 1, v[2:3]
	s_addc_u32 s3, s19, s3
	v_mov_b32_e32 v0, s3
	v_add_co_u32_e32 v2, vcc, s2, v2
	v_addc_co_u32_e32 v3, vcc, v0, v3, vcc
	v_mov_b32_e32 v0, s7
	v_add_co_u32_e32 v4, vcc, s6, v6
	v_addc_co_u32_e32 v0, vcc, 0, v0, vcc
	v_mul_lo_u32 v6, s15, v4
	v_mad_u64_u32 v[4:5], s[2:3], s14, v4, 0
	v_mul_lo_u32 v0, s14, v0
	s_mul_i32 s2, s17, s8
	s_mul_hi_u32 s3, s16, s8
	v_add3_u32 v5, v5, v0, v6
	s_add_i32 s3, s3, s2
	s_mul_i32 s2, s16, s8
	v_lshlrev_b64 v[4:5], 1, v[4:5]
	s_lshl_b64 s[2:3], s[2:3], 1
	v_mov_b32_e32 v0, s3
	v_add_co_u32_e32 v4, vcc, s2, v4
	v_addc_co_u32_e32 v0, vcc, v5, v0, vcc
	v_lshlrev_b32_e32 v5, 1, v7
	v_add_co_u32_e32 v4, vcc, v4, v5
	v_addc_co_u32_e32 v0, vcc, 0, v0, vcc
	s_lshl_b64 s[0:1], s[0:1], 4
	v_mov_b32_e32 v5, s13
	v_add_co_u32_e32 v4, vcc, s12, v4
	v_lshlrev_b32_e32 v14, 1, v8
	v_addc_co_u32_e32 v5, vcc, v5, v0, vcc
	s_mov_b64 s[2:3], 0
	v_mov_b32_e32 v16, s1
	v_pk_mov_b32 v[6:7], s[20:21], s[20:21] op_sel:[0,1]
	v_mov_b32_e32 v0, v1
	v_mov_b32_e32 v10, v1
	;; [unrolled: 1-line block ×3, first 2 shown]
.LBB19_2:                               ; =>This Inner Loop Header: Depth=1
	global_load_ushort v17, v[4:5], off
	global_load_ushort v18, v[2:3], off
	v_add_co_u32_e32 v2, vcc, s0, v2
	v_addc_co_u32_e32 v3, vcc, v3, v16, vcc
	s_add_u32 s2, s2, 8
	v_add_co_u32_e32 v4, vcc, 16, v4
	v_addc_co_u32_e32 v5, vcc, 0, v5, vcc
	s_addc_u32 s3, s3, 0
	v_cmp_lt_i64_e32 vcc, s[2:3], v[6:7]
	s_and_b64 vcc, exec, vcc
	s_waitcnt vmcnt(1)
	ds_write_b16 v12, v17
	s_waitcnt vmcnt(0)
	ds_write_b16 v13, v18
	s_waitcnt lgkmcnt(0)
	s_barrier
	ds_read_b128 v[18:21], v15
	ds_read_b128 v[22:25], v15 offset:256
	ds_read_u16 v17, v14
	ds_read_u16 v26, v14 offset:32
	ds_read_u16 v27, v14 offset:64
	;; [unrolled: 1-line block ×15, first 2 shown]
	s_waitcnt lgkmcnt(14)
	v_lshrrev_b32_e32 v41, 16, v18
	v_fma_f16 v11, v17, v18, v11
	v_fma_f16 v10, v26, v18, v10
	v_lshrrev_b32_e32 v18, 16, v22
	v_fma_f16 v0, v17, v22, v0
	v_fma_f16 v1, v26, v22, v1
	s_waitcnt lgkmcnt(13)
	v_fma_f16 v11, v27, v41, v11
	s_waitcnt lgkmcnt(12)
	v_fma_f16 v10, v28, v41, v10
	v_fma_f16 v0, v27, v18, v0
	v_fma_f16 v1, v28, v18, v1
	v_lshrrev_b32_e32 v42, 16, v19
	v_lshrrev_b32_e32 v45, 16, v23
	s_waitcnt lgkmcnt(11)
	v_fma_f16 v11, v29, v19, v11
	s_waitcnt lgkmcnt(10)
	v_fma_f16 v10, v30, v19, v10
	v_fma_f16 v0, v29, v23, v0
	v_fma_f16 v1, v30, v23, v1
	s_waitcnt lgkmcnt(9)
	v_fma_f16 v11, v31, v42, v11
	s_waitcnt lgkmcnt(8)
	v_fma_f16 v10, v32, v42, v10
	v_fma_f16 v0, v31, v45, v0
	v_fma_f16 v1, v32, v45, v1
	v_lshrrev_b32_e32 v43, 16, v20
	v_lshrrev_b32_e32 v46, 16, v24
	s_waitcnt lgkmcnt(7)
	v_fma_f16 v11, v33, v20, v11
	s_waitcnt lgkmcnt(6)
	v_fma_f16 v10, v34, v20, v10
	v_fma_f16 v0, v33, v24, v0
	v_fma_f16 v1, v34, v24, v1
	s_waitcnt lgkmcnt(5)
	v_fma_f16 v11, v35, v43, v11
	s_waitcnt lgkmcnt(4)
	v_fma_f16 v10, v36, v43, v10
	v_fma_f16 v0, v35, v46, v0
	v_fma_f16 v1, v36, v46, v1
	v_lshrrev_b32_e32 v44, 16, v21
	v_lshrrev_b32_e32 v47, 16, v25
	s_waitcnt lgkmcnt(3)
	v_fma_f16 v11, v37, v21, v11
	s_waitcnt lgkmcnt(2)
	v_fma_f16 v10, v38, v21, v10
	v_fma_f16 v0, v37, v25, v0
	v_fma_f16 v1, v38, v25, v1
	s_waitcnt lgkmcnt(1)
	v_fma_f16 v11, v39, v44, v11
	s_waitcnt lgkmcnt(0)
	v_fma_f16 v10, v40, v44, v10
	v_fma_f16 v0, v39, v47, v0
	;; [unrolled: 1-line block ×3, first 2 shown]
	s_barrier
	s_cbranch_vccnz .LBB19_2
	s_branch .LBB19_4
.LBB19_3:
	v_mov_b32_e32 v11, 0
	v_mov_b32_e32 v10, 0
	;; [unrolled: 1-line block ×4, first 2 shown]
.LBB19_4:
	s_load_dwordx4 s[0:3], s[4:5], 0x78
	s_load_dword s9, s[4:5], 0x18
	s_load_dword s20, s[4:5], 0x50
	s_load_dwordx8 s[12:19], s[4:5], 0x58
	v_mov_b32_e32 v2, s11
	s_waitcnt lgkmcnt(0)
	s_mul_i32 s3, s8, s3
	s_mul_hi_u32 s4, s8, s2
	s_add_i32 s3, s4, s3
	s_mul_i32 s2, s8, s2
	v_add_co_u32_e32 v4, vcc, s10, v9
	s_lshl_b64 s[2:3], s[2:3], 1
	v_addc_co_u32_e32 v7, vcc, 0, v2, vcc
	s_add_u32 s4, s18, s2
	v_mov_b32_e32 v3, s7
	v_add_co_u32_e32 v2, vcc, s6, v8
	s_addc_u32 s5, s19, s3
	v_cmp_neq_f16_e64 s[2:3], s20, 0
	v_addc_co_u32_e32 v3, vcc, 0, v3, vcc
	s_and_b64 vcc, exec, s[2:3]
	v_mul_lo_u32 v5, v7, s0
	v_mul_lo_u32 v6, v4, s1
	v_lshlrev_b64 v[2:3], 1, v[2:3]
	s_cbranch_vccnz .LBB19_8
; %bb.5:
	v_mad_u64_u32 v[8:9], s[2:3], v4, s0, 0
	v_add3_u32 v9, v9, v6, v5
	v_lshlrev_b64 v[8:9], 1, v[8:9]
	v_mov_b32_e32 v12, s5
	v_add_co_u32_e32 v8, vcc, s4, v8
	v_addc_co_u32_e32 v9, vcc, v12, v9, vcc
	v_add_co_u32_e32 v8, vcc, v8, v2
	v_mul_f16_e32 v12, s9, v11
	v_addc_co_u32_e32 v9, vcc, v9, v3, vcc
	global_store_short v[8:9], v12, off
	v_mul_f16_e32 v12, s9, v10
	s_lshl_b64 s[2:3], s[0:1], 5
	global_store_short v[8:9], v12, off offset:32
	v_mov_b32_e32 v13, s3
	v_add_co_u32_e32 v8, vcc, s2, v8
	v_mul_f16_e32 v12, s9, v0
	v_addc_co_u32_e32 v9, vcc, v9, v13, vcc
	global_store_short v[8:9], v12, off
	v_mul_f16_e32 v12, s9, v1
	global_store_short v[8:9], v12, off offset:32
	s_cbranch_execnz .LBB19_7
.LBB19_6:
	s_mul_i32 s2, s8, s17
	s_mul_hi_u32 s3, s8, s16
	s_add_i32 s3, s3, s2
	s_mul_i32 s2, s8, s16
	s_lshl_b64 s[2:3], s[2:3], 1
	s_add_u32 s6, s12, s2
	s_addc_u32 s7, s13, s3
	v_mul_lo_u32 v7, v7, s14
	v_mul_lo_u32 v12, v4, s15
	v_mad_u64_u32 v[8:9], s[2:3], v4, s14, 0
	v_add3_u32 v9, v9, v12, v7
	v_lshlrev_b64 v[8:9], 1, v[8:9]
	v_mov_b32_e32 v7, s7
	v_add_co_u32_e32 v8, vcc, s6, v8
	v_addc_co_u32_e32 v7, vcc, v7, v9, vcc
	v_add_co_u32_e32 v8, vcc, v8, v2
	v_addc_co_u32_e32 v9, vcc, v7, v3, vcc
	global_load_ushort v7, v[8:9], off
	v_mad_u64_u32 v[12:13], s[2:3], v4, s0, 0
	v_add3_u32 v13, v13, v6, v5
	v_lshlrev_b64 v[4:5], 1, v[12:13]
	v_mov_b32_e32 v14, s5
	v_add_co_u32_e32 v4, vcc, s4, v4
	v_addc_co_u32_e32 v5, vcc, v14, v5, vcc
	v_add_co_u32_e32 v2, vcc, v4, v2
	v_addc_co_u32_e32 v3, vcc, v5, v3, vcc
	s_lshl_b64 s[2:3], s[14:15], 5
	v_mov_b32_e32 v5, s3
	s_lshl_b64 s[0:1], s[0:1], 5
	s_waitcnt vmcnt(0)
	v_mul_f16_e32 v4, s20, v7
	v_fma_f16 v4, v11, s9, v4
	global_store_short v[2:3], v4, off
	global_load_ushort v6, v[8:9], off offset:32
	v_add_co_u32_e32 v4, vcc, s2, v8
	v_addc_co_u32_e32 v5, vcc, v9, v5, vcc
	v_mov_b32_e32 v7, s1
	s_waitcnt vmcnt(0)
	v_mul_f16_e32 v6, s20, v6
	v_fma_f16 v6, v10, s9, v6
	global_store_short v[2:3], v6, off offset:32
	global_load_ushort v6, v[4:5], off
	v_add_co_u32_e32 v2, vcc, s0, v2
	v_addc_co_u32_e32 v3, vcc, v3, v7, vcc
	s_waitcnt vmcnt(0)
	v_mul_f16_e32 v6, s20, v6
	v_fma_f16 v0, v0, s9, v6
	global_store_short v[2:3], v0, off
	global_load_ushort v0, v[4:5], off offset:32
	s_waitcnt vmcnt(0)
	v_mul_f16_e32 v0, s20, v0
	v_fma_f16 v0, v1, s9, v0
	global_store_short v[2:3], v0, off offset:32
.LBB19_7:
	s_endpgm
.LBB19_8:
	s_branch .LBB19_6
	.section	.rodata,"a",@progbits
	.p2align	6, 0x0
	.amdhsa_kernel _ZN12_GLOBAL__N_127rocblas_gemm_batched_kernelIDF16_Li16ELi16ELi32ELi32ELi8ELi32ELi8ELi8ELi32ELc84ELc67EKDF16_S1_DF16_EEvlllT_PT11_llS4_llS2_PT12_llPT13_lli
		.amdhsa_group_segment_fixed_size 1024
		.amdhsa_private_segment_fixed_size 0
		.amdhsa_kernarg_size 140
		.amdhsa_user_sgpr_count 6
		.amdhsa_user_sgpr_private_segment_buffer 1
		.amdhsa_user_sgpr_dispatch_ptr 0
		.amdhsa_user_sgpr_queue_ptr 0
		.amdhsa_user_sgpr_kernarg_segment_ptr 1
		.amdhsa_user_sgpr_dispatch_id 0
		.amdhsa_user_sgpr_flat_scratch_init 0
		.amdhsa_user_sgpr_kernarg_preload_length 0
		.amdhsa_user_sgpr_kernarg_preload_offset 0
		.amdhsa_user_sgpr_private_segment_size 0
		.amdhsa_uses_dynamic_stack 0
		.amdhsa_system_sgpr_private_segment_wavefront_offset 0
		.amdhsa_system_sgpr_workgroup_id_x 1
		.amdhsa_system_sgpr_workgroup_id_y 1
		.amdhsa_system_sgpr_workgroup_id_z 1
		.amdhsa_system_sgpr_workgroup_info 0
		.amdhsa_system_vgpr_workitem_id 1
		.amdhsa_next_free_vgpr 48
		.amdhsa_next_free_sgpr 24
		.amdhsa_accum_offset 48
		.amdhsa_reserve_vcc 1
		.amdhsa_reserve_flat_scratch 0
		.amdhsa_float_round_mode_32 0
		.amdhsa_float_round_mode_16_64 0
		.amdhsa_float_denorm_mode_32 3
		.amdhsa_float_denorm_mode_16_64 3
		.amdhsa_dx10_clamp 1
		.amdhsa_ieee_mode 1
		.amdhsa_fp16_overflow 0
		.amdhsa_tg_split 0
		.amdhsa_exception_fp_ieee_invalid_op 0
		.amdhsa_exception_fp_denorm_src 0
		.amdhsa_exception_fp_ieee_div_zero 0
		.amdhsa_exception_fp_ieee_overflow 0
		.amdhsa_exception_fp_ieee_underflow 0
		.amdhsa_exception_fp_ieee_inexact 0
		.amdhsa_exception_int_div_zero 0
	.end_amdhsa_kernel
	.section	.text._ZN12_GLOBAL__N_127rocblas_gemm_batched_kernelIDF16_Li16ELi16ELi32ELi32ELi8ELi32ELi8ELi8ELi32ELc84ELc67EKDF16_S1_DF16_EEvlllT_PT11_llS4_llS2_PT12_llPT13_lli,"axG",@progbits,_ZN12_GLOBAL__N_127rocblas_gemm_batched_kernelIDF16_Li16ELi16ELi32ELi32ELi8ELi32ELi8ELi8ELi32ELc84ELc67EKDF16_S1_DF16_EEvlllT_PT11_llS4_llS2_PT12_llPT13_lli,comdat
.Lfunc_end19:
	.size	_ZN12_GLOBAL__N_127rocblas_gemm_batched_kernelIDF16_Li16ELi16ELi32ELi32ELi8ELi32ELi8ELi8ELi32ELc84ELc67EKDF16_S1_DF16_EEvlllT_PT11_llS4_llS2_PT12_llPT13_lli, .Lfunc_end19-_ZN12_GLOBAL__N_127rocblas_gemm_batched_kernelIDF16_Li16ELi16ELi32ELi32ELi8ELi32ELi8ELi8ELi32ELc84ELc67EKDF16_S1_DF16_EEvlllT_PT11_llS4_llS2_PT12_llPT13_lli
                                        ; -- End function
	.section	.AMDGPU.csdata,"",@progbits
; Kernel info:
; codeLenInByte = 1520
; NumSgprs: 28
; NumVgprs: 48
; NumAgprs: 0
; TotalNumVgprs: 48
; ScratchSize: 0
; MemoryBound: 0
; FloatMode: 240
; IeeeMode: 1
; LDSByteSize: 1024 bytes/workgroup (compile time only)
; SGPRBlocks: 3
; VGPRBlocks: 5
; NumSGPRsForWavesPerEU: 28
; NumVGPRsForWavesPerEU: 48
; AccumOffset: 48
; Occupancy: 8
; WaveLimiterHint : 0
; COMPUTE_PGM_RSRC2:SCRATCH_EN: 0
; COMPUTE_PGM_RSRC2:USER_SGPR: 6
; COMPUTE_PGM_RSRC2:TRAP_HANDLER: 0
; COMPUTE_PGM_RSRC2:TGID_X_EN: 1
; COMPUTE_PGM_RSRC2:TGID_Y_EN: 1
; COMPUTE_PGM_RSRC2:TGID_Z_EN: 1
; COMPUTE_PGM_RSRC2:TIDIG_COMP_CNT: 1
; COMPUTE_PGM_RSRC3_GFX90A:ACCUM_OFFSET: 11
; COMPUTE_PGM_RSRC3_GFX90A:TG_SPLIT: 0
	.section	.text._ZN12_GLOBAL__N_135rocblas_gemm_batched_general_kernelIDF16_Li16ELi16ELi32ELi32ELi8ELi32ELi8ELi8ELi32ELc78ELc78EKDF16_S1_DF16_EEvlllT_PT11_llS4_llS2_PT12_llPT13_lli,"axG",@progbits,_ZN12_GLOBAL__N_135rocblas_gemm_batched_general_kernelIDF16_Li16ELi16ELi32ELi32ELi8ELi32ELi8ELi8ELi32ELc78ELc78EKDF16_S1_DF16_EEvlllT_PT11_llS4_llS2_PT12_llPT13_lli,comdat
	.globl	_ZN12_GLOBAL__N_135rocblas_gemm_batched_general_kernelIDF16_Li16ELi16ELi32ELi32ELi8ELi32ELi8ELi8ELi32ELc78ELc78EKDF16_S1_DF16_EEvlllT_PT11_llS4_llS2_PT12_llPT13_lli ; -- Begin function _ZN12_GLOBAL__N_135rocblas_gemm_batched_general_kernelIDF16_Li16ELi16ELi32ELi32ELi8ELi32ELi8ELi8ELi32ELc78ELc78EKDF16_S1_DF16_EEvlllT_PT11_llS4_llS2_PT12_llPT13_lli
	.p2align	8
	.type	_ZN12_GLOBAL__N_135rocblas_gemm_batched_general_kernelIDF16_Li16ELi16ELi32ELi32ELi8ELi32ELi8ELi8ELi32ELc78ELc78EKDF16_S1_DF16_EEvlllT_PT11_llS4_llS2_PT12_llPT13_lli,@function
_ZN12_GLOBAL__N_135rocblas_gemm_batched_general_kernelIDF16_Li16ELi16ELi32ELi32ELi8ELi32ELi8ELi8ELi32ELc78ELc78EKDF16_S1_DF16_EEvlllT_PT11_llS4_llS2_PT12_llPT13_lli: ; @_ZN12_GLOBAL__N_135rocblas_gemm_batched_general_kernelIDF16_Li16ELi16ELi32ELi32ELi8ELi32ELi8ELi8ELi32ELc78ELc78EKDF16_S1_DF16_EEvlllT_PT11_llS4_llS2_PT12_llPT13_lli
; %bb.0:
	s_load_dwordx4 s[20:23], s[4:5], 0x0
	s_load_dwordx2 s[24:25], s[4:5], 0x10
	s_mov_b32 s0, s7
	s_ashr_i32 s1, s0, 31
	s_ashr_i32 s7, s6, 31
	s_lshl_b64 s[28:29], s[0:1], 5
	s_waitcnt lgkmcnt(0)
	v_cmp_lt_i64_e64 s[0:1], s[24:25], 1
	v_and_b32_e32 v10, 0x3ff, v0
	v_bfe_u32 v1, v0, 10, 10
	s_lshl_b64 s[10:11], s[6:7], 5
	s_and_b64 vcc, exec, s[0:1]
	v_mov_b32_e32 v12, 0
	v_mov_b32_e32 v11, 0
	s_cbranch_vccnz .LBB20_7
; %bb.1:
	v_lshlrev_b32_e32 v8, 4, v1
	s_load_dwordx8 s[12:19], s[4:5], 0x20
	s_load_dwordx4 s[36:39], s[4:5], 0x40
	v_add_u32_e32 v3, v8, v10
	v_lshrrev_b32_e32 v0, 5, v3
	v_lshrrev_b32_e32 v9, 3, v3
	v_and_b32_e32 v3, 31, v3
	v_and_b32_e32 v2, 7, v10
	v_mov_b32_e32 v7, s11
	v_or_b32_e32 v6, s10, v3
	v_mov_b32_e32 v5, s29
	v_add_co_u32_e32 v4, vcc, s28, v9
	v_cmp_gt_i64_e64 s[0:1], s[20:21], v[6:7]
	v_lshlrev_b32_e32 v6, 1, v2
	v_addc_co_u32_e32 v5, vcc, 0, v5, vcc
	v_lshl_or_b32 v7, v9, 4, v6
	v_cmp_gt_i64_e64 s[2:3], s[22:23], v[4:5]
	v_add_u32_e32 v13, 0x200, v7
	v_add_u32_e32 v15, 0x200, v8
	s_waitcnt lgkmcnt(0)
	v_mul_lo_u32 v7, s37, v4
	v_mul_lo_u32 v8, s36, v5
	v_mad_u64_u32 v[4:5], s[26:27], s36, v4, 0
	s_mul_i32 s9, s39, s8
	s_mul_hi_u32 s26, s38, s8
	v_add3_u32 v5, v5, v8, v7
	s_add_i32 s27, s26, s9
	s_mul_i32 s26, s38, s8
	v_lshlrev_b64 v[4:5], 1, v[4:5]
	s_lshl_b64 s[26:27], s[26:27], 1
	v_mov_b32_e32 v7, s27
	v_add_co_u32_e32 v4, vcc, s26, v4
	v_addc_co_u32_e32 v5, vcc, v5, v7, vcc
	v_add_co_u32_e32 v4, vcc, v4, v6
	v_addc_co_u32_e32 v5, vcc, 0, v5, vcc
	v_mov_b32_e32 v6, s19
	v_add_co_u32_e32 v4, vcc, s18, v4
	v_addc_co_u32_e32 v5, vcc, v6, v5, vcc
	v_mad_u64_u32 v[6:7], s[18:19], s14, v0, 0
	s_mul_i32 s9, s17, s8
	s_mul_hi_u32 s17, s16, s8
	v_mov_b32_e32 v8, v7
	s_add_i32 s17, s17, s9
	s_mul_i32 s16, s16, s8
	v_mad_u64_u32 v[8:9], s[18:19], s15, v0, v[8:9]
	s_lshl_b64 s[16:17], s[16:17], 1
	s_lshl_b64 s[6:7], s[6:7], 6
	v_mov_b32_e32 v7, v8
	s_add_u32 s6, s6, s16
	v_lshlrev_b64 v[6:7], 1, v[6:7]
	s_addc_u32 s7, s7, s17
	v_mov_b32_e32 v8, s7
	v_add_co_u32_e32 v6, vcc, s6, v6
	v_lshlrev_b32_e32 v12, 1, v3
	v_addc_co_u32_e32 v7, vcc, v8, v7, vcc
	v_add_co_u32_e32 v6, vcc, v6, v12
	v_addc_co_u32_e32 v7, vcc, 0, v7, vcc
	v_mov_b32_e32 v8, s13
	v_add_co_u32_e32 v6, vcc, s12, v6
	s_lshl_b64 s[6:7], s[14:15], 4
	v_mov_b32_e32 v11, 0
	v_lshl_or_b32 v3, v0, 6, v12
	v_lshlrev_b32_e32 v14, 1, v10
	v_addc_co_u32_e32 v7, vcc, v8, v7, vcc
	s_mov_b64 s[12:13], 0
	v_mov_b32_e32 v16, s7
	v_pk_mov_b32 v[8:9], s[24:25], s[24:25] op_sel:[0,1]
	v_mov_b32_e32 v12, 0
	s_branch .LBB20_3
.LBB20_2:                               ;   in Loop: Header=BB20_3 Depth=1
	s_or_b64 exec, exec, s[14:15]
	s_waitcnt vmcnt(0)
	ds_write_b16 v13, v17
	s_waitcnt lgkmcnt(0)
	s_barrier
	ds_read_b128 v[18:21], v15
	ds_read_b128 v[22:25], v15 offset:256
	ds_read_u16 v29, v14
	ds_read_u16 v30, v14 offset:32
	ds_read_u16 v31, v14 offset:64
	;; [unrolled: 1-line block ×7, first 2 shown]
	v_add_co_u32_e32 v4, vcc, 16, v4
	s_waitcnt lgkmcnt(7)
	v_fma_f16 v37, v29, v18, v11
	v_lshrrev_b32_e32 v11, 16, v11
	v_lshrrev_b32_e32 v17, 16, v18
	s_waitcnt lgkmcnt(6)
	v_fma_f16 v11, v30, v18, v11
	v_fma_f16 v29, v29, v22, v12
	v_lshrrev_b32_e32 v12, 16, v12
	v_lshrrev_b32_e32 v18, 16, v22
	v_fma_f16 v12, v30, v22, v12
	s_waitcnt lgkmcnt(5)
	v_fma_f16 v22, v31, v17, v37
	s_waitcnt lgkmcnt(4)
	v_fma_f16 v11, v32, v17, v11
	v_lshrrev_b32_e32 v26, 16, v19
	v_fma_f16 v17, v31, v18, v29
	v_fma_f16 v12, v32, v18, v12
	s_waitcnt lgkmcnt(3)
	v_fma_f16 v18, v33, v19, v22
	s_waitcnt lgkmcnt(2)
	v_fma_f16 v11, v34, v19, v11
	v_lshrrev_b32_e32 v38, 16, v23
	v_fma_f16 v17, v33, v23, v17
	v_fma_f16 v12, v34, v23, v12
	s_waitcnt lgkmcnt(1)
	v_fma_f16 v18, v35, v26, v18
	s_waitcnt lgkmcnt(0)
	v_fma_f16 v11, v36, v26, v11
	ds_read_u16 v19, v14 offset:256
	ds_read_u16 v22, v14 offset:288
	;; [unrolled: 1-line block ×8, first 2 shown]
	v_fma_f16 v17, v35, v38, v17
	v_fma_f16 v12, v36, v38, v12
	v_lshrrev_b32_e32 v27, 16, v20
	v_lshrrev_b32_e32 v39, 16, v24
	s_waitcnt lgkmcnt(7)
	v_fma_f16 v18, v19, v20, v18
	s_waitcnt lgkmcnt(6)
	v_fma_f16 v11, v22, v20, v11
	v_fma_f16 v17, v19, v24, v17
	;; [unrolled: 1-line block ×3, first 2 shown]
	v_addc_co_u32_e32 v5, vcc, 0, v5, vcc
	s_waitcnt lgkmcnt(5)
	v_fma_f16 v18, v23, v27, v18
	s_waitcnt lgkmcnt(4)
	v_fma_f16 v11, v26, v27, v11
	v_fma_f16 v17, v23, v39, v17
	;; [unrolled: 1-line block ×3, first 2 shown]
	s_add_u32 s12, s12, 8
	v_add_co_u32_e32 v6, vcc, s6, v6
	v_lshrrev_b32_e32 v28, 16, v21
	v_lshrrev_b32_e32 v40, 16, v25
	s_waitcnt lgkmcnt(3)
	v_fma_f16 v18, v29, v21, v18
	s_waitcnt lgkmcnt(2)
	v_fma_f16 v11, v30, v21, v11
	v_fma_f16 v17, v29, v25, v17
	;; [unrolled: 1-line block ×3, first 2 shown]
	s_addc_u32 s13, s13, 0
	v_addc_co_u32_e32 v7, vcc, v7, v16, vcc
	s_waitcnt lgkmcnt(1)
	v_fma_f16 v18, v31, v28, v18
	s_waitcnt lgkmcnt(0)
	v_fma_f16 v11, v32, v28, v11
	v_fma_f16 v17, v31, v40, v17
	;; [unrolled: 1-line block ×3, first 2 shown]
	v_cmp_lt_i64_e32 vcc, s[12:13], v[8:9]
	v_pack_b32_f16 v11, v18, v11
	v_pack_b32_f16 v12, v17, v12
	s_barrier
	s_cbranch_vccz .LBB20_7
.LBB20_3:                               ; =>This Inner Loop Header: Depth=1
	v_mov_b32_e32 v17, s13
	v_add_co_u32_e32 v18, vcc, s12, v0
	v_addc_co_u32_e32 v19, vcc, 0, v17, vcc
	v_cmp_gt_i64_e32 vcc, s[24:25], v[18:19]
	s_and_b64 s[16:17], s[0:1], vcc
	v_mov_b32_e32 v17, 0
	s_and_saveexec_b64 s[14:15], s[16:17]
	s_cbranch_execz .LBB20_5
; %bb.4:                                ;   in Loop: Header=BB20_3 Depth=1
	global_load_ushort v17, v[6:7], off
.LBB20_5:                               ;   in Loop: Header=BB20_3 Depth=1
	s_or_b64 exec, exec, s[14:15]
	s_waitcnt vmcnt(0)
	ds_write_b16 v3, v17
	v_mov_b32_e32 v17, s13
	v_add_co_u32_e32 v18, vcc, s12, v2
	v_addc_co_u32_e32 v19, vcc, 0, v17, vcc
	v_cmp_gt_i64_e32 vcc, s[24:25], v[18:19]
	s_and_b64 s[16:17], vcc, s[2:3]
	v_mov_b32_e32 v17, 0
	s_and_saveexec_b64 s[14:15], s[16:17]
	s_cbranch_execz .LBB20_2
; %bb.6:                                ;   in Loop: Header=BB20_3 Depth=1
	global_load_ushort v17, v[4:5], off
	s_branch .LBB20_2
.LBB20_7:
	s_load_dwordx4 s[24:27], s[4:5], 0x78
	s_load_dword s9, s[4:5], 0x18
	s_load_dword s30, s[4:5], 0x50
	s_load_dwordx8 s[12:19], s[4:5], 0x58
	v_mov_b32_e32 v2, s29
	s_waitcnt lgkmcnt(0)
	s_mul_i32 s0, s8, s27
	s_mul_hi_u32 s1, s8, s26
	s_add_i32 s1, s1, s0
	s_mul_i32 s0, s8, s26
	s_lshl_b64 s[0:1], s[0:1], 1
	v_add_co_u32_e32 v0, vcc, s28, v1
	s_add_u32 s26, s18, s0
	v_addc_co_u32_e32 v1, vcc, 0, v2, vcc
	v_cmp_neq_f16_e64 s[2:3], s30, 0
	s_addc_u32 s27, s19, s1
	v_cmp_gt_i64_e64 s[0:1], s[22:23], v[0:1]
	s_and_b64 vcc, exec, s[2:3]
	s_cbranch_vccnz .LBB20_20
; %bb.8:
	s_and_saveexec_b64 s[6:7], s[0:1]
	s_cbranch_execz .LBB20_18
; %bb.9:
	v_mov_b32_e32 v2, s11
	v_add_co_u32_e32 v4, vcc, s10, v10
	v_addc_co_u32_e32 v5, vcc, 0, v2, vcc
	v_mul_lo_u32 v6, v1, s24
	v_mul_lo_u32 v7, v0, s25
	v_mad_u64_u32 v[2:3], s[2:3], v0, s24, 0
	v_add3_u32 v3, v3, v7, v6
	v_lshlrev_b64 v[2:3], 1, v[2:3]
	v_mov_b32_e32 v7, s27
	v_add_co_u32_e64 v6, s[2:3], s26, v2
	v_cmp_gt_i64_e32 vcc, s[20:21], v[4:5]
	v_addc_co_u32_e64 v7, s[2:3], v7, v3, s[2:3]
	v_lshlrev_b64 v[2:3], 1, v[4:5]
	s_and_saveexec_b64 s[4:5], vcc
	s_cbranch_execz .LBB20_11
; %bb.10:
	v_add_co_u32_e64 v8, s[2:3], v6, v2
	v_addc_co_u32_e64 v9, s[2:3], v7, v3, s[2:3]
	v_mul_f16_e32 v13, s9, v11
	global_store_short v[8:9], v13, off
.LBB20_11:
	s_or_b64 exec, exec, s[4:5]
	v_add_co_u32_e64 v4, s[2:3], 16, v4
	v_addc_co_u32_e64 v5, s[2:3], 0, v5, s[2:3]
	v_cmp_gt_i64_e64 s[2:3], s[20:21], v[4:5]
	s_and_saveexec_b64 s[18:19], s[2:3]
	s_cbranch_execz .LBB20_13
; %bb.12:
	v_add_co_u32_e64 v4, s[4:5], v6, v2
	v_addc_co_u32_e64 v5, s[4:5], v7, v3, s[4:5]
	v_mul_f16_sdwa v8, v11, s9 dst_sel:DWORD dst_unused:UNUSED_PAD src0_sel:WORD_1 src1_sel:DWORD
	global_store_short v[4:5], v8, off offset:32
.LBB20_13:
	s_or_b64 exec, exec, s[18:19]
	v_add_co_u32_e64 v4, s[4:5], 16, v0
	v_addc_co_u32_e64 v5, s[4:5], 0, v1, s[4:5]
	v_cmp_gt_i64_e64 s[4:5], s[22:23], v[4:5]
	s_and_b64 exec, exec, s[4:5]
	s_cbranch_execz .LBB20_18
; %bb.14:
	s_lshl_b64 s[4:5], s[24:25], 5
	v_mov_b32_e32 v4, s5
	v_add_co_u32_e64 v5, s[4:5], s4, v6
	v_addc_co_u32_e64 v4, s[4:5], v7, v4, s[4:5]
	v_add_co_u32_e64 v2, s[4:5], v5, v2
	v_addc_co_u32_e64 v3, s[4:5], v4, v3, s[4:5]
	s_and_saveexec_b64 s[4:5], vcc
	s_cbranch_execz .LBB20_16
; %bb.15:
	v_mul_f16_e32 v4, s9, v12
	global_store_short v[2:3], v4, off
.LBB20_16:
	s_or_b64 exec, exec, s[4:5]
	s_and_b64 exec, exec, s[2:3]
	s_cbranch_execz .LBB20_18
; %bb.17:
	v_mul_f16_sdwa v4, v12, s9 dst_sel:DWORD dst_unused:UNUSED_PAD src0_sel:WORD_1 src1_sel:DWORD
	global_store_short v[2:3], v4, off offset:32
.LBB20_18:
	s_or_b64 exec, exec, s[6:7]
	s_cbranch_execz .LBB20_21
.LBB20_19:
	s_endpgm
.LBB20_20:
.LBB20_21:
	s_and_saveexec_b64 s[2:3], s[0:1]
	s_cbranch_execz .LBB20_19
; %bb.22:
	s_mul_i32 s0, s8, s17
	s_mul_hi_u32 s1, s8, s16
	s_add_i32 s1, s1, s0
	s_mul_i32 s0, s8, s16
	s_lshl_b64 s[0:1], s[0:1], 1
	s_add_u32 s2, s12, s0
	v_mov_b32_e32 v2, s11
	v_add_co_u32_e32 v4, vcc, s10, v10
	s_addc_u32 s3, s13, s1
	v_addc_co_u32_e32 v5, vcc, 0, v2, vcc
	v_mul_lo_u32 v6, v1, s14
	v_mul_lo_u32 v7, v0, s15
	v_mad_u64_u32 v[2:3], s[0:1], v0, s14, 0
	v_add3_u32 v3, v3, v7, v6
	v_mul_lo_u32 v6, v1, s24
	v_mul_lo_u32 v7, v0, s25
	v_mad_u64_u32 v[8:9], s[0:1], v0, s24, 0
	v_lshlrev_b64 v[2:3], 1, v[2:3]
	v_add3_u32 v9, v9, v7, v6
	v_mov_b32_e32 v7, s3
	v_add_co_u32_e64 v6, s[0:1], s2, v2
	v_addc_co_u32_e64 v7, s[0:1], v7, v3, s[0:1]
	v_lshlrev_b64 v[2:3], 1, v[8:9]
	v_mov_b32_e32 v9, s27
	v_add_co_u32_e64 v8, s[0:1], s26, v2
	v_cmp_gt_i64_e32 vcc, s[20:21], v[4:5]
	v_addc_co_u32_e64 v9, s[0:1], v9, v3, s[0:1]
	v_lshlrev_b64 v[2:3], 1, v[4:5]
	s_and_saveexec_b64 s[2:3], vcc
	s_cbranch_execz .LBB20_24
; %bb.23:
	v_add_co_u32_e64 v14, s[0:1], v6, v2
	v_addc_co_u32_e64 v15, s[0:1], v7, v3, s[0:1]
	global_load_ushort v10, v[14:15], off
	v_add_co_u32_e64 v14, s[0:1], v8, v2
	v_addc_co_u32_e64 v15, s[0:1], v9, v3, s[0:1]
	s_waitcnt vmcnt(0)
	v_mul_f16_e32 v10, s30, v10
	v_fma_f16 v10, v11, s9, v10
	global_store_short v[14:15], v10, off
.LBB20_24:
	s_or_b64 exec, exec, s[2:3]
	v_add_co_u32_e64 v4, s[0:1], 16, v4
	v_addc_co_u32_e64 v5, s[0:1], 0, v5, s[0:1]
	v_cmp_gt_i64_e64 s[0:1], s[20:21], v[4:5]
	s_and_saveexec_b64 s[4:5], s[0:1]
	s_cbranch_execz .LBB20_26
; %bb.25:
	v_add_co_u32_e64 v4, s[2:3], v6, v2
	v_addc_co_u32_e64 v5, s[2:3], v7, v3, s[2:3]
	global_load_ushort v4, v[4:5], off offset:32
	v_lshrrev_b32_e32 v5, 16, v11
	s_waitcnt vmcnt(0)
	v_mul_f16_e32 v4, s30, v4
	v_fma_f16 v10, v5, s9, v4
	v_add_co_u32_e64 v4, s[2:3], v8, v2
	v_addc_co_u32_e64 v5, s[2:3], v9, v3, s[2:3]
	global_store_short v[4:5], v10, off offset:32
.LBB20_26:
	s_or_b64 exec, exec, s[4:5]
	v_add_co_u32_e64 v0, s[2:3], 16, v0
	v_addc_co_u32_e64 v1, s[2:3], 0, v1, s[2:3]
	v_cmp_gt_i64_e64 s[2:3], s[22:23], v[0:1]
	s_and_b64 exec, exec, s[2:3]
	s_cbranch_execz .LBB20_19
; %bb.27:
	s_lshl_b64 s[2:3], s[14:15], 5
	v_mov_b32_e32 v0, s3
	v_add_co_u32_e64 v1, s[2:3], s2, v6
	v_addc_co_u32_e64 v4, s[2:3], v7, v0, s[2:3]
	s_lshl_b64 s[2:3], s[24:25], 5
	v_mov_b32_e32 v0, s3
	v_add_co_u32_e64 v5, s[2:3], s2, v8
	v_addc_co_u32_e64 v6, s[2:3], v9, v0, s[2:3]
	v_add_co_u32_e64 v0, s[2:3], v1, v2
	v_addc_co_u32_e64 v1, s[2:3], v4, v3, s[2:3]
	;; [unrolled: 2-line block ×3, first 2 shown]
	s_and_saveexec_b64 s[2:3], vcc
	s_cbranch_execz .LBB20_29
; %bb.28:
	global_load_ushort v4, v[0:1], off
	s_waitcnt vmcnt(0)
	v_mul_f16_e32 v4, s30, v4
	v_fma_f16 v4, v12, s9, v4
	global_store_short v[2:3], v4, off
.LBB20_29:
	s_or_b64 exec, exec, s[2:3]
	s_and_b64 exec, exec, s[0:1]
	s_cbranch_execz .LBB20_19
; %bb.30:
	global_load_ushort v0, v[0:1], off offset:32
	v_lshrrev_b32_e32 v1, 16, v12
	s_waitcnt vmcnt(0)
	v_mul_f16_e32 v0, s30, v0
	v_fma_f16 v0, v1, s9, v0
	global_store_short v[2:3], v0, off offset:32
	s_endpgm
	.section	.rodata,"a",@progbits
	.p2align	6, 0x0
	.amdhsa_kernel _ZN12_GLOBAL__N_135rocblas_gemm_batched_general_kernelIDF16_Li16ELi16ELi32ELi32ELi8ELi32ELi8ELi8ELi32ELc78ELc78EKDF16_S1_DF16_EEvlllT_PT11_llS4_llS2_PT12_llPT13_lli
		.amdhsa_group_segment_fixed_size 1024
		.amdhsa_private_segment_fixed_size 0
		.amdhsa_kernarg_size 140
		.amdhsa_user_sgpr_count 6
		.amdhsa_user_sgpr_private_segment_buffer 1
		.amdhsa_user_sgpr_dispatch_ptr 0
		.amdhsa_user_sgpr_queue_ptr 0
		.amdhsa_user_sgpr_kernarg_segment_ptr 1
		.amdhsa_user_sgpr_dispatch_id 0
		.amdhsa_user_sgpr_flat_scratch_init 0
		.amdhsa_user_sgpr_kernarg_preload_length 0
		.amdhsa_user_sgpr_kernarg_preload_offset 0
		.amdhsa_user_sgpr_private_segment_size 0
		.amdhsa_uses_dynamic_stack 0
		.amdhsa_system_sgpr_private_segment_wavefront_offset 0
		.amdhsa_system_sgpr_workgroup_id_x 1
		.amdhsa_system_sgpr_workgroup_id_y 1
		.amdhsa_system_sgpr_workgroup_id_z 1
		.amdhsa_system_sgpr_workgroup_info 0
		.amdhsa_system_vgpr_workitem_id 1
		.amdhsa_next_free_vgpr 41
		.amdhsa_next_free_sgpr 40
		.amdhsa_accum_offset 44
		.amdhsa_reserve_vcc 1
		.amdhsa_reserve_flat_scratch 0
		.amdhsa_float_round_mode_32 0
		.amdhsa_float_round_mode_16_64 0
		.amdhsa_float_denorm_mode_32 3
		.amdhsa_float_denorm_mode_16_64 3
		.amdhsa_dx10_clamp 1
		.amdhsa_ieee_mode 1
		.amdhsa_fp16_overflow 0
		.amdhsa_tg_split 0
		.amdhsa_exception_fp_ieee_invalid_op 0
		.amdhsa_exception_fp_denorm_src 0
		.amdhsa_exception_fp_ieee_div_zero 0
		.amdhsa_exception_fp_ieee_overflow 0
		.amdhsa_exception_fp_ieee_underflow 0
		.amdhsa_exception_fp_ieee_inexact 0
		.amdhsa_exception_int_div_zero 0
	.end_amdhsa_kernel
	.section	.text._ZN12_GLOBAL__N_135rocblas_gemm_batched_general_kernelIDF16_Li16ELi16ELi32ELi32ELi8ELi32ELi8ELi8ELi32ELc78ELc78EKDF16_S1_DF16_EEvlllT_PT11_llS4_llS2_PT12_llPT13_lli,"axG",@progbits,_ZN12_GLOBAL__N_135rocblas_gemm_batched_general_kernelIDF16_Li16ELi16ELi32ELi32ELi8ELi32ELi8ELi8ELi32ELc78ELc78EKDF16_S1_DF16_EEvlllT_PT11_llS4_llS2_PT12_llPT13_lli,comdat
.Lfunc_end20:
	.size	_ZN12_GLOBAL__N_135rocblas_gemm_batched_general_kernelIDF16_Li16ELi16ELi32ELi32ELi8ELi32ELi8ELi8ELi32ELc78ELc78EKDF16_S1_DF16_EEvlllT_PT11_llS4_llS2_PT12_llPT13_lli, .Lfunc_end20-_ZN12_GLOBAL__N_135rocblas_gemm_batched_general_kernelIDF16_Li16ELi16ELi32ELi32ELi8ELi32ELi8ELi8ELi32ELc78ELc78EKDF16_S1_DF16_EEvlllT_PT11_llS4_llS2_PT12_llPT13_lli
                                        ; -- End function
	.section	.AMDGPU.csdata,"",@progbits
; Kernel info:
; codeLenInByte = 2100
; NumSgprs: 44
; NumVgprs: 41
; NumAgprs: 0
; TotalNumVgprs: 41
; ScratchSize: 0
; MemoryBound: 0
; FloatMode: 240
; IeeeMode: 1
; LDSByteSize: 1024 bytes/workgroup (compile time only)
; SGPRBlocks: 5
; VGPRBlocks: 5
; NumSGPRsForWavesPerEU: 44
; NumVGPRsForWavesPerEU: 41
; AccumOffset: 44
; Occupancy: 8
; WaveLimiterHint : 0
; COMPUTE_PGM_RSRC2:SCRATCH_EN: 0
; COMPUTE_PGM_RSRC2:USER_SGPR: 6
; COMPUTE_PGM_RSRC2:TRAP_HANDLER: 0
; COMPUTE_PGM_RSRC2:TGID_X_EN: 1
; COMPUTE_PGM_RSRC2:TGID_Y_EN: 1
; COMPUTE_PGM_RSRC2:TGID_Z_EN: 1
; COMPUTE_PGM_RSRC2:TIDIG_COMP_CNT: 1
; COMPUTE_PGM_RSRC3_GFX90A:ACCUM_OFFSET: 10
; COMPUTE_PGM_RSRC3_GFX90A:TG_SPLIT: 0
	.section	.text._ZN12_GLOBAL__N_135rocblas_gemm_batched_general_kernelIDF16_Li16ELi16ELi32ELi32ELi8ELi32ELi8ELi8ELi32ELc84ELc78EKDF16_S1_DF16_EEvlllT_PT11_llS4_llS2_PT12_llPT13_lli,"axG",@progbits,_ZN12_GLOBAL__N_135rocblas_gemm_batched_general_kernelIDF16_Li16ELi16ELi32ELi32ELi8ELi32ELi8ELi8ELi32ELc84ELc78EKDF16_S1_DF16_EEvlllT_PT11_llS4_llS2_PT12_llPT13_lli,comdat
	.globl	_ZN12_GLOBAL__N_135rocblas_gemm_batched_general_kernelIDF16_Li16ELi16ELi32ELi32ELi8ELi32ELi8ELi8ELi32ELc84ELc78EKDF16_S1_DF16_EEvlllT_PT11_llS4_llS2_PT12_llPT13_lli ; -- Begin function _ZN12_GLOBAL__N_135rocblas_gemm_batched_general_kernelIDF16_Li16ELi16ELi32ELi32ELi8ELi32ELi8ELi8ELi32ELc84ELc78EKDF16_S1_DF16_EEvlllT_PT11_llS4_llS2_PT12_llPT13_lli
	.p2align	8
	.type	_ZN12_GLOBAL__N_135rocblas_gemm_batched_general_kernelIDF16_Li16ELi16ELi32ELi32ELi8ELi32ELi8ELi8ELi32ELc84ELc78EKDF16_S1_DF16_EEvlllT_PT11_llS4_llS2_PT12_llPT13_lli,@function
_ZN12_GLOBAL__N_135rocblas_gemm_batched_general_kernelIDF16_Li16ELi16ELi32ELi32ELi8ELi32ELi8ELi8ELi32ELc84ELc78EKDF16_S1_DF16_EEvlllT_PT11_llS4_llS2_PT12_llPT13_lli: ; @_ZN12_GLOBAL__N_135rocblas_gemm_batched_general_kernelIDF16_Li16ELi16ELi32ELi32ELi8ELi32ELi8ELi8ELi32ELc84ELc78EKDF16_S1_DF16_EEvlllT_PT11_llS4_llS2_PT12_llPT13_lli
; %bb.0:
	s_load_dwordx4 s[20:23], s[4:5], 0x0
	s_load_dwordx2 s[24:25], s[4:5], 0x10
	s_mov_b32 s0, s7
	s_ashr_i32 s1, s0, 31
	s_ashr_i32 s7, s6, 31
	s_lshl_b64 s[10:11], s[0:1], 5
	s_waitcnt lgkmcnt(0)
	v_cmp_lt_i64_e64 s[0:1], s[24:25], 1
	v_and_b32_e32 v10, 0x3ff, v0
	v_bfe_u32 v1, v0, 10, 10
	s_lshl_b64 s[6:7], s[6:7], 5
	s_and_b64 vcc, exec, s[0:1]
	v_mov_b32_e32 v12, 0
	v_mov_b32_e32 v11, 0
	s_cbranch_vccnz .LBB21_7
; %bb.1:
	v_lshlrev_b32_e32 v8, 4, v1
	s_load_dwordx8 s[12:19], s[4:5], 0x20
	s_load_dwordx4 s[28:31], s[4:5], 0x40
	v_add_u32_e32 v3, v8, v10
	v_and_b32_e32 v12, 31, v3
	v_and_b32_e32 v2, 7, v10
	v_lshrrev_b32_e32 v9, 3, v3
	v_mov_b32_e32 v7, s7
	v_or_b32_e32 v6, s6, v12
	v_mov_b32_e32 v5, s11
	v_add_co_u32_e32 v4, vcc, s10, v9
	v_cmp_gt_i64_e64 s[0:1], s[20:21], v[6:7]
	v_lshlrev_b32_e32 v6, 1, v2
	v_addc_co_u32_e32 v5, vcc, 0, v5, vcc
	v_lshl_or_b32 v7, v9, 4, v6
	v_cmp_gt_i64_e64 s[2:3], s[22:23], v[4:5]
	v_add_u32_e32 v13, 0x200, v7
	v_add_u32_e32 v15, 0x200, v8
	s_waitcnt lgkmcnt(0)
	v_mul_lo_u32 v7, s29, v4
	v_mul_lo_u32 v8, s28, v5
	v_mad_u64_u32 v[4:5], s[26:27], s28, v4, 0
	s_mul_i32 s9, s31, s8
	s_mul_hi_u32 s26, s30, s8
	v_add3_u32 v5, v5, v8, v7
	s_add_i32 s27, s26, s9
	s_mul_i32 s26, s30, s8
	v_lshlrev_b64 v[4:5], 1, v[4:5]
	s_lshl_b64 s[26:27], s[26:27], 1
	v_mov_b32_e32 v7, s27
	v_add_co_u32_e32 v4, vcc, s26, v4
	v_addc_co_u32_e32 v5, vcc, v5, v7, vcc
	v_add_co_u32_e32 v4, vcc, v4, v6
	v_addc_co_u32_e32 v5, vcc, 0, v5, vcc
	v_mov_b32_e32 v6, s19
	v_add_co_u32_e32 v4, vcc, s18, v4
	v_addc_co_u32_e32 v5, vcc, v6, v5, vcc
	v_mov_b32_e32 v6, s7
	v_add_co_u32_e32 v7, vcc, s6, v12
	v_addc_co_u32_e32 v6, vcc, 0, v6, vcc
	v_mul_lo_u32 v8, s15, v7
	v_mul_lo_u32 v9, s14, v6
	v_mad_u64_u32 v[6:7], s[14:15], s14, v7, 0
	s_mul_i32 s9, s17, s8
	s_mul_hi_u32 s14, s16, s8
	v_add3_u32 v7, v7, v9, v8
	s_add_i32 s15, s14, s9
	s_mul_i32 s14, s16, s8
	v_lshlrev_b64 v[6:7], 1, v[6:7]
	s_lshl_b64 s[14:15], s[14:15], 1
	v_lshrrev_b32_e32 v0, 5, v3
	v_mov_b32_e32 v8, s15
	v_add_co_u32_e32 v6, vcc, s14, v6
	v_addc_co_u32_e32 v7, vcc, v7, v8, vcc
	v_lshlrev_b32_e32 v8, 1, v0
	v_add_co_u32_e32 v6, vcc, v6, v8
	v_addc_co_u32_e32 v7, vcc, 0, v7, vcc
	v_lshlrev_b32_e32 v3, 1, v12
	v_mov_b32_e32 v8, s13
	v_add_co_u32_e32 v6, vcc, s12, v6
	v_mov_b32_e32 v11, 0
	v_lshl_or_b32 v3, v0, 6, v3
	v_lshlrev_b32_e32 v14, 1, v10
	v_addc_co_u32_e32 v7, vcc, v8, v7, vcc
	s_mov_b64 s[12:13], 0
	v_pk_mov_b32 v[8:9], s[24:25], s[24:25] op_sel:[0,1]
	v_mov_b32_e32 v12, 0
	s_branch .LBB21_3
.LBB21_2:                               ;   in Loop: Header=BB21_3 Depth=1
	s_or_b64 exec, exec, s[14:15]
	s_waitcnt vmcnt(0)
	ds_write_b16 v13, v16
	s_waitcnt lgkmcnt(0)
	s_barrier
	ds_read_b128 v[16:19], v15
	ds_read_b128 v[20:23], v15 offset:256
	ds_read_u16 v28, v14
	ds_read_u16 v29, v14 offset:32
	ds_read_u16 v30, v14 offset:64
	;; [unrolled: 1-line block ×7, first 2 shown]
	v_add_co_u32_e32 v4, vcc, 16, v4
	s_waitcnt lgkmcnt(7)
	v_fma_f16 v36, v28, v16, v11
	v_lshrrev_b32_e32 v11, 16, v11
	v_lshrrev_b32_e32 v24, 16, v16
	s_waitcnt lgkmcnt(6)
	v_fma_f16 v11, v29, v16, v11
	v_fma_f16 v28, v28, v20, v12
	v_lshrrev_b32_e32 v12, 16, v12
	v_lshrrev_b32_e32 v16, 16, v20
	v_fma_f16 v12, v29, v20, v12
	s_waitcnt lgkmcnt(5)
	v_fma_f16 v20, v30, v24, v36
	s_waitcnt lgkmcnt(4)
	v_fma_f16 v11, v31, v24, v11
	v_lshrrev_b32_e32 v25, 16, v17
	v_fma_f16 v24, v30, v16, v28
	v_fma_f16 v12, v31, v16, v12
	s_waitcnt lgkmcnt(3)
	v_fma_f16 v16, v32, v17, v20
	s_waitcnt lgkmcnt(2)
	v_fma_f16 v11, v33, v17, v11
	v_lshrrev_b32_e32 v37, 16, v21
	v_fma_f16 v17, v32, v21, v24
	v_fma_f16 v12, v33, v21, v12
	s_waitcnt lgkmcnt(1)
	v_fma_f16 v16, v34, v25, v16
	s_waitcnt lgkmcnt(0)
	v_fma_f16 v11, v35, v25, v11
	ds_read_u16 v20, v14 offset:256
	ds_read_u16 v21, v14 offset:288
	;; [unrolled: 1-line block ×8, first 2 shown]
	v_fma_f16 v17, v34, v37, v17
	v_fma_f16 v12, v35, v37, v12
	v_lshrrev_b32_e32 v26, 16, v18
	v_lshrrev_b32_e32 v38, 16, v22
	s_waitcnt lgkmcnt(7)
	v_fma_f16 v16, v20, v18, v16
	s_waitcnt lgkmcnt(6)
	v_fma_f16 v11, v21, v18, v11
	v_fma_f16 v17, v20, v22, v17
	;; [unrolled: 1-line block ×3, first 2 shown]
	v_addc_co_u32_e32 v5, vcc, 0, v5, vcc
	s_waitcnt lgkmcnt(5)
	v_fma_f16 v16, v24, v26, v16
	s_waitcnt lgkmcnt(4)
	v_fma_f16 v11, v25, v26, v11
	v_fma_f16 v17, v24, v38, v17
	;; [unrolled: 1-line block ×3, first 2 shown]
	s_add_u32 s12, s12, 8
	v_add_co_u32_e32 v6, vcc, 16, v6
	v_lshrrev_b32_e32 v27, 16, v19
	v_lshrrev_b32_e32 v39, 16, v23
	s_waitcnt lgkmcnt(3)
	v_fma_f16 v16, v28, v19, v16
	s_waitcnt lgkmcnt(2)
	v_fma_f16 v11, v29, v19, v11
	v_fma_f16 v17, v28, v23, v17
	;; [unrolled: 1-line block ×3, first 2 shown]
	s_addc_u32 s13, s13, 0
	v_addc_co_u32_e32 v7, vcc, 0, v7, vcc
	s_waitcnt lgkmcnt(1)
	v_fma_f16 v16, v30, v27, v16
	s_waitcnt lgkmcnt(0)
	v_fma_f16 v11, v31, v27, v11
	v_fma_f16 v17, v30, v39, v17
	;; [unrolled: 1-line block ×3, first 2 shown]
	v_cmp_lt_i64_e32 vcc, s[12:13], v[8:9]
	v_pack_b32_f16 v11, v16, v11
	v_pack_b32_f16 v12, v17, v12
	s_barrier
	s_cbranch_vccz .LBB21_7
.LBB21_3:                               ; =>This Inner Loop Header: Depth=1
	v_mov_b32_e32 v17, s13
	v_add_co_u32_e32 v16, vcc, s12, v0
	v_addc_co_u32_e32 v17, vcc, 0, v17, vcc
	v_cmp_gt_i64_e32 vcc, s[24:25], v[16:17]
	s_and_b64 s[16:17], s[0:1], vcc
	v_mov_b32_e32 v16, 0
	s_and_saveexec_b64 s[14:15], s[16:17]
	s_cbranch_execz .LBB21_5
; %bb.4:                                ;   in Loop: Header=BB21_3 Depth=1
	global_load_ushort v16, v[6:7], off
.LBB21_5:                               ;   in Loop: Header=BB21_3 Depth=1
	s_or_b64 exec, exec, s[14:15]
	s_waitcnt vmcnt(0)
	ds_write_b16 v3, v16
	v_mov_b32_e32 v17, s13
	v_add_co_u32_e32 v16, vcc, s12, v2
	v_addc_co_u32_e32 v17, vcc, 0, v17, vcc
	v_cmp_gt_i64_e32 vcc, s[24:25], v[16:17]
	s_and_b64 s[16:17], vcc, s[2:3]
	v_mov_b32_e32 v16, 0
	s_and_saveexec_b64 s[14:15], s[16:17]
	s_cbranch_execz .LBB21_2
; %bb.6:                                ;   in Loop: Header=BB21_3 Depth=1
	global_load_ushort v16, v[4:5], off
	s_branch .LBB21_2
.LBB21_7:
	s_load_dwordx4 s[24:27], s[4:5], 0x78
	s_load_dword s9, s[4:5], 0x18
	s_load_dword s28, s[4:5], 0x50
	s_load_dwordx8 s[12:19], s[4:5], 0x58
	v_mov_b32_e32 v2, s11
	s_waitcnt lgkmcnt(0)
	s_mul_i32 s0, s8, s27
	s_mul_hi_u32 s1, s8, s26
	s_add_i32 s1, s1, s0
	s_mul_i32 s0, s8, s26
	s_lshl_b64 s[0:1], s[0:1], 1
	v_add_co_u32_e32 v0, vcc, s10, v1
	s_add_u32 s26, s18, s0
	v_addc_co_u32_e32 v1, vcc, 0, v2, vcc
	v_cmp_neq_f16_e64 s[2:3], s28, 0
	s_addc_u32 s27, s19, s1
	v_cmp_gt_i64_e64 s[0:1], s[22:23], v[0:1]
	s_and_b64 vcc, exec, s[2:3]
	s_cbranch_vccnz .LBB21_20
; %bb.8:
	s_and_saveexec_b64 s[10:11], s[0:1]
	s_cbranch_execz .LBB21_18
; %bb.9:
	v_mov_b32_e32 v2, s7
	v_add_co_u32_e32 v4, vcc, s6, v10
	v_addc_co_u32_e32 v5, vcc, 0, v2, vcc
	v_mul_lo_u32 v6, v1, s24
	v_mul_lo_u32 v7, v0, s25
	v_mad_u64_u32 v[2:3], s[2:3], v0, s24, 0
	v_add3_u32 v3, v3, v7, v6
	v_lshlrev_b64 v[2:3], 1, v[2:3]
	v_mov_b32_e32 v7, s27
	v_add_co_u32_e64 v6, s[2:3], s26, v2
	v_cmp_gt_i64_e32 vcc, s[20:21], v[4:5]
	v_addc_co_u32_e64 v7, s[2:3], v7, v3, s[2:3]
	v_lshlrev_b64 v[2:3], 1, v[4:5]
	s_and_saveexec_b64 s[4:5], vcc
	s_cbranch_execz .LBB21_11
; %bb.10:
	v_add_co_u32_e64 v8, s[2:3], v6, v2
	v_addc_co_u32_e64 v9, s[2:3], v7, v3, s[2:3]
	v_mul_f16_e32 v13, s9, v11
	global_store_short v[8:9], v13, off
.LBB21_11:
	s_or_b64 exec, exec, s[4:5]
	v_add_co_u32_e64 v4, s[2:3], 16, v4
	v_addc_co_u32_e64 v5, s[2:3], 0, v5, s[2:3]
	v_cmp_gt_i64_e64 s[2:3], s[20:21], v[4:5]
	s_and_saveexec_b64 s[18:19], s[2:3]
	s_cbranch_execz .LBB21_13
; %bb.12:
	v_add_co_u32_e64 v4, s[4:5], v6, v2
	v_addc_co_u32_e64 v5, s[4:5], v7, v3, s[4:5]
	v_mul_f16_sdwa v8, v11, s9 dst_sel:DWORD dst_unused:UNUSED_PAD src0_sel:WORD_1 src1_sel:DWORD
	global_store_short v[4:5], v8, off offset:32
.LBB21_13:
	s_or_b64 exec, exec, s[18:19]
	v_add_co_u32_e64 v4, s[4:5], 16, v0
	v_addc_co_u32_e64 v5, s[4:5], 0, v1, s[4:5]
	v_cmp_gt_i64_e64 s[4:5], s[22:23], v[4:5]
	s_and_b64 exec, exec, s[4:5]
	s_cbranch_execz .LBB21_18
; %bb.14:
	s_lshl_b64 s[4:5], s[24:25], 5
	v_mov_b32_e32 v4, s5
	v_add_co_u32_e64 v5, s[4:5], s4, v6
	v_addc_co_u32_e64 v4, s[4:5], v7, v4, s[4:5]
	v_add_co_u32_e64 v2, s[4:5], v5, v2
	v_addc_co_u32_e64 v3, s[4:5], v4, v3, s[4:5]
	s_and_saveexec_b64 s[4:5], vcc
	s_cbranch_execz .LBB21_16
; %bb.15:
	v_mul_f16_e32 v4, s9, v12
	global_store_short v[2:3], v4, off
.LBB21_16:
	s_or_b64 exec, exec, s[4:5]
	s_and_b64 exec, exec, s[2:3]
	s_cbranch_execz .LBB21_18
; %bb.17:
	v_mul_f16_sdwa v4, v12, s9 dst_sel:DWORD dst_unused:UNUSED_PAD src0_sel:WORD_1 src1_sel:DWORD
	global_store_short v[2:3], v4, off offset:32
.LBB21_18:
	s_or_b64 exec, exec, s[10:11]
	s_cbranch_execz .LBB21_21
.LBB21_19:
	s_endpgm
.LBB21_20:
.LBB21_21:
	s_and_saveexec_b64 s[2:3], s[0:1]
	s_cbranch_execz .LBB21_19
; %bb.22:
	s_mul_i32 s0, s8, s17
	s_mul_hi_u32 s1, s8, s16
	s_add_i32 s1, s1, s0
	s_mul_i32 s0, s8, s16
	s_lshl_b64 s[0:1], s[0:1], 1
	s_add_u32 s2, s12, s0
	v_mov_b32_e32 v2, s7
	v_add_co_u32_e32 v4, vcc, s6, v10
	s_addc_u32 s3, s13, s1
	v_addc_co_u32_e32 v5, vcc, 0, v2, vcc
	v_mul_lo_u32 v6, v1, s14
	v_mul_lo_u32 v7, v0, s15
	v_mad_u64_u32 v[2:3], s[0:1], v0, s14, 0
	v_add3_u32 v3, v3, v7, v6
	v_mul_lo_u32 v6, v1, s24
	v_mul_lo_u32 v7, v0, s25
	v_mad_u64_u32 v[8:9], s[0:1], v0, s24, 0
	v_lshlrev_b64 v[2:3], 1, v[2:3]
	v_add3_u32 v9, v9, v7, v6
	v_mov_b32_e32 v7, s3
	v_add_co_u32_e64 v6, s[0:1], s2, v2
	v_addc_co_u32_e64 v7, s[0:1], v7, v3, s[0:1]
	v_lshlrev_b64 v[2:3], 1, v[8:9]
	v_mov_b32_e32 v9, s27
	v_add_co_u32_e64 v8, s[0:1], s26, v2
	v_cmp_gt_i64_e32 vcc, s[20:21], v[4:5]
	v_addc_co_u32_e64 v9, s[0:1], v9, v3, s[0:1]
	v_lshlrev_b64 v[2:3], 1, v[4:5]
	s_and_saveexec_b64 s[2:3], vcc
	s_cbranch_execz .LBB21_24
; %bb.23:
	v_add_co_u32_e64 v14, s[0:1], v6, v2
	v_addc_co_u32_e64 v15, s[0:1], v7, v3, s[0:1]
	global_load_ushort v10, v[14:15], off
	v_add_co_u32_e64 v14, s[0:1], v8, v2
	v_addc_co_u32_e64 v15, s[0:1], v9, v3, s[0:1]
	s_waitcnt vmcnt(0)
	v_mul_f16_e32 v10, s28, v10
	v_fma_f16 v10, v11, s9, v10
	global_store_short v[14:15], v10, off
.LBB21_24:
	s_or_b64 exec, exec, s[2:3]
	v_add_co_u32_e64 v4, s[0:1], 16, v4
	v_addc_co_u32_e64 v5, s[0:1], 0, v5, s[0:1]
	v_cmp_gt_i64_e64 s[0:1], s[20:21], v[4:5]
	s_and_saveexec_b64 s[4:5], s[0:1]
	s_cbranch_execz .LBB21_26
; %bb.25:
	v_add_co_u32_e64 v4, s[2:3], v6, v2
	v_addc_co_u32_e64 v5, s[2:3], v7, v3, s[2:3]
	global_load_ushort v4, v[4:5], off offset:32
	v_lshrrev_b32_e32 v5, 16, v11
	s_waitcnt vmcnt(0)
	v_mul_f16_e32 v4, s28, v4
	v_fma_f16 v10, v5, s9, v4
	v_add_co_u32_e64 v4, s[2:3], v8, v2
	v_addc_co_u32_e64 v5, s[2:3], v9, v3, s[2:3]
	global_store_short v[4:5], v10, off offset:32
.LBB21_26:
	s_or_b64 exec, exec, s[4:5]
	v_add_co_u32_e64 v0, s[2:3], 16, v0
	v_addc_co_u32_e64 v1, s[2:3], 0, v1, s[2:3]
	v_cmp_gt_i64_e64 s[2:3], s[22:23], v[0:1]
	s_and_b64 exec, exec, s[2:3]
	s_cbranch_execz .LBB21_19
; %bb.27:
	s_lshl_b64 s[2:3], s[14:15], 5
	v_mov_b32_e32 v0, s3
	v_add_co_u32_e64 v1, s[2:3], s2, v6
	v_addc_co_u32_e64 v4, s[2:3], v7, v0, s[2:3]
	s_lshl_b64 s[2:3], s[24:25], 5
	v_mov_b32_e32 v0, s3
	v_add_co_u32_e64 v5, s[2:3], s2, v8
	v_addc_co_u32_e64 v6, s[2:3], v9, v0, s[2:3]
	v_add_co_u32_e64 v0, s[2:3], v1, v2
	v_addc_co_u32_e64 v1, s[2:3], v4, v3, s[2:3]
	v_add_co_u32_e64 v2, s[2:3], v5, v2
	v_addc_co_u32_e64 v3, s[2:3], v6, v3, s[2:3]
	s_and_saveexec_b64 s[2:3], vcc
	s_cbranch_execz .LBB21_29
; %bb.28:
	global_load_ushort v4, v[0:1], off
	s_waitcnt vmcnt(0)
	v_mul_f16_e32 v4, s28, v4
	v_fma_f16 v4, v12, s9, v4
	global_store_short v[2:3], v4, off
.LBB21_29:
	s_or_b64 exec, exec, s[2:3]
	s_and_b64 exec, exec, s[0:1]
	s_cbranch_execz .LBB21_19
; %bb.30:
	global_load_ushort v0, v[0:1], off offset:32
	v_lshrrev_b32_e32 v1, 16, v12
	s_waitcnt vmcnt(0)
	v_mul_f16_e32 v0, s28, v0
	v_fma_f16 v0, v1, s9, v0
	global_store_short v[2:3], v0, off offset:32
	s_endpgm
	.section	.rodata,"a",@progbits
	.p2align	6, 0x0
	.amdhsa_kernel _ZN12_GLOBAL__N_135rocblas_gemm_batched_general_kernelIDF16_Li16ELi16ELi32ELi32ELi8ELi32ELi8ELi8ELi32ELc84ELc78EKDF16_S1_DF16_EEvlllT_PT11_llS4_llS2_PT12_llPT13_lli
		.amdhsa_group_segment_fixed_size 1024
		.amdhsa_private_segment_fixed_size 0
		.amdhsa_kernarg_size 140
		.amdhsa_user_sgpr_count 6
		.amdhsa_user_sgpr_private_segment_buffer 1
		.amdhsa_user_sgpr_dispatch_ptr 0
		.amdhsa_user_sgpr_queue_ptr 0
		.amdhsa_user_sgpr_kernarg_segment_ptr 1
		.amdhsa_user_sgpr_dispatch_id 0
		.amdhsa_user_sgpr_flat_scratch_init 0
		.amdhsa_user_sgpr_kernarg_preload_length 0
		.amdhsa_user_sgpr_kernarg_preload_offset 0
		.amdhsa_user_sgpr_private_segment_size 0
		.amdhsa_uses_dynamic_stack 0
		.amdhsa_system_sgpr_private_segment_wavefront_offset 0
		.amdhsa_system_sgpr_workgroup_id_x 1
		.amdhsa_system_sgpr_workgroup_id_y 1
		.amdhsa_system_sgpr_workgroup_id_z 1
		.amdhsa_system_sgpr_workgroup_info 0
		.amdhsa_system_vgpr_workitem_id 1
		.amdhsa_next_free_vgpr 40
		.amdhsa_next_free_sgpr 32
		.amdhsa_accum_offset 40
		.amdhsa_reserve_vcc 1
		.amdhsa_reserve_flat_scratch 0
		.amdhsa_float_round_mode_32 0
		.amdhsa_float_round_mode_16_64 0
		.amdhsa_float_denorm_mode_32 3
		.amdhsa_float_denorm_mode_16_64 3
		.amdhsa_dx10_clamp 1
		.amdhsa_ieee_mode 1
		.amdhsa_fp16_overflow 0
		.amdhsa_tg_split 0
		.amdhsa_exception_fp_ieee_invalid_op 0
		.amdhsa_exception_fp_denorm_src 0
		.amdhsa_exception_fp_ieee_div_zero 0
		.amdhsa_exception_fp_ieee_overflow 0
		.amdhsa_exception_fp_ieee_underflow 0
		.amdhsa_exception_fp_ieee_inexact 0
		.amdhsa_exception_int_div_zero 0
	.end_amdhsa_kernel
	.section	.text._ZN12_GLOBAL__N_135rocblas_gemm_batched_general_kernelIDF16_Li16ELi16ELi32ELi32ELi8ELi32ELi8ELi8ELi32ELc84ELc78EKDF16_S1_DF16_EEvlllT_PT11_llS4_llS2_PT12_llPT13_lli,"axG",@progbits,_ZN12_GLOBAL__N_135rocblas_gemm_batched_general_kernelIDF16_Li16ELi16ELi32ELi32ELi8ELi32ELi8ELi8ELi32ELc84ELc78EKDF16_S1_DF16_EEvlllT_PT11_llS4_llS2_PT12_llPT13_lli,comdat
.Lfunc_end21:
	.size	_ZN12_GLOBAL__N_135rocblas_gemm_batched_general_kernelIDF16_Li16ELi16ELi32ELi32ELi8ELi32ELi8ELi8ELi32ELc84ELc78EKDF16_S1_DF16_EEvlllT_PT11_llS4_llS2_PT12_llPT13_lli, .Lfunc_end21-_ZN12_GLOBAL__N_135rocblas_gemm_batched_general_kernelIDF16_Li16ELi16ELi32ELi32ELi8ELi32ELi8ELi8ELi32ELc84ELc78EKDF16_S1_DF16_EEvlllT_PT11_llS4_llS2_PT12_llPT13_lli
                                        ; -- End function
	.section	.AMDGPU.csdata,"",@progbits
; Kernel info:
; codeLenInByte = 2104
; NumSgprs: 36
; NumVgprs: 40
; NumAgprs: 0
; TotalNumVgprs: 40
; ScratchSize: 0
; MemoryBound: 0
; FloatMode: 240
; IeeeMode: 1
; LDSByteSize: 1024 bytes/workgroup (compile time only)
; SGPRBlocks: 4
; VGPRBlocks: 4
; NumSGPRsForWavesPerEU: 36
; NumVGPRsForWavesPerEU: 40
; AccumOffset: 40
; Occupancy: 8
; WaveLimiterHint : 0
; COMPUTE_PGM_RSRC2:SCRATCH_EN: 0
; COMPUTE_PGM_RSRC2:USER_SGPR: 6
; COMPUTE_PGM_RSRC2:TRAP_HANDLER: 0
; COMPUTE_PGM_RSRC2:TGID_X_EN: 1
; COMPUTE_PGM_RSRC2:TGID_Y_EN: 1
; COMPUTE_PGM_RSRC2:TGID_Z_EN: 1
; COMPUTE_PGM_RSRC2:TIDIG_COMP_CNT: 1
; COMPUTE_PGM_RSRC3_GFX90A:ACCUM_OFFSET: 9
; COMPUTE_PGM_RSRC3_GFX90A:TG_SPLIT: 0
	.section	.text._ZN12_GLOBAL__N_135rocblas_gemm_batched_general_kernelIDF16_Li16ELi16ELi32ELi32ELi8ELi32ELi8ELi8ELi32ELc78ELc84EKDF16_S1_DF16_EEvlllT_PT11_llS4_llS2_PT12_llPT13_lli,"axG",@progbits,_ZN12_GLOBAL__N_135rocblas_gemm_batched_general_kernelIDF16_Li16ELi16ELi32ELi32ELi8ELi32ELi8ELi8ELi32ELc78ELc84EKDF16_S1_DF16_EEvlllT_PT11_llS4_llS2_PT12_llPT13_lli,comdat
	.globl	_ZN12_GLOBAL__N_135rocblas_gemm_batched_general_kernelIDF16_Li16ELi16ELi32ELi32ELi8ELi32ELi8ELi8ELi32ELc78ELc84EKDF16_S1_DF16_EEvlllT_PT11_llS4_llS2_PT12_llPT13_lli ; -- Begin function _ZN12_GLOBAL__N_135rocblas_gemm_batched_general_kernelIDF16_Li16ELi16ELi32ELi32ELi8ELi32ELi8ELi8ELi32ELc78ELc84EKDF16_S1_DF16_EEvlllT_PT11_llS4_llS2_PT12_llPT13_lli
	.p2align	8
	.type	_ZN12_GLOBAL__N_135rocblas_gemm_batched_general_kernelIDF16_Li16ELi16ELi32ELi32ELi8ELi32ELi8ELi8ELi32ELc78ELc84EKDF16_S1_DF16_EEvlllT_PT11_llS4_llS2_PT12_llPT13_lli,@function
_ZN12_GLOBAL__N_135rocblas_gemm_batched_general_kernelIDF16_Li16ELi16ELi32ELi32ELi8ELi32ELi8ELi8ELi32ELc78ELc84EKDF16_S1_DF16_EEvlllT_PT11_llS4_llS2_PT12_llPT13_lli: ; @_ZN12_GLOBAL__N_135rocblas_gemm_batched_general_kernelIDF16_Li16ELi16ELi32ELi32ELi8ELi32ELi8ELi8ELi32ELc78ELc84EKDF16_S1_DF16_EEvlllT_PT11_llS4_llS2_PT12_llPT13_lli
; %bb.0:
	s_load_dwordx4 s[20:23], s[4:5], 0x0
	s_load_dwordx2 s[30:31], s[4:5], 0x10
	s_mov_b32 s34, s7
	s_ashr_i32 s7, s6, 31
	s_ashr_i32 s35, s34, 31
	v_and_b32_e32 v10, 0x3ff, v0
	s_waitcnt lgkmcnt(0)
	v_cmp_lt_i64_e64 s[0:1], s[30:31], 1
	v_bfe_u32 v1, v0, 10, 10
	s_lshl_b64 s[10:11], s[6:7], 5
	s_lshl_b64 s[28:29], s[34:35], 5
	s_and_b64 vcc, exec, s[0:1]
	v_mov_b32_e32 v12, 0
	v_mov_b32_e32 v11, 0
	s_cbranch_vccnz .LBB22_7
; %bb.1:
	v_lshlrev_b32_e32 v8, 4, v1
	v_add_u32_e32 v3, v8, v10
	s_load_dwordx8 s[12:19], s[4:5], 0x20
	s_load_dwordx4 s[24:27], s[4:5], 0x40
	v_lshrrev_b32_e32 v9, 3, v3
	v_mov_b32_e32 v5, s29
	v_add_co_u32_e32 v4, vcc, s28, v9
	v_and_b32_e32 v2, 7, v10
	v_addc_co_u32_e32 v5, vcc, 0, v5, vcc
	v_cmp_gt_i64_e64 s[2:3], s[22:23], v[4:5]
	v_lshlrev_b32_e32 v4, 1, v2
	v_lshrrev_b32_e32 v0, 5, v3
	v_and_b32_e32 v3, 31, v3
	v_lshl_or_b32 v4, v9, 4, v4
	v_mov_b32_e32 v7, s11
	v_or_b32_e32 v6, s10, v3
	v_add_u32_e32 v13, 0x200, v4
	s_waitcnt lgkmcnt(0)
	s_mul_i32 s9, s27, s8
	s_mul_hi_u32 s27, s26, s8
	v_mad_u64_u32 v[4:5], s[36:37], s24, v2, 0
	v_cmp_gt_i64_e64 s[0:1], s[20:21], v[6:7]
	s_add_i32 s27, s27, s9
	s_mul_i32 s26, s26, s8
	v_mov_b32_e32 v6, v5
	s_lshl_b64 s[26:27], s[26:27], 1
	v_mad_u64_u32 v[6:7], s[36:37], s25, v2, v[6:7]
	s_lshl_b64 s[34:35], s[34:35], 6
	v_mov_b32_e32 v5, v6
	s_add_u32 s9, s34, s26
	v_lshlrev_b64 v[4:5], 1, v[4:5]
	s_addc_u32 s26, s35, s27
	v_mov_b32_e32 v6, s26
	v_add_co_u32_e32 v4, vcc, s9, v4
	v_addc_co_u32_e32 v5, vcc, v6, v5, vcc
	v_lshlrev_b32_e32 v6, 1, v9
	v_add_co_u32_e32 v4, vcc, v4, v6
	v_addc_co_u32_e32 v5, vcc, 0, v5, vcc
	v_mov_b32_e32 v6, s19
	v_add_co_u32_e32 v4, vcc, s18, v4
	v_addc_co_u32_e32 v5, vcc, v6, v5, vcc
	s_lshl_b64 s[18:19], s[24:25], 4
	v_mad_u64_u32 v[6:7], s[24:25], s14, v0, 0
	s_mul_i32 s9, s17, s8
	s_mul_hi_u32 s17, s16, s8
	v_add_u32_e32 v15, 0x200, v8
	v_mov_b32_e32 v8, v7
	s_add_i32 s17, s17, s9
	s_mul_i32 s16, s16, s8
	v_mad_u64_u32 v[8:9], s[24:25], s15, v0, v[8:9]
	s_lshl_b64 s[16:17], s[16:17], 1
	s_lshl_b64 s[6:7], s[6:7], 6
	v_mov_b32_e32 v7, v8
	s_add_u32 s6, s6, s16
	v_lshlrev_b64 v[6:7], 1, v[6:7]
	s_addc_u32 s7, s7, s17
	v_mov_b32_e32 v8, s7
	v_add_co_u32_e32 v6, vcc, s6, v6
	v_lshlrev_b32_e32 v12, 1, v3
	v_addc_co_u32_e32 v7, vcc, v8, v7, vcc
	v_add_co_u32_e32 v6, vcc, v6, v12
	v_addc_co_u32_e32 v7, vcc, 0, v7, vcc
	v_mov_b32_e32 v8, s13
	v_add_co_u32_e32 v6, vcc, s12, v6
	s_lshl_b64 s[6:7], s[14:15], 4
	v_mov_b32_e32 v11, 0
	v_lshl_or_b32 v3, v0, 6, v12
	v_lshlrev_b32_e32 v14, 1, v10
	v_addc_co_u32_e32 v7, vcc, v8, v7, vcc
	s_mov_b64 s[12:13], 0
	v_mov_b32_e32 v16, s19
	v_mov_b32_e32 v17, s7
	v_pk_mov_b32 v[8:9], s[30:31], s[30:31] op_sel:[0,1]
	v_mov_b32_e32 v12, 0
	s_branch .LBB22_3
.LBB22_2:                               ;   in Loop: Header=BB22_3 Depth=1
	s_or_b64 exec, exec, s[14:15]
	s_waitcnt vmcnt(0)
	ds_write_b16 v13, v18
	s_waitcnt lgkmcnt(0)
	s_barrier
	ds_read_b128 v[18:21], v15
	ds_read_b128 v[22:25], v15 offset:256
	ds_read_u16 v30, v14
	ds_read_u16 v31, v14 offset:32
	ds_read_u16 v32, v14 offset:64
	;; [unrolled: 1-line block ×7, first 2 shown]
	v_add_co_u32_e32 v4, vcc, s18, v4
	s_waitcnt lgkmcnt(7)
	v_fma_f16 v38, v30, v18, v11
	v_lshrrev_b32_e32 v11, 16, v11
	v_lshrrev_b32_e32 v26, 16, v18
	s_waitcnt lgkmcnt(6)
	v_fma_f16 v11, v31, v18, v11
	v_fma_f16 v30, v30, v22, v12
	v_lshrrev_b32_e32 v12, 16, v12
	v_lshrrev_b32_e32 v18, 16, v22
	v_fma_f16 v12, v31, v22, v12
	s_waitcnt lgkmcnt(5)
	v_fma_f16 v22, v32, v26, v38
	s_waitcnt lgkmcnt(4)
	v_fma_f16 v11, v33, v26, v11
	v_lshrrev_b32_e32 v27, 16, v19
	v_fma_f16 v26, v32, v18, v30
	v_fma_f16 v12, v33, v18, v12
	s_waitcnt lgkmcnt(3)
	v_fma_f16 v18, v34, v19, v22
	s_waitcnt lgkmcnt(2)
	v_fma_f16 v11, v35, v19, v11
	v_lshrrev_b32_e32 v39, 16, v23
	v_fma_f16 v19, v34, v23, v26
	v_fma_f16 v12, v35, v23, v12
	s_waitcnt lgkmcnt(1)
	v_fma_f16 v18, v36, v27, v18
	s_waitcnt lgkmcnt(0)
	v_fma_f16 v11, v37, v27, v11
	ds_read_u16 v22, v14 offset:256
	ds_read_u16 v23, v14 offset:288
	;; [unrolled: 1-line block ×8, first 2 shown]
	v_fma_f16 v19, v36, v39, v19
	v_fma_f16 v12, v37, v39, v12
	v_lshrrev_b32_e32 v28, 16, v20
	v_lshrrev_b32_e32 v40, 16, v24
	s_waitcnt lgkmcnt(7)
	v_fma_f16 v18, v22, v20, v18
	s_waitcnt lgkmcnt(6)
	v_fma_f16 v11, v23, v20, v11
	v_fma_f16 v19, v22, v24, v19
	;; [unrolled: 1-line block ×3, first 2 shown]
	v_addc_co_u32_e32 v5, vcc, v5, v16, vcc
	s_waitcnt lgkmcnt(5)
	v_fma_f16 v18, v26, v28, v18
	s_waitcnt lgkmcnt(4)
	v_fma_f16 v11, v27, v28, v11
	v_fma_f16 v19, v26, v40, v19
	;; [unrolled: 1-line block ×3, first 2 shown]
	s_add_u32 s12, s12, 8
	v_add_co_u32_e32 v6, vcc, s6, v6
	v_lshrrev_b32_e32 v29, 16, v21
	v_lshrrev_b32_e32 v41, 16, v25
	s_waitcnt lgkmcnt(3)
	v_fma_f16 v18, v30, v21, v18
	s_waitcnt lgkmcnt(2)
	v_fma_f16 v11, v31, v21, v11
	v_fma_f16 v19, v30, v25, v19
	;; [unrolled: 1-line block ×3, first 2 shown]
	s_addc_u32 s13, s13, 0
	v_addc_co_u32_e32 v7, vcc, v7, v17, vcc
	s_waitcnt lgkmcnt(1)
	v_fma_f16 v18, v32, v29, v18
	s_waitcnt lgkmcnt(0)
	v_fma_f16 v11, v33, v29, v11
	v_fma_f16 v19, v32, v41, v19
	;; [unrolled: 1-line block ×3, first 2 shown]
	v_cmp_lt_i64_e32 vcc, s[12:13], v[8:9]
	v_pack_b32_f16 v11, v18, v11
	v_pack_b32_f16 v12, v19, v12
	s_barrier
	s_cbranch_vccz .LBB22_7
.LBB22_3:                               ; =>This Inner Loop Header: Depth=1
	v_mov_b32_e32 v19, s13
	v_add_co_u32_e32 v18, vcc, s12, v0
	v_addc_co_u32_e32 v19, vcc, 0, v19, vcc
	v_cmp_gt_i64_e32 vcc, s[30:31], v[18:19]
	s_and_b64 s[16:17], s[0:1], vcc
	v_mov_b32_e32 v18, 0
	s_and_saveexec_b64 s[14:15], s[16:17]
	s_cbranch_execz .LBB22_5
; %bb.4:                                ;   in Loop: Header=BB22_3 Depth=1
	global_load_ushort v18, v[6:7], off
.LBB22_5:                               ;   in Loop: Header=BB22_3 Depth=1
	s_or_b64 exec, exec, s[14:15]
	s_waitcnt vmcnt(0)
	ds_write_b16 v3, v18
	v_mov_b32_e32 v19, s13
	v_add_co_u32_e32 v18, vcc, s12, v2
	v_addc_co_u32_e32 v19, vcc, 0, v19, vcc
	v_cmp_gt_i64_e32 vcc, s[30:31], v[18:19]
	s_and_b64 s[16:17], vcc, s[2:3]
	v_mov_b32_e32 v18, 0
	s_and_saveexec_b64 s[14:15], s[16:17]
	s_cbranch_execz .LBB22_2
; %bb.6:                                ;   in Loop: Header=BB22_3 Depth=1
	global_load_ushort v18, v[4:5], off
	s_branch .LBB22_2
.LBB22_7:
	s_load_dwordx4 s[24:27], s[4:5], 0x78
	s_load_dword s9, s[4:5], 0x18
	s_load_dword s30, s[4:5], 0x50
	s_load_dwordx8 s[12:19], s[4:5], 0x58
	v_mov_b32_e32 v2, s29
	s_waitcnt lgkmcnt(0)
	s_mul_i32 s0, s8, s27
	s_mul_hi_u32 s1, s8, s26
	s_add_i32 s1, s1, s0
	s_mul_i32 s0, s8, s26
	s_lshl_b64 s[0:1], s[0:1], 1
	v_add_co_u32_e32 v0, vcc, s28, v1
	s_add_u32 s26, s18, s0
	v_addc_co_u32_e32 v1, vcc, 0, v2, vcc
	v_cmp_neq_f16_e64 s[2:3], s30, 0
	s_addc_u32 s27, s19, s1
	v_cmp_gt_i64_e64 s[0:1], s[22:23], v[0:1]
	s_and_b64 vcc, exec, s[2:3]
	s_cbranch_vccnz .LBB22_20
; %bb.8:
	s_and_saveexec_b64 s[6:7], s[0:1]
	s_cbranch_execz .LBB22_18
; %bb.9:
	v_mov_b32_e32 v2, s11
	v_add_co_u32_e32 v4, vcc, s10, v10
	v_addc_co_u32_e32 v5, vcc, 0, v2, vcc
	v_mul_lo_u32 v6, v1, s24
	v_mul_lo_u32 v7, v0, s25
	v_mad_u64_u32 v[2:3], s[2:3], v0, s24, 0
	v_add3_u32 v3, v3, v7, v6
	v_lshlrev_b64 v[2:3], 1, v[2:3]
	v_mov_b32_e32 v7, s27
	v_add_co_u32_e64 v6, s[2:3], s26, v2
	v_cmp_gt_i64_e32 vcc, s[20:21], v[4:5]
	v_addc_co_u32_e64 v7, s[2:3], v7, v3, s[2:3]
	v_lshlrev_b64 v[2:3], 1, v[4:5]
	s_and_saveexec_b64 s[4:5], vcc
	s_cbranch_execz .LBB22_11
; %bb.10:
	v_add_co_u32_e64 v8, s[2:3], v6, v2
	v_addc_co_u32_e64 v9, s[2:3], v7, v3, s[2:3]
	v_mul_f16_e32 v13, s9, v11
	global_store_short v[8:9], v13, off
.LBB22_11:
	s_or_b64 exec, exec, s[4:5]
	v_add_co_u32_e64 v4, s[2:3], 16, v4
	v_addc_co_u32_e64 v5, s[2:3], 0, v5, s[2:3]
	v_cmp_gt_i64_e64 s[2:3], s[20:21], v[4:5]
	s_and_saveexec_b64 s[18:19], s[2:3]
	s_cbranch_execz .LBB22_13
; %bb.12:
	v_add_co_u32_e64 v4, s[4:5], v6, v2
	v_addc_co_u32_e64 v5, s[4:5], v7, v3, s[4:5]
	v_mul_f16_sdwa v8, v11, s9 dst_sel:DWORD dst_unused:UNUSED_PAD src0_sel:WORD_1 src1_sel:DWORD
	global_store_short v[4:5], v8, off offset:32
.LBB22_13:
	s_or_b64 exec, exec, s[18:19]
	v_add_co_u32_e64 v4, s[4:5], 16, v0
	v_addc_co_u32_e64 v5, s[4:5], 0, v1, s[4:5]
	v_cmp_gt_i64_e64 s[4:5], s[22:23], v[4:5]
	s_and_b64 exec, exec, s[4:5]
	s_cbranch_execz .LBB22_18
; %bb.14:
	s_lshl_b64 s[4:5], s[24:25], 5
	v_mov_b32_e32 v4, s5
	v_add_co_u32_e64 v5, s[4:5], s4, v6
	v_addc_co_u32_e64 v4, s[4:5], v7, v4, s[4:5]
	v_add_co_u32_e64 v2, s[4:5], v5, v2
	v_addc_co_u32_e64 v3, s[4:5], v4, v3, s[4:5]
	s_and_saveexec_b64 s[4:5], vcc
	s_cbranch_execz .LBB22_16
; %bb.15:
	v_mul_f16_e32 v4, s9, v12
	global_store_short v[2:3], v4, off
.LBB22_16:
	s_or_b64 exec, exec, s[4:5]
	s_and_b64 exec, exec, s[2:3]
	s_cbranch_execz .LBB22_18
; %bb.17:
	v_mul_f16_sdwa v4, v12, s9 dst_sel:DWORD dst_unused:UNUSED_PAD src0_sel:WORD_1 src1_sel:DWORD
	global_store_short v[2:3], v4, off offset:32
.LBB22_18:
	s_or_b64 exec, exec, s[6:7]
	s_cbranch_execz .LBB22_21
.LBB22_19:
	s_endpgm
.LBB22_20:
.LBB22_21:
	s_and_saveexec_b64 s[2:3], s[0:1]
	s_cbranch_execz .LBB22_19
; %bb.22:
	s_mul_i32 s0, s8, s17
	s_mul_hi_u32 s1, s8, s16
	s_add_i32 s1, s1, s0
	s_mul_i32 s0, s8, s16
	s_lshl_b64 s[0:1], s[0:1], 1
	s_add_u32 s2, s12, s0
	v_mov_b32_e32 v2, s11
	v_add_co_u32_e32 v4, vcc, s10, v10
	s_addc_u32 s3, s13, s1
	v_addc_co_u32_e32 v5, vcc, 0, v2, vcc
	v_mul_lo_u32 v6, v1, s14
	v_mul_lo_u32 v7, v0, s15
	v_mad_u64_u32 v[2:3], s[0:1], v0, s14, 0
	v_add3_u32 v3, v3, v7, v6
	v_mul_lo_u32 v6, v1, s24
	v_mul_lo_u32 v7, v0, s25
	v_mad_u64_u32 v[8:9], s[0:1], v0, s24, 0
	v_lshlrev_b64 v[2:3], 1, v[2:3]
	v_add3_u32 v9, v9, v7, v6
	v_mov_b32_e32 v7, s3
	v_add_co_u32_e64 v6, s[0:1], s2, v2
	v_addc_co_u32_e64 v7, s[0:1], v7, v3, s[0:1]
	v_lshlrev_b64 v[2:3], 1, v[8:9]
	v_mov_b32_e32 v9, s27
	v_add_co_u32_e64 v8, s[0:1], s26, v2
	v_cmp_gt_i64_e32 vcc, s[20:21], v[4:5]
	v_addc_co_u32_e64 v9, s[0:1], v9, v3, s[0:1]
	v_lshlrev_b64 v[2:3], 1, v[4:5]
	s_and_saveexec_b64 s[2:3], vcc
	s_cbranch_execz .LBB22_24
; %bb.23:
	v_add_co_u32_e64 v14, s[0:1], v6, v2
	v_addc_co_u32_e64 v15, s[0:1], v7, v3, s[0:1]
	global_load_ushort v10, v[14:15], off
	v_add_co_u32_e64 v14, s[0:1], v8, v2
	v_addc_co_u32_e64 v15, s[0:1], v9, v3, s[0:1]
	s_waitcnt vmcnt(0)
	v_mul_f16_e32 v10, s30, v10
	v_fma_f16 v10, v11, s9, v10
	global_store_short v[14:15], v10, off
.LBB22_24:
	s_or_b64 exec, exec, s[2:3]
	v_add_co_u32_e64 v4, s[0:1], 16, v4
	v_addc_co_u32_e64 v5, s[0:1], 0, v5, s[0:1]
	v_cmp_gt_i64_e64 s[0:1], s[20:21], v[4:5]
	s_and_saveexec_b64 s[4:5], s[0:1]
	s_cbranch_execz .LBB22_26
; %bb.25:
	v_add_co_u32_e64 v4, s[2:3], v6, v2
	v_addc_co_u32_e64 v5, s[2:3], v7, v3, s[2:3]
	global_load_ushort v4, v[4:5], off offset:32
	v_lshrrev_b32_e32 v5, 16, v11
	s_waitcnt vmcnt(0)
	v_mul_f16_e32 v4, s30, v4
	v_fma_f16 v10, v5, s9, v4
	v_add_co_u32_e64 v4, s[2:3], v8, v2
	v_addc_co_u32_e64 v5, s[2:3], v9, v3, s[2:3]
	global_store_short v[4:5], v10, off offset:32
.LBB22_26:
	s_or_b64 exec, exec, s[4:5]
	v_add_co_u32_e64 v0, s[2:3], 16, v0
	v_addc_co_u32_e64 v1, s[2:3], 0, v1, s[2:3]
	v_cmp_gt_i64_e64 s[2:3], s[22:23], v[0:1]
	s_and_b64 exec, exec, s[2:3]
	s_cbranch_execz .LBB22_19
; %bb.27:
	s_lshl_b64 s[2:3], s[14:15], 5
	v_mov_b32_e32 v0, s3
	v_add_co_u32_e64 v1, s[2:3], s2, v6
	v_addc_co_u32_e64 v4, s[2:3], v7, v0, s[2:3]
	s_lshl_b64 s[2:3], s[24:25], 5
	v_mov_b32_e32 v0, s3
	v_add_co_u32_e64 v5, s[2:3], s2, v8
	v_addc_co_u32_e64 v6, s[2:3], v9, v0, s[2:3]
	v_add_co_u32_e64 v0, s[2:3], v1, v2
	v_addc_co_u32_e64 v1, s[2:3], v4, v3, s[2:3]
	;; [unrolled: 2-line block ×3, first 2 shown]
	s_and_saveexec_b64 s[2:3], vcc
	s_cbranch_execz .LBB22_29
; %bb.28:
	global_load_ushort v4, v[0:1], off
	s_waitcnt vmcnt(0)
	v_mul_f16_e32 v4, s30, v4
	v_fma_f16 v4, v12, s9, v4
	global_store_short v[2:3], v4, off
.LBB22_29:
	s_or_b64 exec, exec, s[2:3]
	s_and_b64 exec, exec, s[0:1]
	s_cbranch_execz .LBB22_19
; %bb.30:
	global_load_ushort v0, v[0:1], off offset:32
	v_lshrrev_b32_e32 v1, 16, v12
	s_waitcnt vmcnt(0)
	v_mul_f16_e32 v0, s30, v0
	v_fma_f16 v0, v1, s9, v0
	global_store_short v[2:3], v0, off offset:32
	s_endpgm
	.section	.rodata,"a",@progbits
	.p2align	6, 0x0
	.amdhsa_kernel _ZN12_GLOBAL__N_135rocblas_gemm_batched_general_kernelIDF16_Li16ELi16ELi32ELi32ELi8ELi32ELi8ELi8ELi32ELc78ELc84EKDF16_S1_DF16_EEvlllT_PT11_llS4_llS2_PT12_llPT13_lli
		.amdhsa_group_segment_fixed_size 1024
		.amdhsa_private_segment_fixed_size 0
		.amdhsa_kernarg_size 140
		.amdhsa_user_sgpr_count 6
		.amdhsa_user_sgpr_private_segment_buffer 1
		.amdhsa_user_sgpr_dispatch_ptr 0
		.amdhsa_user_sgpr_queue_ptr 0
		.amdhsa_user_sgpr_kernarg_segment_ptr 1
		.amdhsa_user_sgpr_dispatch_id 0
		.amdhsa_user_sgpr_flat_scratch_init 0
		.amdhsa_user_sgpr_kernarg_preload_length 0
		.amdhsa_user_sgpr_kernarg_preload_offset 0
		.amdhsa_user_sgpr_private_segment_size 0
		.amdhsa_uses_dynamic_stack 0
		.amdhsa_system_sgpr_private_segment_wavefront_offset 0
		.amdhsa_system_sgpr_workgroup_id_x 1
		.amdhsa_system_sgpr_workgroup_id_y 1
		.amdhsa_system_sgpr_workgroup_id_z 1
		.amdhsa_system_sgpr_workgroup_info 0
		.amdhsa_system_vgpr_workitem_id 1
		.amdhsa_next_free_vgpr 42
		.amdhsa_next_free_sgpr 38
		.amdhsa_accum_offset 44
		.amdhsa_reserve_vcc 1
		.amdhsa_reserve_flat_scratch 0
		.amdhsa_float_round_mode_32 0
		.amdhsa_float_round_mode_16_64 0
		.amdhsa_float_denorm_mode_32 3
		.amdhsa_float_denorm_mode_16_64 3
		.amdhsa_dx10_clamp 1
		.amdhsa_ieee_mode 1
		.amdhsa_fp16_overflow 0
		.amdhsa_tg_split 0
		.amdhsa_exception_fp_ieee_invalid_op 0
		.amdhsa_exception_fp_denorm_src 0
		.amdhsa_exception_fp_ieee_div_zero 0
		.amdhsa_exception_fp_ieee_overflow 0
		.amdhsa_exception_fp_ieee_underflow 0
		.amdhsa_exception_fp_ieee_inexact 0
		.amdhsa_exception_int_div_zero 0
	.end_amdhsa_kernel
	.section	.text._ZN12_GLOBAL__N_135rocblas_gemm_batched_general_kernelIDF16_Li16ELi16ELi32ELi32ELi8ELi32ELi8ELi8ELi32ELc78ELc84EKDF16_S1_DF16_EEvlllT_PT11_llS4_llS2_PT12_llPT13_lli,"axG",@progbits,_ZN12_GLOBAL__N_135rocblas_gemm_batched_general_kernelIDF16_Li16ELi16ELi32ELi32ELi8ELi32ELi8ELi8ELi32ELc78ELc84EKDF16_S1_DF16_EEvlllT_PT11_llS4_llS2_PT12_llPT13_lli,comdat
.Lfunc_end22:
	.size	_ZN12_GLOBAL__N_135rocblas_gemm_batched_general_kernelIDF16_Li16ELi16ELi32ELi32ELi8ELi32ELi8ELi8ELi32ELc78ELc84EKDF16_S1_DF16_EEvlllT_PT11_llS4_llS2_PT12_llPT13_lli, .Lfunc_end22-_ZN12_GLOBAL__N_135rocblas_gemm_batched_general_kernelIDF16_Li16ELi16ELi32ELi32ELi8ELi32ELi8ELi8ELi32ELc78ELc84EKDF16_S1_DF16_EEvlllT_PT11_llS4_llS2_PT12_llPT13_lli
                                        ; -- End function
	.section	.AMDGPU.csdata,"",@progbits
; Kernel info:
; codeLenInByte = 2116
; NumSgprs: 42
; NumVgprs: 42
; NumAgprs: 0
; TotalNumVgprs: 42
; ScratchSize: 0
; MemoryBound: 0
; FloatMode: 240
; IeeeMode: 1
; LDSByteSize: 1024 bytes/workgroup (compile time only)
; SGPRBlocks: 5
; VGPRBlocks: 5
; NumSGPRsForWavesPerEU: 42
; NumVGPRsForWavesPerEU: 42
; AccumOffset: 44
; Occupancy: 8
; WaveLimiterHint : 0
; COMPUTE_PGM_RSRC2:SCRATCH_EN: 0
; COMPUTE_PGM_RSRC2:USER_SGPR: 6
; COMPUTE_PGM_RSRC2:TRAP_HANDLER: 0
; COMPUTE_PGM_RSRC2:TGID_X_EN: 1
; COMPUTE_PGM_RSRC2:TGID_Y_EN: 1
; COMPUTE_PGM_RSRC2:TGID_Z_EN: 1
; COMPUTE_PGM_RSRC2:TIDIG_COMP_CNT: 1
; COMPUTE_PGM_RSRC3_GFX90A:ACCUM_OFFSET: 10
; COMPUTE_PGM_RSRC3_GFX90A:TG_SPLIT: 0
	.section	.text._ZN12_GLOBAL__N_135rocblas_gemm_batched_general_kernelIDF16_Li16ELi16ELi32ELi32ELi8ELi32ELi8ELi8ELi32ELc84ELc84EKDF16_S1_DF16_EEvlllT_PT11_llS4_llS2_PT12_llPT13_lli,"axG",@progbits,_ZN12_GLOBAL__N_135rocblas_gemm_batched_general_kernelIDF16_Li16ELi16ELi32ELi32ELi8ELi32ELi8ELi8ELi32ELc84ELc84EKDF16_S1_DF16_EEvlllT_PT11_llS4_llS2_PT12_llPT13_lli,comdat
	.globl	_ZN12_GLOBAL__N_135rocblas_gemm_batched_general_kernelIDF16_Li16ELi16ELi32ELi32ELi8ELi32ELi8ELi8ELi32ELc84ELc84EKDF16_S1_DF16_EEvlllT_PT11_llS4_llS2_PT12_llPT13_lli ; -- Begin function _ZN12_GLOBAL__N_135rocblas_gemm_batched_general_kernelIDF16_Li16ELi16ELi32ELi32ELi8ELi32ELi8ELi8ELi32ELc84ELc84EKDF16_S1_DF16_EEvlllT_PT11_llS4_llS2_PT12_llPT13_lli
	.p2align	8
	.type	_ZN12_GLOBAL__N_135rocblas_gemm_batched_general_kernelIDF16_Li16ELi16ELi32ELi32ELi8ELi32ELi8ELi8ELi32ELc84ELc84EKDF16_S1_DF16_EEvlllT_PT11_llS4_llS2_PT12_llPT13_lli,@function
_ZN12_GLOBAL__N_135rocblas_gemm_batched_general_kernelIDF16_Li16ELi16ELi32ELi32ELi8ELi32ELi8ELi8ELi32ELc84ELc84EKDF16_S1_DF16_EEvlllT_PT11_llS4_llS2_PT12_llPT13_lli: ; @_ZN12_GLOBAL__N_135rocblas_gemm_batched_general_kernelIDF16_Li16ELi16ELi32ELi32ELi8ELi32ELi8ELi8ELi32ELc84ELc84EKDF16_S1_DF16_EEvlllT_PT11_llS4_llS2_PT12_llPT13_lli
; %bb.0:
	s_load_dwordx4 s[20:23], s[4:5], 0x0
	s_load_dwordx2 s[28:29], s[4:5], 0x10
	s_mov_b32 s30, s7
	s_ashr_i32 s7, s6, 31
	s_ashr_i32 s31, s30, 31
	v_and_b32_e32 v10, 0x3ff, v0
	s_waitcnt lgkmcnt(0)
	v_cmp_lt_i64_e64 s[0:1], s[28:29], 1
	v_bfe_u32 v1, v0, 10, 10
	s_lshl_b64 s[6:7], s[6:7], 5
	s_lshl_b64 s[10:11], s[30:31], 5
	s_and_b64 vcc, exec, s[0:1]
	v_mov_b32_e32 v12, 0
	v_mov_b32_e32 v11, 0
	s_cbranch_vccnz .LBB23_7
; %bb.1:
	v_lshlrev_b32_e32 v8, 4, v1
	v_add_u32_e32 v3, v8, v10
	s_load_dwordx8 s[12:19], s[4:5], 0x20
	s_load_dwordx4 s[24:27], s[4:5], 0x40
	v_lshrrev_b32_e32 v9, 3, v3
	v_mov_b32_e32 v5, s11
	v_add_co_u32_e32 v4, vcc, s10, v9
	v_and_b32_e32 v2, 7, v10
	v_addc_co_u32_e32 v5, vcc, 0, v5, vcc
	v_cmp_gt_i64_e64 s[2:3], s[22:23], v[4:5]
	v_lshlrev_b32_e32 v4, 1, v2
	v_and_b32_e32 v12, 31, v3
	v_lshl_or_b32 v4, v9, 4, v4
	v_mov_b32_e32 v7, s7
	v_or_b32_e32 v6, s6, v12
	v_add_u32_e32 v13, 0x200, v4
	s_waitcnt lgkmcnt(0)
	s_mul_i32 s9, s27, s8
	s_mul_hi_u32 s27, s26, s8
	v_mad_u64_u32 v[4:5], s[34:35], s24, v2, 0
	v_cmp_gt_i64_e64 s[0:1], s[20:21], v[6:7]
	s_add_i32 s27, s27, s9
	s_mul_i32 s26, s26, s8
	v_mov_b32_e32 v6, v5
	s_lshl_b64 s[26:27], s[26:27], 1
	v_mad_u64_u32 v[6:7], s[34:35], s25, v2, v[6:7]
	s_lshl_b64 s[30:31], s[30:31], 6
	v_mov_b32_e32 v5, v6
	s_add_u32 s9, s30, s26
	v_lshlrev_b64 v[4:5], 1, v[4:5]
	s_addc_u32 s26, s31, s27
	v_mov_b32_e32 v6, s26
	v_add_co_u32_e32 v4, vcc, s9, v4
	v_addc_co_u32_e32 v5, vcc, v6, v5, vcc
	v_lshlrev_b32_e32 v6, 1, v9
	v_add_co_u32_e32 v4, vcc, v4, v6
	v_addc_co_u32_e32 v5, vcc, 0, v5, vcc
	v_mov_b32_e32 v6, s19
	v_add_co_u32_e32 v4, vcc, s18, v4
	v_addc_co_u32_e32 v5, vcc, v6, v5, vcc
	v_mov_b32_e32 v6, s7
	v_add_co_u32_e32 v7, vcc, s6, v12
	v_addc_co_u32_e32 v6, vcc, 0, v6, vcc
	v_add_u32_e32 v15, 0x200, v8
	v_mul_lo_u32 v8, s15, v7
	v_mul_lo_u32 v9, s14, v6
	v_mad_u64_u32 v[6:7], s[14:15], s14, v7, 0
	s_mul_i32 s9, s17, s8
	s_mul_hi_u32 s14, s16, s8
	v_add3_u32 v7, v7, v9, v8
	s_add_i32 s15, s14, s9
	s_mul_i32 s14, s16, s8
	v_lshlrev_b64 v[6:7], 1, v[6:7]
	s_lshl_b64 s[14:15], s[14:15], 1
	v_lshrrev_b32_e32 v0, 5, v3
	v_mov_b32_e32 v8, s15
	v_add_co_u32_e32 v6, vcc, s14, v6
	v_addc_co_u32_e32 v7, vcc, v7, v8, vcc
	v_lshlrev_b32_e32 v8, 1, v0
	v_add_co_u32_e32 v6, vcc, v6, v8
	v_addc_co_u32_e32 v7, vcc, 0, v7, vcc
	v_lshlrev_b32_e32 v3, 1, v12
	s_lshl_b64 s[18:19], s[24:25], 4
	v_mov_b32_e32 v8, s13
	v_add_co_u32_e32 v6, vcc, s12, v6
	v_mov_b32_e32 v11, 0
	v_lshl_or_b32 v3, v0, 6, v3
	v_lshlrev_b32_e32 v14, 1, v10
	v_addc_co_u32_e32 v7, vcc, v8, v7, vcc
	s_mov_b64 s[12:13], 0
	v_mov_b32_e32 v16, s19
	v_pk_mov_b32 v[8:9], s[28:29], s[28:29] op_sel:[0,1]
	v_mov_b32_e32 v12, 0
	s_branch .LBB23_3
.LBB23_2:                               ;   in Loop: Header=BB23_3 Depth=1
	s_or_b64 exec, exec, s[14:15]
	s_waitcnt vmcnt(0)
	ds_write_b16 v13, v17
	s_waitcnt lgkmcnt(0)
	s_barrier
	ds_read_b128 v[18:21], v15
	ds_read_b128 v[22:25], v15 offset:256
	ds_read_u16 v29, v14
	ds_read_u16 v30, v14 offset:32
	ds_read_u16 v31, v14 offset:64
	;; [unrolled: 1-line block ×7, first 2 shown]
	v_add_co_u32_e32 v4, vcc, s18, v4
	s_waitcnt lgkmcnt(7)
	v_fma_f16 v37, v29, v18, v11
	v_lshrrev_b32_e32 v11, 16, v11
	v_lshrrev_b32_e32 v17, 16, v18
	s_waitcnt lgkmcnt(6)
	v_fma_f16 v11, v30, v18, v11
	v_fma_f16 v29, v29, v22, v12
	v_lshrrev_b32_e32 v12, 16, v12
	v_lshrrev_b32_e32 v18, 16, v22
	v_fma_f16 v12, v30, v22, v12
	s_waitcnt lgkmcnt(5)
	v_fma_f16 v22, v31, v17, v37
	s_waitcnt lgkmcnt(4)
	v_fma_f16 v11, v32, v17, v11
	v_lshrrev_b32_e32 v26, 16, v19
	v_fma_f16 v17, v31, v18, v29
	v_fma_f16 v12, v32, v18, v12
	s_waitcnt lgkmcnt(3)
	v_fma_f16 v18, v33, v19, v22
	s_waitcnt lgkmcnt(2)
	v_fma_f16 v11, v34, v19, v11
	v_lshrrev_b32_e32 v38, 16, v23
	v_fma_f16 v17, v33, v23, v17
	v_fma_f16 v12, v34, v23, v12
	s_waitcnt lgkmcnt(1)
	v_fma_f16 v18, v35, v26, v18
	s_waitcnt lgkmcnt(0)
	v_fma_f16 v11, v36, v26, v11
	ds_read_u16 v19, v14 offset:256
	ds_read_u16 v22, v14 offset:288
	;; [unrolled: 1-line block ×8, first 2 shown]
	v_fma_f16 v17, v35, v38, v17
	v_fma_f16 v12, v36, v38, v12
	v_lshrrev_b32_e32 v27, 16, v20
	v_lshrrev_b32_e32 v39, 16, v24
	s_waitcnt lgkmcnt(7)
	v_fma_f16 v18, v19, v20, v18
	s_waitcnt lgkmcnt(6)
	v_fma_f16 v11, v22, v20, v11
	v_fma_f16 v17, v19, v24, v17
	;; [unrolled: 1-line block ×3, first 2 shown]
	v_addc_co_u32_e32 v5, vcc, v5, v16, vcc
	s_waitcnt lgkmcnt(5)
	v_fma_f16 v18, v23, v27, v18
	s_waitcnt lgkmcnt(4)
	v_fma_f16 v11, v26, v27, v11
	v_fma_f16 v17, v23, v39, v17
	;; [unrolled: 1-line block ×3, first 2 shown]
	s_add_u32 s12, s12, 8
	v_add_co_u32_e32 v6, vcc, 16, v6
	v_lshrrev_b32_e32 v28, 16, v21
	v_lshrrev_b32_e32 v40, 16, v25
	s_waitcnt lgkmcnt(3)
	v_fma_f16 v18, v29, v21, v18
	s_waitcnt lgkmcnt(2)
	v_fma_f16 v11, v30, v21, v11
	v_fma_f16 v17, v29, v25, v17
	;; [unrolled: 1-line block ×3, first 2 shown]
	s_addc_u32 s13, s13, 0
	v_addc_co_u32_e32 v7, vcc, 0, v7, vcc
	s_waitcnt lgkmcnt(1)
	v_fma_f16 v18, v31, v28, v18
	s_waitcnt lgkmcnt(0)
	v_fma_f16 v11, v32, v28, v11
	v_fma_f16 v17, v31, v40, v17
	;; [unrolled: 1-line block ×3, first 2 shown]
	v_cmp_lt_i64_e32 vcc, s[12:13], v[8:9]
	v_pack_b32_f16 v11, v18, v11
	v_pack_b32_f16 v12, v17, v12
	s_barrier
	s_cbranch_vccz .LBB23_7
.LBB23_3:                               ; =>This Inner Loop Header: Depth=1
	v_mov_b32_e32 v17, s13
	v_add_co_u32_e32 v18, vcc, s12, v0
	v_addc_co_u32_e32 v19, vcc, 0, v17, vcc
	v_cmp_gt_i64_e32 vcc, s[28:29], v[18:19]
	s_and_b64 s[16:17], s[0:1], vcc
	v_mov_b32_e32 v17, 0
	s_and_saveexec_b64 s[14:15], s[16:17]
	s_cbranch_execz .LBB23_5
; %bb.4:                                ;   in Loop: Header=BB23_3 Depth=1
	global_load_ushort v17, v[6:7], off
.LBB23_5:                               ;   in Loop: Header=BB23_3 Depth=1
	s_or_b64 exec, exec, s[14:15]
	s_waitcnt vmcnt(0)
	ds_write_b16 v3, v17
	v_mov_b32_e32 v17, s13
	v_add_co_u32_e32 v18, vcc, s12, v2
	v_addc_co_u32_e32 v19, vcc, 0, v17, vcc
	v_cmp_gt_i64_e32 vcc, s[28:29], v[18:19]
	s_and_b64 s[16:17], vcc, s[2:3]
	v_mov_b32_e32 v17, 0
	s_and_saveexec_b64 s[14:15], s[16:17]
	s_cbranch_execz .LBB23_2
; %bb.6:                                ;   in Loop: Header=BB23_3 Depth=1
	global_load_ushort v17, v[4:5], off
	s_branch .LBB23_2
.LBB23_7:
	s_load_dwordx4 s[24:27], s[4:5], 0x78
	s_load_dword s9, s[4:5], 0x18
	s_load_dword s28, s[4:5], 0x50
	s_load_dwordx8 s[12:19], s[4:5], 0x58
	v_mov_b32_e32 v2, s11
	s_waitcnt lgkmcnt(0)
	s_mul_i32 s0, s8, s27
	s_mul_hi_u32 s1, s8, s26
	s_add_i32 s1, s1, s0
	s_mul_i32 s0, s8, s26
	s_lshl_b64 s[0:1], s[0:1], 1
	v_add_co_u32_e32 v0, vcc, s10, v1
	s_add_u32 s26, s18, s0
	v_addc_co_u32_e32 v1, vcc, 0, v2, vcc
	v_cmp_neq_f16_e64 s[2:3], s28, 0
	s_addc_u32 s27, s19, s1
	v_cmp_gt_i64_e64 s[0:1], s[22:23], v[0:1]
	s_and_b64 vcc, exec, s[2:3]
	s_cbranch_vccnz .LBB23_20
; %bb.8:
	s_and_saveexec_b64 s[10:11], s[0:1]
	s_cbranch_execz .LBB23_18
; %bb.9:
	v_mov_b32_e32 v2, s7
	v_add_co_u32_e32 v4, vcc, s6, v10
	v_addc_co_u32_e32 v5, vcc, 0, v2, vcc
	v_mul_lo_u32 v6, v1, s24
	v_mul_lo_u32 v7, v0, s25
	v_mad_u64_u32 v[2:3], s[2:3], v0, s24, 0
	v_add3_u32 v3, v3, v7, v6
	v_lshlrev_b64 v[2:3], 1, v[2:3]
	v_mov_b32_e32 v7, s27
	v_add_co_u32_e64 v6, s[2:3], s26, v2
	v_cmp_gt_i64_e32 vcc, s[20:21], v[4:5]
	v_addc_co_u32_e64 v7, s[2:3], v7, v3, s[2:3]
	v_lshlrev_b64 v[2:3], 1, v[4:5]
	s_and_saveexec_b64 s[4:5], vcc
	s_cbranch_execz .LBB23_11
; %bb.10:
	v_add_co_u32_e64 v8, s[2:3], v6, v2
	v_addc_co_u32_e64 v9, s[2:3], v7, v3, s[2:3]
	v_mul_f16_e32 v13, s9, v11
	global_store_short v[8:9], v13, off
.LBB23_11:
	s_or_b64 exec, exec, s[4:5]
	v_add_co_u32_e64 v4, s[2:3], 16, v4
	v_addc_co_u32_e64 v5, s[2:3], 0, v5, s[2:3]
	v_cmp_gt_i64_e64 s[2:3], s[20:21], v[4:5]
	s_and_saveexec_b64 s[18:19], s[2:3]
	s_cbranch_execz .LBB23_13
; %bb.12:
	v_add_co_u32_e64 v4, s[4:5], v6, v2
	v_addc_co_u32_e64 v5, s[4:5], v7, v3, s[4:5]
	v_mul_f16_sdwa v8, v11, s9 dst_sel:DWORD dst_unused:UNUSED_PAD src0_sel:WORD_1 src1_sel:DWORD
	global_store_short v[4:5], v8, off offset:32
.LBB23_13:
	s_or_b64 exec, exec, s[18:19]
	v_add_co_u32_e64 v4, s[4:5], 16, v0
	v_addc_co_u32_e64 v5, s[4:5], 0, v1, s[4:5]
	v_cmp_gt_i64_e64 s[4:5], s[22:23], v[4:5]
	s_and_b64 exec, exec, s[4:5]
	s_cbranch_execz .LBB23_18
; %bb.14:
	s_lshl_b64 s[4:5], s[24:25], 5
	v_mov_b32_e32 v4, s5
	v_add_co_u32_e64 v5, s[4:5], s4, v6
	v_addc_co_u32_e64 v4, s[4:5], v7, v4, s[4:5]
	v_add_co_u32_e64 v2, s[4:5], v5, v2
	v_addc_co_u32_e64 v3, s[4:5], v4, v3, s[4:5]
	s_and_saveexec_b64 s[4:5], vcc
	s_cbranch_execz .LBB23_16
; %bb.15:
	v_mul_f16_e32 v4, s9, v12
	global_store_short v[2:3], v4, off
.LBB23_16:
	s_or_b64 exec, exec, s[4:5]
	s_and_b64 exec, exec, s[2:3]
	s_cbranch_execz .LBB23_18
; %bb.17:
	v_mul_f16_sdwa v4, v12, s9 dst_sel:DWORD dst_unused:UNUSED_PAD src0_sel:WORD_1 src1_sel:DWORD
	global_store_short v[2:3], v4, off offset:32
.LBB23_18:
	s_or_b64 exec, exec, s[10:11]
	s_cbranch_execz .LBB23_21
.LBB23_19:
	s_endpgm
.LBB23_20:
.LBB23_21:
	s_and_saveexec_b64 s[2:3], s[0:1]
	s_cbranch_execz .LBB23_19
; %bb.22:
	s_mul_i32 s0, s8, s17
	s_mul_hi_u32 s1, s8, s16
	s_add_i32 s1, s1, s0
	s_mul_i32 s0, s8, s16
	s_lshl_b64 s[0:1], s[0:1], 1
	s_add_u32 s2, s12, s0
	v_mov_b32_e32 v2, s7
	v_add_co_u32_e32 v4, vcc, s6, v10
	s_addc_u32 s3, s13, s1
	v_addc_co_u32_e32 v5, vcc, 0, v2, vcc
	v_mul_lo_u32 v6, v1, s14
	v_mul_lo_u32 v7, v0, s15
	v_mad_u64_u32 v[2:3], s[0:1], v0, s14, 0
	v_add3_u32 v3, v3, v7, v6
	v_mul_lo_u32 v6, v1, s24
	v_mul_lo_u32 v7, v0, s25
	v_mad_u64_u32 v[8:9], s[0:1], v0, s24, 0
	v_lshlrev_b64 v[2:3], 1, v[2:3]
	v_add3_u32 v9, v9, v7, v6
	v_mov_b32_e32 v7, s3
	v_add_co_u32_e64 v6, s[0:1], s2, v2
	v_addc_co_u32_e64 v7, s[0:1], v7, v3, s[0:1]
	v_lshlrev_b64 v[2:3], 1, v[8:9]
	v_mov_b32_e32 v9, s27
	v_add_co_u32_e64 v8, s[0:1], s26, v2
	v_cmp_gt_i64_e32 vcc, s[20:21], v[4:5]
	v_addc_co_u32_e64 v9, s[0:1], v9, v3, s[0:1]
	v_lshlrev_b64 v[2:3], 1, v[4:5]
	s_and_saveexec_b64 s[2:3], vcc
	s_cbranch_execz .LBB23_24
; %bb.23:
	v_add_co_u32_e64 v14, s[0:1], v6, v2
	v_addc_co_u32_e64 v15, s[0:1], v7, v3, s[0:1]
	global_load_ushort v10, v[14:15], off
	v_add_co_u32_e64 v14, s[0:1], v8, v2
	v_addc_co_u32_e64 v15, s[0:1], v9, v3, s[0:1]
	s_waitcnt vmcnt(0)
	v_mul_f16_e32 v10, s28, v10
	v_fma_f16 v10, v11, s9, v10
	global_store_short v[14:15], v10, off
.LBB23_24:
	s_or_b64 exec, exec, s[2:3]
	v_add_co_u32_e64 v4, s[0:1], 16, v4
	v_addc_co_u32_e64 v5, s[0:1], 0, v5, s[0:1]
	v_cmp_gt_i64_e64 s[0:1], s[20:21], v[4:5]
	s_and_saveexec_b64 s[4:5], s[0:1]
	s_cbranch_execz .LBB23_26
; %bb.25:
	v_add_co_u32_e64 v4, s[2:3], v6, v2
	v_addc_co_u32_e64 v5, s[2:3], v7, v3, s[2:3]
	global_load_ushort v4, v[4:5], off offset:32
	v_lshrrev_b32_e32 v5, 16, v11
	s_waitcnt vmcnt(0)
	v_mul_f16_e32 v4, s28, v4
	v_fma_f16 v10, v5, s9, v4
	v_add_co_u32_e64 v4, s[2:3], v8, v2
	v_addc_co_u32_e64 v5, s[2:3], v9, v3, s[2:3]
	global_store_short v[4:5], v10, off offset:32
.LBB23_26:
	s_or_b64 exec, exec, s[4:5]
	v_add_co_u32_e64 v0, s[2:3], 16, v0
	v_addc_co_u32_e64 v1, s[2:3], 0, v1, s[2:3]
	v_cmp_gt_i64_e64 s[2:3], s[22:23], v[0:1]
	s_and_b64 exec, exec, s[2:3]
	s_cbranch_execz .LBB23_19
; %bb.27:
	s_lshl_b64 s[2:3], s[14:15], 5
	v_mov_b32_e32 v0, s3
	v_add_co_u32_e64 v1, s[2:3], s2, v6
	v_addc_co_u32_e64 v4, s[2:3], v7, v0, s[2:3]
	s_lshl_b64 s[2:3], s[24:25], 5
	v_mov_b32_e32 v0, s3
	v_add_co_u32_e64 v5, s[2:3], s2, v8
	v_addc_co_u32_e64 v6, s[2:3], v9, v0, s[2:3]
	v_add_co_u32_e64 v0, s[2:3], v1, v2
	v_addc_co_u32_e64 v1, s[2:3], v4, v3, s[2:3]
	;; [unrolled: 2-line block ×3, first 2 shown]
	s_and_saveexec_b64 s[2:3], vcc
	s_cbranch_execz .LBB23_29
; %bb.28:
	global_load_ushort v4, v[0:1], off
	s_waitcnt vmcnt(0)
	v_mul_f16_e32 v4, s28, v4
	v_fma_f16 v4, v12, s9, v4
	global_store_short v[2:3], v4, off
.LBB23_29:
	s_or_b64 exec, exec, s[2:3]
	s_and_b64 exec, exec, s[0:1]
	s_cbranch_execz .LBB23_19
; %bb.30:
	global_load_ushort v0, v[0:1], off offset:32
	v_lshrrev_b32_e32 v1, 16, v12
	s_waitcnt vmcnt(0)
	v_mul_f16_e32 v0, s28, v0
	v_fma_f16 v0, v1, s9, v0
	global_store_short v[2:3], v0, off offset:32
	s_endpgm
	.section	.rodata,"a",@progbits
	.p2align	6, 0x0
	.amdhsa_kernel _ZN12_GLOBAL__N_135rocblas_gemm_batched_general_kernelIDF16_Li16ELi16ELi32ELi32ELi8ELi32ELi8ELi8ELi32ELc84ELc84EKDF16_S1_DF16_EEvlllT_PT11_llS4_llS2_PT12_llPT13_lli
		.amdhsa_group_segment_fixed_size 1024
		.amdhsa_private_segment_fixed_size 0
		.amdhsa_kernarg_size 140
		.amdhsa_user_sgpr_count 6
		.amdhsa_user_sgpr_private_segment_buffer 1
		.amdhsa_user_sgpr_dispatch_ptr 0
		.amdhsa_user_sgpr_queue_ptr 0
		.amdhsa_user_sgpr_kernarg_segment_ptr 1
		.amdhsa_user_sgpr_dispatch_id 0
		.amdhsa_user_sgpr_flat_scratch_init 0
		.amdhsa_user_sgpr_kernarg_preload_length 0
		.amdhsa_user_sgpr_kernarg_preload_offset 0
		.amdhsa_user_sgpr_private_segment_size 0
		.amdhsa_uses_dynamic_stack 0
		.amdhsa_system_sgpr_private_segment_wavefront_offset 0
		.amdhsa_system_sgpr_workgroup_id_x 1
		.amdhsa_system_sgpr_workgroup_id_y 1
		.amdhsa_system_sgpr_workgroup_id_z 1
		.amdhsa_system_sgpr_workgroup_info 0
		.amdhsa_system_vgpr_workitem_id 1
		.amdhsa_next_free_vgpr 41
		.amdhsa_next_free_sgpr 36
		.amdhsa_accum_offset 44
		.amdhsa_reserve_vcc 1
		.amdhsa_reserve_flat_scratch 0
		.amdhsa_float_round_mode_32 0
		.amdhsa_float_round_mode_16_64 0
		.amdhsa_float_denorm_mode_32 3
		.amdhsa_float_denorm_mode_16_64 3
		.amdhsa_dx10_clamp 1
		.amdhsa_ieee_mode 1
		.amdhsa_fp16_overflow 0
		.amdhsa_tg_split 0
		.amdhsa_exception_fp_ieee_invalid_op 0
		.amdhsa_exception_fp_denorm_src 0
		.amdhsa_exception_fp_ieee_div_zero 0
		.amdhsa_exception_fp_ieee_overflow 0
		.amdhsa_exception_fp_ieee_underflow 0
		.amdhsa_exception_fp_ieee_inexact 0
		.amdhsa_exception_int_div_zero 0
	.end_amdhsa_kernel
	.section	.text._ZN12_GLOBAL__N_135rocblas_gemm_batched_general_kernelIDF16_Li16ELi16ELi32ELi32ELi8ELi32ELi8ELi8ELi32ELc84ELc84EKDF16_S1_DF16_EEvlllT_PT11_llS4_llS2_PT12_llPT13_lli,"axG",@progbits,_ZN12_GLOBAL__N_135rocblas_gemm_batched_general_kernelIDF16_Li16ELi16ELi32ELi32ELi8ELi32ELi8ELi8ELi32ELc84ELc84EKDF16_S1_DF16_EEvlllT_PT11_llS4_llS2_PT12_llPT13_lli,comdat
.Lfunc_end23:
	.size	_ZN12_GLOBAL__N_135rocblas_gemm_batched_general_kernelIDF16_Li16ELi16ELi32ELi32ELi8ELi32ELi8ELi8ELi32ELc84ELc84EKDF16_S1_DF16_EEvlllT_PT11_llS4_llS2_PT12_llPT13_lli, .Lfunc_end23-_ZN12_GLOBAL__N_135rocblas_gemm_batched_general_kernelIDF16_Li16ELi16ELi32ELi32ELi8ELi32ELi8ELi8ELi32ELc84ELc84EKDF16_S1_DF16_EEvlllT_PT11_llS4_llS2_PT12_llPT13_lli
                                        ; -- End function
	.section	.AMDGPU.csdata,"",@progbits
; Kernel info:
; codeLenInByte = 2120
; NumSgprs: 40
; NumVgprs: 41
; NumAgprs: 0
; TotalNumVgprs: 41
; ScratchSize: 0
; MemoryBound: 0
; FloatMode: 240
; IeeeMode: 1
; LDSByteSize: 1024 bytes/workgroup (compile time only)
; SGPRBlocks: 4
; VGPRBlocks: 5
; NumSGPRsForWavesPerEU: 40
; NumVGPRsForWavesPerEU: 41
; AccumOffset: 44
; Occupancy: 8
; WaveLimiterHint : 0
; COMPUTE_PGM_RSRC2:SCRATCH_EN: 0
; COMPUTE_PGM_RSRC2:USER_SGPR: 6
; COMPUTE_PGM_RSRC2:TRAP_HANDLER: 0
; COMPUTE_PGM_RSRC2:TGID_X_EN: 1
; COMPUTE_PGM_RSRC2:TGID_Y_EN: 1
; COMPUTE_PGM_RSRC2:TGID_Z_EN: 1
; COMPUTE_PGM_RSRC2:TIDIG_COMP_CNT: 1
; COMPUTE_PGM_RSRC3_GFX90A:ACCUM_OFFSET: 10
; COMPUTE_PGM_RSRC3_GFX90A:TG_SPLIT: 0
	.section	.text._ZN12_GLOBAL__N_135rocblas_gemm_batched_general_kernelIDF16_Li16ELi16ELi32ELi32ELi8ELi32ELi8ELi8ELi32ELc67ELc67EKDF16_S1_DF16_EEvlllT_PT11_llS4_llS2_PT12_llPT13_lli,"axG",@progbits,_ZN12_GLOBAL__N_135rocblas_gemm_batched_general_kernelIDF16_Li16ELi16ELi32ELi32ELi8ELi32ELi8ELi8ELi32ELc67ELc67EKDF16_S1_DF16_EEvlllT_PT11_llS4_llS2_PT12_llPT13_lli,comdat
	.globl	_ZN12_GLOBAL__N_135rocblas_gemm_batched_general_kernelIDF16_Li16ELi16ELi32ELi32ELi8ELi32ELi8ELi8ELi32ELc67ELc67EKDF16_S1_DF16_EEvlllT_PT11_llS4_llS2_PT12_llPT13_lli ; -- Begin function _ZN12_GLOBAL__N_135rocblas_gemm_batched_general_kernelIDF16_Li16ELi16ELi32ELi32ELi8ELi32ELi8ELi8ELi32ELc67ELc67EKDF16_S1_DF16_EEvlllT_PT11_llS4_llS2_PT12_llPT13_lli
	.p2align	8
	.type	_ZN12_GLOBAL__N_135rocblas_gemm_batched_general_kernelIDF16_Li16ELi16ELi32ELi32ELi8ELi32ELi8ELi8ELi32ELc67ELc67EKDF16_S1_DF16_EEvlllT_PT11_llS4_llS2_PT12_llPT13_lli,@function
_ZN12_GLOBAL__N_135rocblas_gemm_batched_general_kernelIDF16_Li16ELi16ELi32ELi32ELi8ELi32ELi8ELi8ELi32ELc67ELc67EKDF16_S1_DF16_EEvlllT_PT11_llS4_llS2_PT12_llPT13_lli: ; @_ZN12_GLOBAL__N_135rocblas_gemm_batched_general_kernelIDF16_Li16ELi16ELi32ELi32ELi8ELi32ELi8ELi8ELi32ELc67ELc67EKDF16_S1_DF16_EEvlllT_PT11_llS4_llS2_PT12_llPT13_lli
; %bb.0:
	s_load_dwordx4 s[20:23], s[4:5], 0x0
	s_load_dwordx2 s[28:29], s[4:5], 0x10
	s_mov_b32 s30, s7
	s_ashr_i32 s7, s6, 31
	s_ashr_i32 s31, s30, 31
	v_and_b32_e32 v10, 0x3ff, v0
	s_waitcnt lgkmcnt(0)
	v_cmp_lt_i64_e64 s[0:1], s[28:29], 1
	v_bfe_u32 v1, v0, 10, 10
	s_lshl_b64 s[6:7], s[6:7], 5
	s_lshl_b64 s[10:11], s[30:31], 5
	s_and_b64 vcc, exec, s[0:1]
	v_mov_b32_e32 v12, 0
	v_mov_b32_e32 v11, 0
	s_cbranch_vccnz .LBB24_7
; %bb.1:
	v_lshlrev_b32_e32 v8, 4, v1
	v_add_u32_e32 v3, v8, v10
	s_load_dwordx8 s[12:19], s[4:5], 0x20
	s_load_dwordx4 s[24:27], s[4:5], 0x40
	v_lshrrev_b32_e32 v9, 3, v3
	v_mov_b32_e32 v5, s11
	v_add_co_u32_e32 v4, vcc, s10, v9
	v_and_b32_e32 v2, 7, v10
	v_addc_co_u32_e32 v5, vcc, 0, v5, vcc
	v_cmp_gt_i64_e64 s[2:3], s[22:23], v[4:5]
	v_lshlrev_b32_e32 v4, 1, v2
	v_and_b32_e32 v12, 31, v3
	v_lshl_or_b32 v4, v9, 4, v4
	v_mov_b32_e32 v7, s7
	v_or_b32_e32 v6, s6, v12
	v_add_u32_e32 v13, 0x200, v4
	s_waitcnt lgkmcnt(0)
	s_mul_i32 s9, s27, s8
	s_mul_hi_u32 s27, s26, s8
	v_mad_u64_u32 v[4:5], s[34:35], s24, v2, 0
	v_cmp_gt_i64_e64 s[0:1], s[20:21], v[6:7]
	s_add_i32 s27, s27, s9
	s_mul_i32 s26, s26, s8
	v_mov_b32_e32 v6, v5
	s_lshl_b64 s[26:27], s[26:27], 1
	v_mad_u64_u32 v[6:7], s[34:35], s25, v2, v[6:7]
	s_lshl_b64 s[30:31], s[30:31], 6
	v_mov_b32_e32 v5, v6
	s_add_u32 s9, s30, s26
	v_lshlrev_b64 v[4:5], 1, v[4:5]
	s_addc_u32 s26, s31, s27
	v_mov_b32_e32 v6, s26
	v_add_co_u32_e32 v4, vcc, s9, v4
	v_addc_co_u32_e32 v5, vcc, v6, v5, vcc
	v_lshlrev_b32_e32 v6, 1, v9
	v_add_co_u32_e32 v4, vcc, v4, v6
	v_addc_co_u32_e32 v5, vcc, 0, v5, vcc
	v_mov_b32_e32 v6, s19
	v_add_co_u32_e32 v4, vcc, s18, v4
	v_addc_co_u32_e32 v5, vcc, v6, v5, vcc
	v_mov_b32_e32 v6, s7
	v_add_co_u32_e32 v7, vcc, s6, v12
	v_addc_co_u32_e32 v6, vcc, 0, v6, vcc
	v_add_u32_e32 v15, 0x200, v8
	v_mul_lo_u32 v8, s15, v7
	v_mul_lo_u32 v9, s14, v6
	v_mad_u64_u32 v[6:7], s[14:15], s14, v7, 0
	s_mul_i32 s9, s17, s8
	s_mul_hi_u32 s14, s16, s8
	v_add3_u32 v7, v7, v9, v8
	s_add_i32 s15, s14, s9
	s_mul_i32 s14, s16, s8
	v_lshlrev_b64 v[6:7], 1, v[6:7]
	s_lshl_b64 s[14:15], s[14:15], 1
	v_lshrrev_b32_e32 v0, 5, v3
	v_mov_b32_e32 v8, s15
	v_add_co_u32_e32 v6, vcc, s14, v6
	v_addc_co_u32_e32 v7, vcc, v7, v8, vcc
	v_lshlrev_b32_e32 v8, 1, v0
	v_add_co_u32_e32 v6, vcc, v6, v8
	v_addc_co_u32_e32 v7, vcc, 0, v7, vcc
	v_lshlrev_b32_e32 v3, 1, v12
	s_lshl_b64 s[18:19], s[24:25], 4
	v_mov_b32_e32 v8, s13
	v_add_co_u32_e32 v6, vcc, s12, v6
	v_mov_b32_e32 v11, 0
	v_lshl_or_b32 v3, v0, 6, v3
	v_lshlrev_b32_e32 v14, 1, v10
	v_addc_co_u32_e32 v7, vcc, v8, v7, vcc
	s_mov_b64 s[12:13], 0
	v_mov_b32_e32 v16, s19
	v_pk_mov_b32 v[8:9], s[28:29], s[28:29] op_sel:[0,1]
	v_mov_b32_e32 v12, 0
	s_branch .LBB24_3
.LBB24_2:                               ;   in Loop: Header=BB24_3 Depth=1
	s_or_b64 exec, exec, s[14:15]
	s_waitcnt vmcnt(0)
	ds_write_b16 v13, v17
	s_waitcnt lgkmcnt(0)
	s_barrier
	ds_read_b128 v[18:21], v15
	ds_read_b128 v[22:25], v15 offset:256
	ds_read_u16 v29, v14
	ds_read_u16 v30, v14 offset:32
	ds_read_u16 v31, v14 offset:64
	;; [unrolled: 1-line block ×7, first 2 shown]
	v_add_co_u32_e32 v4, vcc, s18, v4
	s_waitcnt lgkmcnt(7)
	v_fma_f16 v37, v29, v18, v11
	v_lshrrev_b32_e32 v11, 16, v11
	v_lshrrev_b32_e32 v17, 16, v18
	s_waitcnt lgkmcnt(6)
	v_fma_f16 v11, v30, v18, v11
	v_fma_f16 v29, v29, v22, v12
	v_lshrrev_b32_e32 v12, 16, v12
	v_lshrrev_b32_e32 v18, 16, v22
	v_fma_f16 v12, v30, v22, v12
	s_waitcnt lgkmcnt(5)
	v_fma_f16 v22, v31, v17, v37
	s_waitcnt lgkmcnt(4)
	v_fma_f16 v11, v32, v17, v11
	v_lshrrev_b32_e32 v26, 16, v19
	v_fma_f16 v17, v31, v18, v29
	v_fma_f16 v12, v32, v18, v12
	s_waitcnt lgkmcnt(3)
	v_fma_f16 v18, v33, v19, v22
	s_waitcnt lgkmcnt(2)
	v_fma_f16 v11, v34, v19, v11
	v_lshrrev_b32_e32 v38, 16, v23
	v_fma_f16 v17, v33, v23, v17
	v_fma_f16 v12, v34, v23, v12
	s_waitcnt lgkmcnt(1)
	v_fma_f16 v18, v35, v26, v18
	s_waitcnt lgkmcnt(0)
	v_fma_f16 v11, v36, v26, v11
	ds_read_u16 v19, v14 offset:256
	ds_read_u16 v22, v14 offset:288
	ds_read_u16 v23, v14 offset:320
	ds_read_u16 v26, v14 offset:352
	ds_read_u16 v29, v14 offset:384
	ds_read_u16 v30, v14 offset:416
	ds_read_u16 v31, v14 offset:448
	ds_read_u16 v32, v14 offset:480
	v_fma_f16 v17, v35, v38, v17
	v_fma_f16 v12, v36, v38, v12
	v_lshrrev_b32_e32 v27, 16, v20
	v_lshrrev_b32_e32 v39, 16, v24
	s_waitcnt lgkmcnt(7)
	v_fma_f16 v18, v19, v20, v18
	s_waitcnt lgkmcnt(6)
	v_fma_f16 v11, v22, v20, v11
	v_fma_f16 v17, v19, v24, v17
	;; [unrolled: 1-line block ×3, first 2 shown]
	v_addc_co_u32_e32 v5, vcc, v5, v16, vcc
	s_waitcnt lgkmcnt(5)
	v_fma_f16 v18, v23, v27, v18
	s_waitcnt lgkmcnt(4)
	v_fma_f16 v11, v26, v27, v11
	v_fma_f16 v17, v23, v39, v17
	;; [unrolled: 1-line block ×3, first 2 shown]
	s_add_u32 s12, s12, 8
	v_add_co_u32_e32 v6, vcc, 16, v6
	v_lshrrev_b32_e32 v28, 16, v21
	v_lshrrev_b32_e32 v40, 16, v25
	s_waitcnt lgkmcnt(3)
	v_fma_f16 v18, v29, v21, v18
	s_waitcnt lgkmcnt(2)
	v_fma_f16 v11, v30, v21, v11
	v_fma_f16 v17, v29, v25, v17
	;; [unrolled: 1-line block ×3, first 2 shown]
	s_addc_u32 s13, s13, 0
	v_addc_co_u32_e32 v7, vcc, 0, v7, vcc
	s_waitcnt lgkmcnt(1)
	v_fma_f16 v18, v31, v28, v18
	s_waitcnt lgkmcnt(0)
	v_fma_f16 v11, v32, v28, v11
	v_fma_f16 v17, v31, v40, v17
	;; [unrolled: 1-line block ×3, first 2 shown]
	v_cmp_lt_i64_e32 vcc, s[12:13], v[8:9]
	v_pack_b32_f16 v11, v18, v11
	v_pack_b32_f16 v12, v17, v12
	s_barrier
	s_cbranch_vccz .LBB24_7
.LBB24_3:                               ; =>This Inner Loop Header: Depth=1
	v_mov_b32_e32 v17, s13
	v_add_co_u32_e32 v18, vcc, s12, v0
	v_addc_co_u32_e32 v19, vcc, 0, v17, vcc
	v_cmp_gt_i64_e32 vcc, s[28:29], v[18:19]
	s_and_b64 s[16:17], s[0:1], vcc
	v_mov_b32_e32 v17, 0
	s_and_saveexec_b64 s[14:15], s[16:17]
	s_cbranch_execz .LBB24_5
; %bb.4:                                ;   in Loop: Header=BB24_3 Depth=1
	global_load_ushort v17, v[6:7], off
.LBB24_5:                               ;   in Loop: Header=BB24_3 Depth=1
	s_or_b64 exec, exec, s[14:15]
	s_waitcnt vmcnt(0)
	ds_write_b16 v3, v17
	v_mov_b32_e32 v17, s13
	v_add_co_u32_e32 v18, vcc, s12, v2
	v_addc_co_u32_e32 v19, vcc, 0, v17, vcc
	v_cmp_gt_i64_e32 vcc, s[28:29], v[18:19]
	s_and_b64 s[16:17], vcc, s[2:3]
	v_mov_b32_e32 v17, 0
	s_and_saveexec_b64 s[14:15], s[16:17]
	s_cbranch_execz .LBB24_2
; %bb.6:                                ;   in Loop: Header=BB24_3 Depth=1
	global_load_ushort v17, v[4:5], off
	s_branch .LBB24_2
.LBB24_7:
	s_load_dwordx4 s[24:27], s[4:5], 0x78
	s_load_dword s9, s[4:5], 0x18
	s_load_dword s28, s[4:5], 0x50
	s_load_dwordx8 s[12:19], s[4:5], 0x58
	v_mov_b32_e32 v2, s11
	s_waitcnt lgkmcnt(0)
	s_mul_i32 s0, s8, s27
	s_mul_hi_u32 s1, s8, s26
	s_add_i32 s1, s1, s0
	s_mul_i32 s0, s8, s26
	s_lshl_b64 s[0:1], s[0:1], 1
	v_add_co_u32_e32 v0, vcc, s10, v1
	s_add_u32 s26, s18, s0
	v_addc_co_u32_e32 v1, vcc, 0, v2, vcc
	v_cmp_neq_f16_e64 s[2:3], s28, 0
	s_addc_u32 s27, s19, s1
	v_cmp_gt_i64_e64 s[0:1], s[22:23], v[0:1]
	s_and_b64 vcc, exec, s[2:3]
	s_cbranch_vccnz .LBB24_20
; %bb.8:
	s_and_saveexec_b64 s[10:11], s[0:1]
	s_cbranch_execz .LBB24_18
; %bb.9:
	v_mov_b32_e32 v2, s7
	v_add_co_u32_e32 v4, vcc, s6, v10
	v_addc_co_u32_e32 v5, vcc, 0, v2, vcc
	v_mul_lo_u32 v6, v1, s24
	v_mul_lo_u32 v7, v0, s25
	v_mad_u64_u32 v[2:3], s[2:3], v0, s24, 0
	v_add3_u32 v3, v3, v7, v6
	v_lshlrev_b64 v[2:3], 1, v[2:3]
	v_mov_b32_e32 v7, s27
	v_add_co_u32_e64 v6, s[2:3], s26, v2
	v_cmp_gt_i64_e32 vcc, s[20:21], v[4:5]
	v_addc_co_u32_e64 v7, s[2:3], v7, v3, s[2:3]
	v_lshlrev_b64 v[2:3], 1, v[4:5]
	s_and_saveexec_b64 s[4:5], vcc
	s_cbranch_execz .LBB24_11
; %bb.10:
	v_add_co_u32_e64 v8, s[2:3], v6, v2
	v_addc_co_u32_e64 v9, s[2:3], v7, v3, s[2:3]
	v_mul_f16_e32 v13, s9, v11
	global_store_short v[8:9], v13, off
.LBB24_11:
	s_or_b64 exec, exec, s[4:5]
	v_add_co_u32_e64 v4, s[2:3], 16, v4
	v_addc_co_u32_e64 v5, s[2:3], 0, v5, s[2:3]
	v_cmp_gt_i64_e64 s[2:3], s[20:21], v[4:5]
	s_and_saveexec_b64 s[18:19], s[2:3]
	s_cbranch_execz .LBB24_13
; %bb.12:
	v_add_co_u32_e64 v4, s[4:5], v6, v2
	v_addc_co_u32_e64 v5, s[4:5], v7, v3, s[4:5]
	v_mul_f16_sdwa v8, v11, s9 dst_sel:DWORD dst_unused:UNUSED_PAD src0_sel:WORD_1 src1_sel:DWORD
	global_store_short v[4:5], v8, off offset:32
.LBB24_13:
	s_or_b64 exec, exec, s[18:19]
	v_add_co_u32_e64 v4, s[4:5], 16, v0
	v_addc_co_u32_e64 v5, s[4:5], 0, v1, s[4:5]
	v_cmp_gt_i64_e64 s[4:5], s[22:23], v[4:5]
	s_and_b64 exec, exec, s[4:5]
	s_cbranch_execz .LBB24_18
; %bb.14:
	s_lshl_b64 s[4:5], s[24:25], 5
	v_mov_b32_e32 v4, s5
	v_add_co_u32_e64 v5, s[4:5], s4, v6
	v_addc_co_u32_e64 v4, s[4:5], v7, v4, s[4:5]
	v_add_co_u32_e64 v2, s[4:5], v5, v2
	v_addc_co_u32_e64 v3, s[4:5], v4, v3, s[4:5]
	s_and_saveexec_b64 s[4:5], vcc
	s_cbranch_execz .LBB24_16
; %bb.15:
	v_mul_f16_e32 v4, s9, v12
	global_store_short v[2:3], v4, off
.LBB24_16:
	s_or_b64 exec, exec, s[4:5]
	s_and_b64 exec, exec, s[2:3]
	s_cbranch_execz .LBB24_18
; %bb.17:
	v_mul_f16_sdwa v4, v12, s9 dst_sel:DWORD dst_unused:UNUSED_PAD src0_sel:WORD_1 src1_sel:DWORD
	global_store_short v[2:3], v4, off offset:32
.LBB24_18:
	s_or_b64 exec, exec, s[10:11]
	s_cbranch_execz .LBB24_21
.LBB24_19:
	s_endpgm
.LBB24_20:
.LBB24_21:
	s_and_saveexec_b64 s[2:3], s[0:1]
	s_cbranch_execz .LBB24_19
; %bb.22:
	s_mul_i32 s0, s8, s17
	s_mul_hi_u32 s1, s8, s16
	s_add_i32 s1, s1, s0
	s_mul_i32 s0, s8, s16
	s_lshl_b64 s[0:1], s[0:1], 1
	s_add_u32 s2, s12, s0
	v_mov_b32_e32 v2, s7
	v_add_co_u32_e32 v4, vcc, s6, v10
	s_addc_u32 s3, s13, s1
	v_addc_co_u32_e32 v5, vcc, 0, v2, vcc
	v_mul_lo_u32 v6, v1, s14
	v_mul_lo_u32 v7, v0, s15
	v_mad_u64_u32 v[2:3], s[0:1], v0, s14, 0
	v_add3_u32 v3, v3, v7, v6
	v_mul_lo_u32 v6, v1, s24
	v_mul_lo_u32 v7, v0, s25
	v_mad_u64_u32 v[8:9], s[0:1], v0, s24, 0
	v_lshlrev_b64 v[2:3], 1, v[2:3]
	v_add3_u32 v9, v9, v7, v6
	v_mov_b32_e32 v7, s3
	v_add_co_u32_e64 v6, s[0:1], s2, v2
	v_addc_co_u32_e64 v7, s[0:1], v7, v3, s[0:1]
	v_lshlrev_b64 v[2:3], 1, v[8:9]
	v_mov_b32_e32 v9, s27
	v_add_co_u32_e64 v8, s[0:1], s26, v2
	v_cmp_gt_i64_e32 vcc, s[20:21], v[4:5]
	v_addc_co_u32_e64 v9, s[0:1], v9, v3, s[0:1]
	v_lshlrev_b64 v[2:3], 1, v[4:5]
	s_and_saveexec_b64 s[2:3], vcc
	s_cbranch_execz .LBB24_24
; %bb.23:
	v_add_co_u32_e64 v14, s[0:1], v6, v2
	v_addc_co_u32_e64 v15, s[0:1], v7, v3, s[0:1]
	global_load_ushort v10, v[14:15], off
	v_add_co_u32_e64 v14, s[0:1], v8, v2
	v_addc_co_u32_e64 v15, s[0:1], v9, v3, s[0:1]
	s_waitcnt vmcnt(0)
	v_mul_f16_e32 v10, s28, v10
	v_fma_f16 v10, v11, s9, v10
	global_store_short v[14:15], v10, off
.LBB24_24:
	s_or_b64 exec, exec, s[2:3]
	v_add_co_u32_e64 v4, s[0:1], 16, v4
	v_addc_co_u32_e64 v5, s[0:1], 0, v5, s[0:1]
	v_cmp_gt_i64_e64 s[0:1], s[20:21], v[4:5]
	s_and_saveexec_b64 s[4:5], s[0:1]
	s_cbranch_execz .LBB24_26
; %bb.25:
	v_add_co_u32_e64 v4, s[2:3], v6, v2
	v_addc_co_u32_e64 v5, s[2:3], v7, v3, s[2:3]
	global_load_ushort v4, v[4:5], off offset:32
	v_lshrrev_b32_e32 v5, 16, v11
	s_waitcnt vmcnt(0)
	v_mul_f16_e32 v4, s28, v4
	v_fma_f16 v10, v5, s9, v4
	v_add_co_u32_e64 v4, s[2:3], v8, v2
	v_addc_co_u32_e64 v5, s[2:3], v9, v3, s[2:3]
	global_store_short v[4:5], v10, off offset:32
.LBB24_26:
	s_or_b64 exec, exec, s[4:5]
	v_add_co_u32_e64 v0, s[2:3], 16, v0
	v_addc_co_u32_e64 v1, s[2:3], 0, v1, s[2:3]
	v_cmp_gt_i64_e64 s[2:3], s[22:23], v[0:1]
	s_and_b64 exec, exec, s[2:3]
	s_cbranch_execz .LBB24_19
; %bb.27:
	s_lshl_b64 s[2:3], s[14:15], 5
	v_mov_b32_e32 v0, s3
	v_add_co_u32_e64 v1, s[2:3], s2, v6
	v_addc_co_u32_e64 v4, s[2:3], v7, v0, s[2:3]
	s_lshl_b64 s[2:3], s[24:25], 5
	v_mov_b32_e32 v0, s3
	v_add_co_u32_e64 v5, s[2:3], s2, v8
	v_addc_co_u32_e64 v6, s[2:3], v9, v0, s[2:3]
	v_add_co_u32_e64 v0, s[2:3], v1, v2
	v_addc_co_u32_e64 v1, s[2:3], v4, v3, s[2:3]
	;; [unrolled: 2-line block ×3, first 2 shown]
	s_and_saveexec_b64 s[2:3], vcc
	s_cbranch_execz .LBB24_29
; %bb.28:
	global_load_ushort v4, v[0:1], off
	s_waitcnt vmcnt(0)
	v_mul_f16_e32 v4, s28, v4
	v_fma_f16 v4, v12, s9, v4
	global_store_short v[2:3], v4, off
.LBB24_29:
	s_or_b64 exec, exec, s[2:3]
	s_and_b64 exec, exec, s[0:1]
	s_cbranch_execz .LBB24_19
; %bb.30:
	global_load_ushort v0, v[0:1], off offset:32
	v_lshrrev_b32_e32 v1, 16, v12
	s_waitcnt vmcnt(0)
	v_mul_f16_e32 v0, s28, v0
	v_fma_f16 v0, v1, s9, v0
	global_store_short v[2:3], v0, off offset:32
	s_endpgm
	.section	.rodata,"a",@progbits
	.p2align	6, 0x0
	.amdhsa_kernel _ZN12_GLOBAL__N_135rocblas_gemm_batched_general_kernelIDF16_Li16ELi16ELi32ELi32ELi8ELi32ELi8ELi8ELi32ELc67ELc67EKDF16_S1_DF16_EEvlllT_PT11_llS4_llS2_PT12_llPT13_lli
		.amdhsa_group_segment_fixed_size 1024
		.amdhsa_private_segment_fixed_size 0
		.amdhsa_kernarg_size 140
		.amdhsa_user_sgpr_count 6
		.amdhsa_user_sgpr_private_segment_buffer 1
		.amdhsa_user_sgpr_dispatch_ptr 0
		.amdhsa_user_sgpr_queue_ptr 0
		.amdhsa_user_sgpr_kernarg_segment_ptr 1
		.amdhsa_user_sgpr_dispatch_id 0
		.amdhsa_user_sgpr_flat_scratch_init 0
		.amdhsa_user_sgpr_kernarg_preload_length 0
		.amdhsa_user_sgpr_kernarg_preload_offset 0
		.amdhsa_user_sgpr_private_segment_size 0
		.amdhsa_uses_dynamic_stack 0
		.amdhsa_system_sgpr_private_segment_wavefront_offset 0
		.amdhsa_system_sgpr_workgroup_id_x 1
		.amdhsa_system_sgpr_workgroup_id_y 1
		.amdhsa_system_sgpr_workgroup_id_z 1
		.amdhsa_system_sgpr_workgroup_info 0
		.amdhsa_system_vgpr_workitem_id 1
		.amdhsa_next_free_vgpr 41
		.amdhsa_next_free_sgpr 36
		.amdhsa_accum_offset 44
		.amdhsa_reserve_vcc 1
		.amdhsa_reserve_flat_scratch 0
		.amdhsa_float_round_mode_32 0
		.amdhsa_float_round_mode_16_64 0
		.amdhsa_float_denorm_mode_32 3
		.amdhsa_float_denorm_mode_16_64 3
		.amdhsa_dx10_clamp 1
		.amdhsa_ieee_mode 1
		.amdhsa_fp16_overflow 0
		.amdhsa_tg_split 0
		.amdhsa_exception_fp_ieee_invalid_op 0
		.amdhsa_exception_fp_denorm_src 0
		.amdhsa_exception_fp_ieee_div_zero 0
		.amdhsa_exception_fp_ieee_overflow 0
		.amdhsa_exception_fp_ieee_underflow 0
		.amdhsa_exception_fp_ieee_inexact 0
		.amdhsa_exception_int_div_zero 0
	.end_amdhsa_kernel
	.section	.text._ZN12_GLOBAL__N_135rocblas_gemm_batched_general_kernelIDF16_Li16ELi16ELi32ELi32ELi8ELi32ELi8ELi8ELi32ELc67ELc67EKDF16_S1_DF16_EEvlllT_PT11_llS4_llS2_PT12_llPT13_lli,"axG",@progbits,_ZN12_GLOBAL__N_135rocblas_gemm_batched_general_kernelIDF16_Li16ELi16ELi32ELi32ELi8ELi32ELi8ELi8ELi32ELc67ELc67EKDF16_S1_DF16_EEvlllT_PT11_llS4_llS2_PT12_llPT13_lli,comdat
.Lfunc_end24:
	.size	_ZN12_GLOBAL__N_135rocblas_gemm_batched_general_kernelIDF16_Li16ELi16ELi32ELi32ELi8ELi32ELi8ELi8ELi32ELc67ELc67EKDF16_S1_DF16_EEvlllT_PT11_llS4_llS2_PT12_llPT13_lli, .Lfunc_end24-_ZN12_GLOBAL__N_135rocblas_gemm_batched_general_kernelIDF16_Li16ELi16ELi32ELi32ELi8ELi32ELi8ELi8ELi32ELc67ELc67EKDF16_S1_DF16_EEvlllT_PT11_llS4_llS2_PT12_llPT13_lli
                                        ; -- End function
	.section	.AMDGPU.csdata,"",@progbits
; Kernel info:
; codeLenInByte = 2120
; NumSgprs: 40
; NumVgprs: 41
; NumAgprs: 0
; TotalNumVgprs: 41
; ScratchSize: 0
; MemoryBound: 0
; FloatMode: 240
; IeeeMode: 1
; LDSByteSize: 1024 bytes/workgroup (compile time only)
; SGPRBlocks: 4
; VGPRBlocks: 5
; NumSGPRsForWavesPerEU: 40
; NumVGPRsForWavesPerEU: 41
; AccumOffset: 44
; Occupancy: 8
; WaveLimiterHint : 0
; COMPUTE_PGM_RSRC2:SCRATCH_EN: 0
; COMPUTE_PGM_RSRC2:USER_SGPR: 6
; COMPUTE_PGM_RSRC2:TRAP_HANDLER: 0
; COMPUTE_PGM_RSRC2:TGID_X_EN: 1
; COMPUTE_PGM_RSRC2:TGID_Y_EN: 1
; COMPUTE_PGM_RSRC2:TGID_Z_EN: 1
; COMPUTE_PGM_RSRC2:TIDIG_COMP_CNT: 1
; COMPUTE_PGM_RSRC3_GFX90A:ACCUM_OFFSET: 10
; COMPUTE_PGM_RSRC3_GFX90A:TG_SPLIT: 0
	.section	.text._ZN12_GLOBAL__N_135rocblas_gemm_batched_general_kernelIDF16_Li16ELi16ELi32ELi32ELi8ELi32ELi8ELi8ELi32ELc67ELc78EKDF16_S1_DF16_EEvlllT_PT11_llS4_llS2_PT12_llPT13_lli,"axG",@progbits,_ZN12_GLOBAL__N_135rocblas_gemm_batched_general_kernelIDF16_Li16ELi16ELi32ELi32ELi8ELi32ELi8ELi8ELi32ELc67ELc78EKDF16_S1_DF16_EEvlllT_PT11_llS4_llS2_PT12_llPT13_lli,comdat
	.globl	_ZN12_GLOBAL__N_135rocblas_gemm_batched_general_kernelIDF16_Li16ELi16ELi32ELi32ELi8ELi32ELi8ELi8ELi32ELc67ELc78EKDF16_S1_DF16_EEvlllT_PT11_llS4_llS2_PT12_llPT13_lli ; -- Begin function _ZN12_GLOBAL__N_135rocblas_gemm_batched_general_kernelIDF16_Li16ELi16ELi32ELi32ELi8ELi32ELi8ELi8ELi32ELc67ELc78EKDF16_S1_DF16_EEvlllT_PT11_llS4_llS2_PT12_llPT13_lli
	.p2align	8
	.type	_ZN12_GLOBAL__N_135rocblas_gemm_batched_general_kernelIDF16_Li16ELi16ELi32ELi32ELi8ELi32ELi8ELi8ELi32ELc67ELc78EKDF16_S1_DF16_EEvlllT_PT11_llS4_llS2_PT12_llPT13_lli,@function
_ZN12_GLOBAL__N_135rocblas_gemm_batched_general_kernelIDF16_Li16ELi16ELi32ELi32ELi8ELi32ELi8ELi8ELi32ELc67ELc78EKDF16_S1_DF16_EEvlllT_PT11_llS4_llS2_PT12_llPT13_lli: ; @_ZN12_GLOBAL__N_135rocblas_gemm_batched_general_kernelIDF16_Li16ELi16ELi32ELi32ELi8ELi32ELi8ELi8ELi32ELc67ELc78EKDF16_S1_DF16_EEvlllT_PT11_llS4_llS2_PT12_llPT13_lli
; %bb.0:
	s_load_dwordx4 s[20:23], s[4:5], 0x0
	s_load_dwordx2 s[24:25], s[4:5], 0x10
	s_mov_b32 s0, s7
	s_ashr_i32 s1, s0, 31
	s_ashr_i32 s7, s6, 31
	s_lshl_b64 s[10:11], s[0:1], 5
	s_waitcnt lgkmcnt(0)
	v_cmp_lt_i64_e64 s[0:1], s[24:25], 1
	v_and_b32_e32 v10, 0x3ff, v0
	v_bfe_u32 v1, v0, 10, 10
	s_lshl_b64 s[6:7], s[6:7], 5
	s_and_b64 vcc, exec, s[0:1]
	v_mov_b32_e32 v12, 0
	v_mov_b32_e32 v11, 0
	s_cbranch_vccnz .LBB25_7
; %bb.1:
	v_lshlrev_b32_e32 v8, 4, v1
	s_load_dwordx8 s[12:19], s[4:5], 0x20
	s_load_dwordx4 s[28:31], s[4:5], 0x40
	v_add_u32_e32 v3, v8, v10
	v_and_b32_e32 v12, 31, v3
	v_and_b32_e32 v2, 7, v10
	v_lshrrev_b32_e32 v9, 3, v3
	v_mov_b32_e32 v7, s7
	v_or_b32_e32 v6, s6, v12
	v_mov_b32_e32 v5, s11
	v_add_co_u32_e32 v4, vcc, s10, v9
	v_cmp_gt_i64_e64 s[0:1], s[20:21], v[6:7]
	v_lshlrev_b32_e32 v6, 1, v2
	v_addc_co_u32_e32 v5, vcc, 0, v5, vcc
	v_lshl_or_b32 v7, v9, 4, v6
	v_cmp_gt_i64_e64 s[2:3], s[22:23], v[4:5]
	v_add_u32_e32 v13, 0x200, v7
	v_add_u32_e32 v15, 0x200, v8
	s_waitcnt lgkmcnt(0)
	v_mul_lo_u32 v7, s29, v4
	v_mul_lo_u32 v8, s28, v5
	v_mad_u64_u32 v[4:5], s[26:27], s28, v4, 0
	s_mul_i32 s9, s31, s8
	s_mul_hi_u32 s26, s30, s8
	v_add3_u32 v5, v5, v8, v7
	s_add_i32 s27, s26, s9
	s_mul_i32 s26, s30, s8
	v_lshlrev_b64 v[4:5], 1, v[4:5]
	s_lshl_b64 s[26:27], s[26:27], 1
	v_mov_b32_e32 v7, s27
	v_add_co_u32_e32 v4, vcc, s26, v4
	v_addc_co_u32_e32 v5, vcc, v5, v7, vcc
	v_add_co_u32_e32 v4, vcc, v4, v6
	v_addc_co_u32_e32 v5, vcc, 0, v5, vcc
	v_mov_b32_e32 v6, s19
	v_add_co_u32_e32 v4, vcc, s18, v4
	v_addc_co_u32_e32 v5, vcc, v6, v5, vcc
	v_mov_b32_e32 v6, s7
	v_add_co_u32_e32 v7, vcc, s6, v12
	v_addc_co_u32_e32 v6, vcc, 0, v6, vcc
	v_mul_lo_u32 v8, s15, v7
	v_mul_lo_u32 v9, s14, v6
	v_mad_u64_u32 v[6:7], s[14:15], s14, v7, 0
	s_mul_i32 s9, s17, s8
	s_mul_hi_u32 s14, s16, s8
	v_add3_u32 v7, v7, v9, v8
	s_add_i32 s15, s14, s9
	s_mul_i32 s14, s16, s8
	v_lshlrev_b64 v[6:7], 1, v[6:7]
	s_lshl_b64 s[14:15], s[14:15], 1
	v_lshrrev_b32_e32 v0, 5, v3
	v_mov_b32_e32 v8, s15
	v_add_co_u32_e32 v6, vcc, s14, v6
	v_addc_co_u32_e32 v7, vcc, v7, v8, vcc
	v_lshlrev_b32_e32 v8, 1, v0
	v_add_co_u32_e32 v6, vcc, v6, v8
	v_addc_co_u32_e32 v7, vcc, 0, v7, vcc
	v_lshlrev_b32_e32 v3, 1, v12
	v_mov_b32_e32 v8, s13
	v_add_co_u32_e32 v6, vcc, s12, v6
	v_mov_b32_e32 v11, 0
	v_lshl_or_b32 v3, v0, 6, v3
	v_lshlrev_b32_e32 v14, 1, v10
	v_addc_co_u32_e32 v7, vcc, v8, v7, vcc
	s_mov_b64 s[12:13], 0
	v_pk_mov_b32 v[8:9], s[24:25], s[24:25] op_sel:[0,1]
	v_mov_b32_e32 v12, 0
	s_branch .LBB25_3
.LBB25_2:                               ;   in Loop: Header=BB25_3 Depth=1
	s_or_b64 exec, exec, s[14:15]
	s_waitcnt vmcnt(0)
	ds_write_b16 v13, v16
	s_waitcnt lgkmcnt(0)
	s_barrier
	ds_read_b128 v[16:19], v15
	ds_read_b128 v[20:23], v15 offset:256
	ds_read_u16 v28, v14
	ds_read_u16 v29, v14 offset:32
	ds_read_u16 v30, v14 offset:64
	;; [unrolled: 1-line block ×7, first 2 shown]
	v_add_co_u32_e32 v4, vcc, 16, v4
	s_waitcnt lgkmcnt(7)
	v_fma_f16 v36, v28, v16, v11
	v_lshrrev_b32_e32 v11, 16, v11
	v_lshrrev_b32_e32 v24, 16, v16
	s_waitcnt lgkmcnt(6)
	v_fma_f16 v11, v29, v16, v11
	v_fma_f16 v28, v28, v20, v12
	v_lshrrev_b32_e32 v12, 16, v12
	v_lshrrev_b32_e32 v16, 16, v20
	v_fma_f16 v12, v29, v20, v12
	s_waitcnt lgkmcnt(5)
	v_fma_f16 v20, v30, v24, v36
	s_waitcnt lgkmcnt(4)
	v_fma_f16 v11, v31, v24, v11
	v_lshrrev_b32_e32 v25, 16, v17
	v_fma_f16 v24, v30, v16, v28
	v_fma_f16 v12, v31, v16, v12
	s_waitcnt lgkmcnt(3)
	v_fma_f16 v16, v32, v17, v20
	s_waitcnt lgkmcnt(2)
	v_fma_f16 v11, v33, v17, v11
	v_lshrrev_b32_e32 v37, 16, v21
	v_fma_f16 v17, v32, v21, v24
	v_fma_f16 v12, v33, v21, v12
	s_waitcnt lgkmcnt(1)
	v_fma_f16 v16, v34, v25, v16
	s_waitcnt lgkmcnt(0)
	v_fma_f16 v11, v35, v25, v11
	ds_read_u16 v20, v14 offset:256
	ds_read_u16 v21, v14 offset:288
	;; [unrolled: 1-line block ×8, first 2 shown]
	v_fma_f16 v17, v34, v37, v17
	v_fma_f16 v12, v35, v37, v12
	v_lshrrev_b32_e32 v26, 16, v18
	v_lshrrev_b32_e32 v38, 16, v22
	s_waitcnt lgkmcnt(7)
	v_fma_f16 v16, v20, v18, v16
	s_waitcnt lgkmcnt(6)
	v_fma_f16 v11, v21, v18, v11
	v_fma_f16 v17, v20, v22, v17
	;; [unrolled: 1-line block ×3, first 2 shown]
	v_addc_co_u32_e32 v5, vcc, 0, v5, vcc
	s_waitcnt lgkmcnt(5)
	v_fma_f16 v16, v24, v26, v16
	s_waitcnt lgkmcnt(4)
	v_fma_f16 v11, v25, v26, v11
	v_fma_f16 v17, v24, v38, v17
	;; [unrolled: 1-line block ×3, first 2 shown]
	s_add_u32 s12, s12, 8
	v_add_co_u32_e32 v6, vcc, 16, v6
	v_lshrrev_b32_e32 v27, 16, v19
	v_lshrrev_b32_e32 v39, 16, v23
	s_waitcnt lgkmcnt(3)
	v_fma_f16 v16, v28, v19, v16
	s_waitcnt lgkmcnt(2)
	v_fma_f16 v11, v29, v19, v11
	v_fma_f16 v17, v28, v23, v17
	;; [unrolled: 1-line block ×3, first 2 shown]
	s_addc_u32 s13, s13, 0
	v_addc_co_u32_e32 v7, vcc, 0, v7, vcc
	s_waitcnt lgkmcnt(1)
	v_fma_f16 v16, v30, v27, v16
	s_waitcnt lgkmcnt(0)
	v_fma_f16 v11, v31, v27, v11
	v_fma_f16 v17, v30, v39, v17
	;; [unrolled: 1-line block ×3, first 2 shown]
	v_cmp_lt_i64_e32 vcc, s[12:13], v[8:9]
	v_pack_b32_f16 v11, v16, v11
	v_pack_b32_f16 v12, v17, v12
	s_barrier
	s_cbranch_vccz .LBB25_7
.LBB25_3:                               ; =>This Inner Loop Header: Depth=1
	v_mov_b32_e32 v17, s13
	v_add_co_u32_e32 v16, vcc, s12, v0
	v_addc_co_u32_e32 v17, vcc, 0, v17, vcc
	v_cmp_gt_i64_e32 vcc, s[24:25], v[16:17]
	s_and_b64 s[16:17], s[0:1], vcc
	v_mov_b32_e32 v16, 0
	s_and_saveexec_b64 s[14:15], s[16:17]
	s_cbranch_execz .LBB25_5
; %bb.4:                                ;   in Loop: Header=BB25_3 Depth=1
	global_load_ushort v16, v[6:7], off
.LBB25_5:                               ;   in Loop: Header=BB25_3 Depth=1
	s_or_b64 exec, exec, s[14:15]
	s_waitcnt vmcnt(0)
	ds_write_b16 v3, v16
	v_mov_b32_e32 v17, s13
	v_add_co_u32_e32 v16, vcc, s12, v2
	v_addc_co_u32_e32 v17, vcc, 0, v17, vcc
	v_cmp_gt_i64_e32 vcc, s[24:25], v[16:17]
	s_and_b64 s[16:17], vcc, s[2:3]
	v_mov_b32_e32 v16, 0
	s_and_saveexec_b64 s[14:15], s[16:17]
	s_cbranch_execz .LBB25_2
; %bb.6:                                ;   in Loop: Header=BB25_3 Depth=1
	global_load_ushort v16, v[4:5], off
	s_branch .LBB25_2
.LBB25_7:
	s_load_dwordx4 s[24:27], s[4:5], 0x78
	s_load_dword s9, s[4:5], 0x18
	s_load_dword s28, s[4:5], 0x50
	s_load_dwordx8 s[12:19], s[4:5], 0x58
	v_mov_b32_e32 v2, s11
	s_waitcnt lgkmcnt(0)
	s_mul_i32 s0, s8, s27
	s_mul_hi_u32 s1, s8, s26
	s_add_i32 s1, s1, s0
	s_mul_i32 s0, s8, s26
	s_lshl_b64 s[0:1], s[0:1], 1
	v_add_co_u32_e32 v0, vcc, s10, v1
	s_add_u32 s26, s18, s0
	v_addc_co_u32_e32 v1, vcc, 0, v2, vcc
	v_cmp_neq_f16_e64 s[2:3], s28, 0
	s_addc_u32 s27, s19, s1
	v_cmp_gt_i64_e64 s[0:1], s[22:23], v[0:1]
	s_and_b64 vcc, exec, s[2:3]
	s_cbranch_vccnz .LBB25_20
; %bb.8:
	s_and_saveexec_b64 s[10:11], s[0:1]
	s_cbranch_execz .LBB25_18
; %bb.9:
	v_mov_b32_e32 v2, s7
	v_add_co_u32_e32 v4, vcc, s6, v10
	v_addc_co_u32_e32 v5, vcc, 0, v2, vcc
	v_mul_lo_u32 v6, v1, s24
	v_mul_lo_u32 v7, v0, s25
	v_mad_u64_u32 v[2:3], s[2:3], v0, s24, 0
	v_add3_u32 v3, v3, v7, v6
	v_lshlrev_b64 v[2:3], 1, v[2:3]
	v_mov_b32_e32 v7, s27
	v_add_co_u32_e64 v6, s[2:3], s26, v2
	v_cmp_gt_i64_e32 vcc, s[20:21], v[4:5]
	v_addc_co_u32_e64 v7, s[2:3], v7, v3, s[2:3]
	v_lshlrev_b64 v[2:3], 1, v[4:5]
	s_and_saveexec_b64 s[4:5], vcc
	s_cbranch_execz .LBB25_11
; %bb.10:
	v_add_co_u32_e64 v8, s[2:3], v6, v2
	v_addc_co_u32_e64 v9, s[2:3], v7, v3, s[2:3]
	v_mul_f16_e32 v13, s9, v11
	global_store_short v[8:9], v13, off
.LBB25_11:
	s_or_b64 exec, exec, s[4:5]
	v_add_co_u32_e64 v4, s[2:3], 16, v4
	v_addc_co_u32_e64 v5, s[2:3], 0, v5, s[2:3]
	v_cmp_gt_i64_e64 s[2:3], s[20:21], v[4:5]
	s_and_saveexec_b64 s[18:19], s[2:3]
	s_cbranch_execz .LBB25_13
; %bb.12:
	v_add_co_u32_e64 v4, s[4:5], v6, v2
	v_addc_co_u32_e64 v5, s[4:5], v7, v3, s[4:5]
	v_mul_f16_sdwa v8, v11, s9 dst_sel:DWORD dst_unused:UNUSED_PAD src0_sel:WORD_1 src1_sel:DWORD
	global_store_short v[4:5], v8, off offset:32
.LBB25_13:
	s_or_b64 exec, exec, s[18:19]
	v_add_co_u32_e64 v4, s[4:5], 16, v0
	v_addc_co_u32_e64 v5, s[4:5], 0, v1, s[4:5]
	v_cmp_gt_i64_e64 s[4:5], s[22:23], v[4:5]
	s_and_b64 exec, exec, s[4:5]
	s_cbranch_execz .LBB25_18
; %bb.14:
	s_lshl_b64 s[4:5], s[24:25], 5
	v_mov_b32_e32 v4, s5
	v_add_co_u32_e64 v5, s[4:5], s4, v6
	v_addc_co_u32_e64 v4, s[4:5], v7, v4, s[4:5]
	v_add_co_u32_e64 v2, s[4:5], v5, v2
	v_addc_co_u32_e64 v3, s[4:5], v4, v3, s[4:5]
	s_and_saveexec_b64 s[4:5], vcc
	s_cbranch_execz .LBB25_16
; %bb.15:
	v_mul_f16_e32 v4, s9, v12
	global_store_short v[2:3], v4, off
.LBB25_16:
	s_or_b64 exec, exec, s[4:5]
	s_and_b64 exec, exec, s[2:3]
	s_cbranch_execz .LBB25_18
; %bb.17:
	v_mul_f16_sdwa v4, v12, s9 dst_sel:DWORD dst_unused:UNUSED_PAD src0_sel:WORD_1 src1_sel:DWORD
	global_store_short v[2:3], v4, off offset:32
.LBB25_18:
	s_or_b64 exec, exec, s[10:11]
	s_cbranch_execz .LBB25_21
.LBB25_19:
	s_endpgm
.LBB25_20:
.LBB25_21:
	s_and_saveexec_b64 s[2:3], s[0:1]
	s_cbranch_execz .LBB25_19
; %bb.22:
	s_mul_i32 s0, s8, s17
	s_mul_hi_u32 s1, s8, s16
	s_add_i32 s1, s1, s0
	s_mul_i32 s0, s8, s16
	s_lshl_b64 s[0:1], s[0:1], 1
	s_add_u32 s2, s12, s0
	v_mov_b32_e32 v2, s7
	v_add_co_u32_e32 v4, vcc, s6, v10
	s_addc_u32 s3, s13, s1
	v_addc_co_u32_e32 v5, vcc, 0, v2, vcc
	v_mul_lo_u32 v6, v1, s14
	v_mul_lo_u32 v7, v0, s15
	v_mad_u64_u32 v[2:3], s[0:1], v0, s14, 0
	v_add3_u32 v3, v3, v7, v6
	v_mul_lo_u32 v6, v1, s24
	v_mul_lo_u32 v7, v0, s25
	v_mad_u64_u32 v[8:9], s[0:1], v0, s24, 0
	v_lshlrev_b64 v[2:3], 1, v[2:3]
	v_add3_u32 v9, v9, v7, v6
	v_mov_b32_e32 v7, s3
	v_add_co_u32_e64 v6, s[0:1], s2, v2
	v_addc_co_u32_e64 v7, s[0:1], v7, v3, s[0:1]
	v_lshlrev_b64 v[2:3], 1, v[8:9]
	v_mov_b32_e32 v9, s27
	v_add_co_u32_e64 v8, s[0:1], s26, v2
	v_cmp_gt_i64_e32 vcc, s[20:21], v[4:5]
	v_addc_co_u32_e64 v9, s[0:1], v9, v3, s[0:1]
	v_lshlrev_b64 v[2:3], 1, v[4:5]
	s_and_saveexec_b64 s[2:3], vcc
	s_cbranch_execz .LBB25_24
; %bb.23:
	v_add_co_u32_e64 v14, s[0:1], v6, v2
	v_addc_co_u32_e64 v15, s[0:1], v7, v3, s[0:1]
	global_load_ushort v10, v[14:15], off
	v_add_co_u32_e64 v14, s[0:1], v8, v2
	v_addc_co_u32_e64 v15, s[0:1], v9, v3, s[0:1]
	s_waitcnt vmcnt(0)
	v_mul_f16_e32 v10, s28, v10
	v_fma_f16 v10, v11, s9, v10
	global_store_short v[14:15], v10, off
.LBB25_24:
	s_or_b64 exec, exec, s[2:3]
	v_add_co_u32_e64 v4, s[0:1], 16, v4
	v_addc_co_u32_e64 v5, s[0:1], 0, v5, s[0:1]
	v_cmp_gt_i64_e64 s[0:1], s[20:21], v[4:5]
	s_and_saveexec_b64 s[4:5], s[0:1]
	s_cbranch_execz .LBB25_26
; %bb.25:
	v_add_co_u32_e64 v4, s[2:3], v6, v2
	v_addc_co_u32_e64 v5, s[2:3], v7, v3, s[2:3]
	global_load_ushort v4, v[4:5], off offset:32
	v_lshrrev_b32_e32 v5, 16, v11
	s_waitcnt vmcnt(0)
	v_mul_f16_e32 v4, s28, v4
	v_fma_f16 v10, v5, s9, v4
	v_add_co_u32_e64 v4, s[2:3], v8, v2
	v_addc_co_u32_e64 v5, s[2:3], v9, v3, s[2:3]
	global_store_short v[4:5], v10, off offset:32
.LBB25_26:
	s_or_b64 exec, exec, s[4:5]
	v_add_co_u32_e64 v0, s[2:3], 16, v0
	v_addc_co_u32_e64 v1, s[2:3], 0, v1, s[2:3]
	v_cmp_gt_i64_e64 s[2:3], s[22:23], v[0:1]
	s_and_b64 exec, exec, s[2:3]
	s_cbranch_execz .LBB25_19
; %bb.27:
	s_lshl_b64 s[2:3], s[14:15], 5
	v_mov_b32_e32 v0, s3
	v_add_co_u32_e64 v1, s[2:3], s2, v6
	v_addc_co_u32_e64 v4, s[2:3], v7, v0, s[2:3]
	s_lshl_b64 s[2:3], s[24:25], 5
	v_mov_b32_e32 v0, s3
	v_add_co_u32_e64 v5, s[2:3], s2, v8
	v_addc_co_u32_e64 v6, s[2:3], v9, v0, s[2:3]
	v_add_co_u32_e64 v0, s[2:3], v1, v2
	v_addc_co_u32_e64 v1, s[2:3], v4, v3, s[2:3]
	v_add_co_u32_e64 v2, s[2:3], v5, v2
	v_addc_co_u32_e64 v3, s[2:3], v6, v3, s[2:3]
	s_and_saveexec_b64 s[2:3], vcc
	s_cbranch_execz .LBB25_29
; %bb.28:
	global_load_ushort v4, v[0:1], off
	s_waitcnt vmcnt(0)
	v_mul_f16_e32 v4, s28, v4
	v_fma_f16 v4, v12, s9, v4
	global_store_short v[2:3], v4, off
.LBB25_29:
	s_or_b64 exec, exec, s[2:3]
	s_and_b64 exec, exec, s[0:1]
	s_cbranch_execz .LBB25_19
; %bb.30:
	global_load_ushort v0, v[0:1], off offset:32
	v_lshrrev_b32_e32 v1, 16, v12
	s_waitcnt vmcnt(0)
	v_mul_f16_e32 v0, s28, v0
	v_fma_f16 v0, v1, s9, v0
	global_store_short v[2:3], v0, off offset:32
	s_endpgm
	.section	.rodata,"a",@progbits
	.p2align	6, 0x0
	.amdhsa_kernel _ZN12_GLOBAL__N_135rocblas_gemm_batched_general_kernelIDF16_Li16ELi16ELi32ELi32ELi8ELi32ELi8ELi8ELi32ELc67ELc78EKDF16_S1_DF16_EEvlllT_PT11_llS4_llS2_PT12_llPT13_lli
		.amdhsa_group_segment_fixed_size 1024
		.amdhsa_private_segment_fixed_size 0
		.amdhsa_kernarg_size 140
		.amdhsa_user_sgpr_count 6
		.amdhsa_user_sgpr_private_segment_buffer 1
		.amdhsa_user_sgpr_dispatch_ptr 0
		.amdhsa_user_sgpr_queue_ptr 0
		.amdhsa_user_sgpr_kernarg_segment_ptr 1
		.amdhsa_user_sgpr_dispatch_id 0
		.amdhsa_user_sgpr_flat_scratch_init 0
		.amdhsa_user_sgpr_kernarg_preload_length 0
		.amdhsa_user_sgpr_kernarg_preload_offset 0
		.amdhsa_user_sgpr_private_segment_size 0
		.amdhsa_uses_dynamic_stack 0
		.amdhsa_system_sgpr_private_segment_wavefront_offset 0
		.amdhsa_system_sgpr_workgroup_id_x 1
		.amdhsa_system_sgpr_workgroup_id_y 1
		.amdhsa_system_sgpr_workgroup_id_z 1
		.amdhsa_system_sgpr_workgroup_info 0
		.amdhsa_system_vgpr_workitem_id 1
		.amdhsa_next_free_vgpr 40
		.amdhsa_next_free_sgpr 32
		.amdhsa_accum_offset 40
		.amdhsa_reserve_vcc 1
		.amdhsa_reserve_flat_scratch 0
		.amdhsa_float_round_mode_32 0
		.amdhsa_float_round_mode_16_64 0
		.amdhsa_float_denorm_mode_32 3
		.amdhsa_float_denorm_mode_16_64 3
		.amdhsa_dx10_clamp 1
		.amdhsa_ieee_mode 1
		.amdhsa_fp16_overflow 0
		.amdhsa_tg_split 0
		.amdhsa_exception_fp_ieee_invalid_op 0
		.amdhsa_exception_fp_denorm_src 0
		.amdhsa_exception_fp_ieee_div_zero 0
		.amdhsa_exception_fp_ieee_overflow 0
		.amdhsa_exception_fp_ieee_underflow 0
		.amdhsa_exception_fp_ieee_inexact 0
		.amdhsa_exception_int_div_zero 0
	.end_amdhsa_kernel
	.section	.text._ZN12_GLOBAL__N_135rocblas_gemm_batched_general_kernelIDF16_Li16ELi16ELi32ELi32ELi8ELi32ELi8ELi8ELi32ELc67ELc78EKDF16_S1_DF16_EEvlllT_PT11_llS4_llS2_PT12_llPT13_lli,"axG",@progbits,_ZN12_GLOBAL__N_135rocblas_gemm_batched_general_kernelIDF16_Li16ELi16ELi32ELi32ELi8ELi32ELi8ELi8ELi32ELc67ELc78EKDF16_S1_DF16_EEvlllT_PT11_llS4_llS2_PT12_llPT13_lli,comdat
.Lfunc_end25:
	.size	_ZN12_GLOBAL__N_135rocblas_gemm_batched_general_kernelIDF16_Li16ELi16ELi32ELi32ELi8ELi32ELi8ELi8ELi32ELc67ELc78EKDF16_S1_DF16_EEvlllT_PT11_llS4_llS2_PT12_llPT13_lli, .Lfunc_end25-_ZN12_GLOBAL__N_135rocblas_gemm_batched_general_kernelIDF16_Li16ELi16ELi32ELi32ELi8ELi32ELi8ELi8ELi32ELc67ELc78EKDF16_S1_DF16_EEvlllT_PT11_llS4_llS2_PT12_llPT13_lli
                                        ; -- End function
	.section	.AMDGPU.csdata,"",@progbits
; Kernel info:
; codeLenInByte = 2104
; NumSgprs: 36
; NumVgprs: 40
; NumAgprs: 0
; TotalNumVgprs: 40
; ScratchSize: 0
; MemoryBound: 0
; FloatMode: 240
; IeeeMode: 1
; LDSByteSize: 1024 bytes/workgroup (compile time only)
; SGPRBlocks: 4
; VGPRBlocks: 4
; NumSGPRsForWavesPerEU: 36
; NumVGPRsForWavesPerEU: 40
; AccumOffset: 40
; Occupancy: 8
; WaveLimiterHint : 0
; COMPUTE_PGM_RSRC2:SCRATCH_EN: 0
; COMPUTE_PGM_RSRC2:USER_SGPR: 6
; COMPUTE_PGM_RSRC2:TRAP_HANDLER: 0
; COMPUTE_PGM_RSRC2:TGID_X_EN: 1
; COMPUTE_PGM_RSRC2:TGID_Y_EN: 1
; COMPUTE_PGM_RSRC2:TGID_Z_EN: 1
; COMPUTE_PGM_RSRC2:TIDIG_COMP_CNT: 1
; COMPUTE_PGM_RSRC3_GFX90A:ACCUM_OFFSET: 9
; COMPUTE_PGM_RSRC3_GFX90A:TG_SPLIT: 0
	.section	.text._ZN12_GLOBAL__N_135rocblas_gemm_batched_general_kernelIDF16_Li16ELi16ELi32ELi32ELi8ELi32ELi8ELi8ELi32ELc67ELc84EKDF16_S1_DF16_EEvlllT_PT11_llS4_llS2_PT12_llPT13_lli,"axG",@progbits,_ZN12_GLOBAL__N_135rocblas_gemm_batched_general_kernelIDF16_Li16ELi16ELi32ELi32ELi8ELi32ELi8ELi8ELi32ELc67ELc84EKDF16_S1_DF16_EEvlllT_PT11_llS4_llS2_PT12_llPT13_lli,comdat
	.globl	_ZN12_GLOBAL__N_135rocblas_gemm_batched_general_kernelIDF16_Li16ELi16ELi32ELi32ELi8ELi32ELi8ELi8ELi32ELc67ELc84EKDF16_S1_DF16_EEvlllT_PT11_llS4_llS2_PT12_llPT13_lli ; -- Begin function _ZN12_GLOBAL__N_135rocblas_gemm_batched_general_kernelIDF16_Li16ELi16ELi32ELi32ELi8ELi32ELi8ELi8ELi32ELc67ELc84EKDF16_S1_DF16_EEvlllT_PT11_llS4_llS2_PT12_llPT13_lli
	.p2align	8
	.type	_ZN12_GLOBAL__N_135rocblas_gemm_batched_general_kernelIDF16_Li16ELi16ELi32ELi32ELi8ELi32ELi8ELi8ELi32ELc67ELc84EKDF16_S1_DF16_EEvlllT_PT11_llS4_llS2_PT12_llPT13_lli,@function
_ZN12_GLOBAL__N_135rocblas_gemm_batched_general_kernelIDF16_Li16ELi16ELi32ELi32ELi8ELi32ELi8ELi8ELi32ELc67ELc84EKDF16_S1_DF16_EEvlllT_PT11_llS4_llS2_PT12_llPT13_lli: ; @_ZN12_GLOBAL__N_135rocblas_gemm_batched_general_kernelIDF16_Li16ELi16ELi32ELi32ELi8ELi32ELi8ELi8ELi32ELc67ELc84EKDF16_S1_DF16_EEvlllT_PT11_llS4_llS2_PT12_llPT13_lli
; %bb.0:
	s_load_dwordx4 s[20:23], s[4:5], 0x0
	s_load_dwordx2 s[28:29], s[4:5], 0x10
	s_mov_b32 s30, s7
	s_ashr_i32 s7, s6, 31
	s_ashr_i32 s31, s30, 31
	v_and_b32_e32 v10, 0x3ff, v0
	s_waitcnt lgkmcnt(0)
	v_cmp_lt_i64_e64 s[0:1], s[28:29], 1
	v_bfe_u32 v1, v0, 10, 10
	s_lshl_b64 s[6:7], s[6:7], 5
	s_lshl_b64 s[10:11], s[30:31], 5
	s_and_b64 vcc, exec, s[0:1]
	v_mov_b32_e32 v12, 0
	v_mov_b32_e32 v11, 0
	s_cbranch_vccnz .LBB26_7
; %bb.1:
	v_lshlrev_b32_e32 v8, 4, v1
	v_add_u32_e32 v3, v8, v10
	s_load_dwordx8 s[12:19], s[4:5], 0x20
	s_load_dwordx4 s[24:27], s[4:5], 0x40
	v_lshrrev_b32_e32 v9, 3, v3
	v_mov_b32_e32 v5, s11
	v_add_co_u32_e32 v4, vcc, s10, v9
	v_and_b32_e32 v2, 7, v10
	v_addc_co_u32_e32 v5, vcc, 0, v5, vcc
	v_cmp_gt_i64_e64 s[2:3], s[22:23], v[4:5]
	v_lshlrev_b32_e32 v4, 1, v2
	v_and_b32_e32 v12, 31, v3
	v_lshl_or_b32 v4, v9, 4, v4
	v_mov_b32_e32 v7, s7
	v_or_b32_e32 v6, s6, v12
	v_add_u32_e32 v13, 0x200, v4
	s_waitcnt lgkmcnt(0)
	s_mul_i32 s9, s27, s8
	s_mul_hi_u32 s27, s26, s8
	v_mad_u64_u32 v[4:5], s[34:35], s24, v2, 0
	v_cmp_gt_i64_e64 s[0:1], s[20:21], v[6:7]
	s_add_i32 s27, s27, s9
	s_mul_i32 s26, s26, s8
	v_mov_b32_e32 v6, v5
	s_lshl_b64 s[26:27], s[26:27], 1
	v_mad_u64_u32 v[6:7], s[34:35], s25, v2, v[6:7]
	s_lshl_b64 s[30:31], s[30:31], 6
	v_mov_b32_e32 v5, v6
	s_add_u32 s9, s30, s26
	v_lshlrev_b64 v[4:5], 1, v[4:5]
	s_addc_u32 s26, s31, s27
	v_mov_b32_e32 v6, s26
	v_add_co_u32_e32 v4, vcc, s9, v4
	v_addc_co_u32_e32 v5, vcc, v6, v5, vcc
	v_lshlrev_b32_e32 v6, 1, v9
	v_add_co_u32_e32 v4, vcc, v4, v6
	v_addc_co_u32_e32 v5, vcc, 0, v5, vcc
	v_mov_b32_e32 v6, s19
	v_add_co_u32_e32 v4, vcc, s18, v4
	v_addc_co_u32_e32 v5, vcc, v6, v5, vcc
	v_mov_b32_e32 v6, s7
	v_add_co_u32_e32 v7, vcc, s6, v12
	v_addc_co_u32_e32 v6, vcc, 0, v6, vcc
	v_add_u32_e32 v15, 0x200, v8
	v_mul_lo_u32 v8, s15, v7
	v_mul_lo_u32 v9, s14, v6
	v_mad_u64_u32 v[6:7], s[14:15], s14, v7, 0
	s_mul_i32 s9, s17, s8
	s_mul_hi_u32 s14, s16, s8
	v_add3_u32 v7, v7, v9, v8
	s_add_i32 s15, s14, s9
	s_mul_i32 s14, s16, s8
	v_lshlrev_b64 v[6:7], 1, v[6:7]
	s_lshl_b64 s[14:15], s[14:15], 1
	v_lshrrev_b32_e32 v0, 5, v3
	v_mov_b32_e32 v8, s15
	v_add_co_u32_e32 v6, vcc, s14, v6
	v_addc_co_u32_e32 v7, vcc, v7, v8, vcc
	v_lshlrev_b32_e32 v8, 1, v0
	v_add_co_u32_e32 v6, vcc, v6, v8
	v_addc_co_u32_e32 v7, vcc, 0, v7, vcc
	v_lshlrev_b32_e32 v3, 1, v12
	s_lshl_b64 s[18:19], s[24:25], 4
	v_mov_b32_e32 v8, s13
	v_add_co_u32_e32 v6, vcc, s12, v6
	v_mov_b32_e32 v11, 0
	v_lshl_or_b32 v3, v0, 6, v3
	v_lshlrev_b32_e32 v14, 1, v10
	v_addc_co_u32_e32 v7, vcc, v8, v7, vcc
	s_mov_b64 s[12:13], 0
	v_mov_b32_e32 v16, s19
	v_pk_mov_b32 v[8:9], s[28:29], s[28:29] op_sel:[0,1]
	v_mov_b32_e32 v12, 0
	s_branch .LBB26_3
.LBB26_2:                               ;   in Loop: Header=BB26_3 Depth=1
	s_or_b64 exec, exec, s[14:15]
	s_waitcnt vmcnt(0)
	ds_write_b16 v13, v17
	s_waitcnt lgkmcnt(0)
	s_barrier
	ds_read_b128 v[18:21], v15
	ds_read_b128 v[22:25], v15 offset:256
	ds_read_u16 v29, v14
	ds_read_u16 v30, v14 offset:32
	ds_read_u16 v31, v14 offset:64
	;; [unrolled: 1-line block ×7, first 2 shown]
	v_add_co_u32_e32 v4, vcc, s18, v4
	s_waitcnt lgkmcnt(7)
	v_fma_f16 v37, v29, v18, v11
	v_lshrrev_b32_e32 v11, 16, v11
	v_lshrrev_b32_e32 v17, 16, v18
	s_waitcnt lgkmcnt(6)
	v_fma_f16 v11, v30, v18, v11
	v_fma_f16 v29, v29, v22, v12
	v_lshrrev_b32_e32 v12, 16, v12
	v_lshrrev_b32_e32 v18, 16, v22
	v_fma_f16 v12, v30, v22, v12
	s_waitcnt lgkmcnt(5)
	v_fma_f16 v22, v31, v17, v37
	s_waitcnt lgkmcnt(4)
	v_fma_f16 v11, v32, v17, v11
	v_lshrrev_b32_e32 v26, 16, v19
	v_fma_f16 v17, v31, v18, v29
	v_fma_f16 v12, v32, v18, v12
	s_waitcnt lgkmcnt(3)
	v_fma_f16 v18, v33, v19, v22
	s_waitcnt lgkmcnt(2)
	v_fma_f16 v11, v34, v19, v11
	v_lshrrev_b32_e32 v38, 16, v23
	v_fma_f16 v17, v33, v23, v17
	v_fma_f16 v12, v34, v23, v12
	s_waitcnt lgkmcnt(1)
	v_fma_f16 v18, v35, v26, v18
	s_waitcnt lgkmcnt(0)
	v_fma_f16 v11, v36, v26, v11
	ds_read_u16 v19, v14 offset:256
	ds_read_u16 v22, v14 offset:288
	;; [unrolled: 1-line block ×8, first 2 shown]
	v_fma_f16 v17, v35, v38, v17
	v_fma_f16 v12, v36, v38, v12
	v_lshrrev_b32_e32 v27, 16, v20
	v_lshrrev_b32_e32 v39, 16, v24
	s_waitcnt lgkmcnt(7)
	v_fma_f16 v18, v19, v20, v18
	s_waitcnt lgkmcnt(6)
	v_fma_f16 v11, v22, v20, v11
	v_fma_f16 v17, v19, v24, v17
	;; [unrolled: 1-line block ×3, first 2 shown]
	v_addc_co_u32_e32 v5, vcc, v5, v16, vcc
	s_waitcnt lgkmcnt(5)
	v_fma_f16 v18, v23, v27, v18
	s_waitcnt lgkmcnt(4)
	v_fma_f16 v11, v26, v27, v11
	v_fma_f16 v17, v23, v39, v17
	;; [unrolled: 1-line block ×3, first 2 shown]
	s_add_u32 s12, s12, 8
	v_add_co_u32_e32 v6, vcc, 16, v6
	v_lshrrev_b32_e32 v28, 16, v21
	v_lshrrev_b32_e32 v40, 16, v25
	s_waitcnt lgkmcnt(3)
	v_fma_f16 v18, v29, v21, v18
	s_waitcnt lgkmcnt(2)
	v_fma_f16 v11, v30, v21, v11
	v_fma_f16 v17, v29, v25, v17
	;; [unrolled: 1-line block ×3, first 2 shown]
	s_addc_u32 s13, s13, 0
	v_addc_co_u32_e32 v7, vcc, 0, v7, vcc
	s_waitcnt lgkmcnt(1)
	v_fma_f16 v18, v31, v28, v18
	s_waitcnt lgkmcnt(0)
	v_fma_f16 v11, v32, v28, v11
	v_fma_f16 v17, v31, v40, v17
	;; [unrolled: 1-line block ×3, first 2 shown]
	v_cmp_lt_i64_e32 vcc, s[12:13], v[8:9]
	v_pack_b32_f16 v11, v18, v11
	v_pack_b32_f16 v12, v17, v12
	s_barrier
	s_cbranch_vccz .LBB26_7
.LBB26_3:                               ; =>This Inner Loop Header: Depth=1
	v_mov_b32_e32 v17, s13
	v_add_co_u32_e32 v18, vcc, s12, v0
	v_addc_co_u32_e32 v19, vcc, 0, v17, vcc
	v_cmp_gt_i64_e32 vcc, s[28:29], v[18:19]
	s_and_b64 s[16:17], s[0:1], vcc
	v_mov_b32_e32 v17, 0
	s_and_saveexec_b64 s[14:15], s[16:17]
	s_cbranch_execz .LBB26_5
; %bb.4:                                ;   in Loop: Header=BB26_3 Depth=1
	global_load_ushort v17, v[6:7], off
.LBB26_5:                               ;   in Loop: Header=BB26_3 Depth=1
	s_or_b64 exec, exec, s[14:15]
	s_waitcnt vmcnt(0)
	ds_write_b16 v3, v17
	v_mov_b32_e32 v17, s13
	v_add_co_u32_e32 v18, vcc, s12, v2
	v_addc_co_u32_e32 v19, vcc, 0, v17, vcc
	v_cmp_gt_i64_e32 vcc, s[28:29], v[18:19]
	s_and_b64 s[16:17], vcc, s[2:3]
	v_mov_b32_e32 v17, 0
	s_and_saveexec_b64 s[14:15], s[16:17]
	s_cbranch_execz .LBB26_2
; %bb.6:                                ;   in Loop: Header=BB26_3 Depth=1
	global_load_ushort v17, v[4:5], off
	s_branch .LBB26_2
.LBB26_7:
	s_load_dwordx4 s[24:27], s[4:5], 0x78
	s_load_dword s9, s[4:5], 0x18
	s_load_dword s28, s[4:5], 0x50
	s_load_dwordx8 s[12:19], s[4:5], 0x58
	v_mov_b32_e32 v2, s11
	s_waitcnt lgkmcnt(0)
	s_mul_i32 s0, s8, s27
	s_mul_hi_u32 s1, s8, s26
	s_add_i32 s1, s1, s0
	s_mul_i32 s0, s8, s26
	s_lshl_b64 s[0:1], s[0:1], 1
	v_add_co_u32_e32 v0, vcc, s10, v1
	s_add_u32 s26, s18, s0
	v_addc_co_u32_e32 v1, vcc, 0, v2, vcc
	v_cmp_neq_f16_e64 s[2:3], s28, 0
	s_addc_u32 s27, s19, s1
	v_cmp_gt_i64_e64 s[0:1], s[22:23], v[0:1]
	s_and_b64 vcc, exec, s[2:3]
	s_cbranch_vccnz .LBB26_20
; %bb.8:
	s_and_saveexec_b64 s[10:11], s[0:1]
	s_cbranch_execz .LBB26_18
; %bb.9:
	v_mov_b32_e32 v2, s7
	v_add_co_u32_e32 v4, vcc, s6, v10
	v_addc_co_u32_e32 v5, vcc, 0, v2, vcc
	v_mul_lo_u32 v6, v1, s24
	v_mul_lo_u32 v7, v0, s25
	v_mad_u64_u32 v[2:3], s[2:3], v0, s24, 0
	v_add3_u32 v3, v3, v7, v6
	v_lshlrev_b64 v[2:3], 1, v[2:3]
	v_mov_b32_e32 v7, s27
	v_add_co_u32_e64 v6, s[2:3], s26, v2
	v_cmp_gt_i64_e32 vcc, s[20:21], v[4:5]
	v_addc_co_u32_e64 v7, s[2:3], v7, v3, s[2:3]
	v_lshlrev_b64 v[2:3], 1, v[4:5]
	s_and_saveexec_b64 s[4:5], vcc
	s_cbranch_execz .LBB26_11
; %bb.10:
	v_add_co_u32_e64 v8, s[2:3], v6, v2
	v_addc_co_u32_e64 v9, s[2:3], v7, v3, s[2:3]
	v_mul_f16_e32 v13, s9, v11
	global_store_short v[8:9], v13, off
.LBB26_11:
	s_or_b64 exec, exec, s[4:5]
	v_add_co_u32_e64 v4, s[2:3], 16, v4
	v_addc_co_u32_e64 v5, s[2:3], 0, v5, s[2:3]
	v_cmp_gt_i64_e64 s[2:3], s[20:21], v[4:5]
	s_and_saveexec_b64 s[18:19], s[2:3]
	s_cbranch_execz .LBB26_13
; %bb.12:
	v_add_co_u32_e64 v4, s[4:5], v6, v2
	v_addc_co_u32_e64 v5, s[4:5], v7, v3, s[4:5]
	v_mul_f16_sdwa v8, v11, s9 dst_sel:DWORD dst_unused:UNUSED_PAD src0_sel:WORD_1 src1_sel:DWORD
	global_store_short v[4:5], v8, off offset:32
.LBB26_13:
	s_or_b64 exec, exec, s[18:19]
	v_add_co_u32_e64 v4, s[4:5], 16, v0
	v_addc_co_u32_e64 v5, s[4:5], 0, v1, s[4:5]
	v_cmp_gt_i64_e64 s[4:5], s[22:23], v[4:5]
	s_and_b64 exec, exec, s[4:5]
	s_cbranch_execz .LBB26_18
; %bb.14:
	s_lshl_b64 s[4:5], s[24:25], 5
	v_mov_b32_e32 v4, s5
	v_add_co_u32_e64 v5, s[4:5], s4, v6
	v_addc_co_u32_e64 v4, s[4:5], v7, v4, s[4:5]
	v_add_co_u32_e64 v2, s[4:5], v5, v2
	v_addc_co_u32_e64 v3, s[4:5], v4, v3, s[4:5]
	s_and_saveexec_b64 s[4:5], vcc
	s_cbranch_execz .LBB26_16
; %bb.15:
	v_mul_f16_e32 v4, s9, v12
	global_store_short v[2:3], v4, off
.LBB26_16:
	s_or_b64 exec, exec, s[4:5]
	s_and_b64 exec, exec, s[2:3]
	s_cbranch_execz .LBB26_18
; %bb.17:
	v_mul_f16_sdwa v4, v12, s9 dst_sel:DWORD dst_unused:UNUSED_PAD src0_sel:WORD_1 src1_sel:DWORD
	global_store_short v[2:3], v4, off offset:32
.LBB26_18:
	s_or_b64 exec, exec, s[10:11]
	s_cbranch_execz .LBB26_21
.LBB26_19:
	s_endpgm
.LBB26_20:
.LBB26_21:
	s_and_saveexec_b64 s[2:3], s[0:1]
	s_cbranch_execz .LBB26_19
; %bb.22:
	s_mul_i32 s0, s8, s17
	s_mul_hi_u32 s1, s8, s16
	s_add_i32 s1, s1, s0
	s_mul_i32 s0, s8, s16
	s_lshl_b64 s[0:1], s[0:1], 1
	s_add_u32 s2, s12, s0
	v_mov_b32_e32 v2, s7
	v_add_co_u32_e32 v4, vcc, s6, v10
	s_addc_u32 s3, s13, s1
	v_addc_co_u32_e32 v5, vcc, 0, v2, vcc
	v_mul_lo_u32 v6, v1, s14
	v_mul_lo_u32 v7, v0, s15
	v_mad_u64_u32 v[2:3], s[0:1], v0, s14, 0
	v_add3_u32 v3, v3, v7, v6
	v_mul_lo_u32 v6, v1, s24
	v_mul_lo_u32 v7, v0, s25
	v_mad_u64_u32 v[8:9], s[0:1], v0, s24, 0
	v_lshlrev_b64 v[2:3], 1, v[2:3]
	v_add3_u32 v9, v9, v7, v6
	v_mov_b32_e32 v7, s3
	v_add_co_u32_e64 v6, s[0:1], s2, v2
	v_addc_co_u32_e64 v7, s[0:1], v7, v3, s[0:1]
	v_lshlrev_b64 v[2:3], 1, v[8:9]
	v_mov_b32_e32 v9, s27
	v_add_co_u32_e64 v8, s[0:1], s26, v2
	v_cmp_gt_i64_e32 vcc, s[20:21], v[4:5]
	v_addc_co_u32_e64 v9, s[0:1], v9, v3, s[0:1]
	v_lshlrev_b64 v[2:3], 1, v[4:5]
	s_and_saveexec_b64 s[2:3], vcc
	s_cbranch_execz .LBB26_24
; %bb.23:
	v_add_co_u32_e64 v14, s[0:1], v6, v2
	v_addc_co_u32_e64 v15, s[0:1], v7, v3, s[0:1]
	global_load_ushort v10, v[14:15], off
	v_add_co_u32_e64 v14, s[0:1], v8, v2
	v_addc_co_u32_e64 v15, s[0:1], v9, v3, s[0:1]
	s_waitcnt vmcnt(0)
	v_mul_f16_e32 v10, s28, v10
	v_fma_f16 v10, v11, s9, v10
	global_store_short v[14:15], v10, off
.LBB26_24:
	s_or_b64 exec, exec, s[2:3]
	v_add_co_u32_e64 v4, s[0:1], 16, v4
	v_addc_co_u32_e64 v5, s[0:1], 0, v5, s[0:1]
	v_cmp_gt_i64_e64 s[0:1], s[20:21], v[4:5]
	s_and_saveexec_b64 s[4:5], s[0:1]
	s_cbranch_execz .LBB26_26
; %bb.25:
	v_add_co_u32_e64 v4, s[2:3], v6, v2
	v_addc_co_u32_e64 v5, s[2:3], v7, v3, s[2:3]
	global_load_ushort v4, v[4:5], off offset:32
	v_lshrrev_b32_e32 v5, 16, v11
	s_waitcnt vmcnt(0)
	v_mul_f16_e32 v4, s28, v4
	v_fma_f16 v10, v5, s9, v4
	v_add_co_u32_e64 v4, s[2:3], v8, v2
	v_addc_co_u32_e64 v5, s[2:3], v9, v3, s[2:3]
	global_store_short v[4:5], v10, off offset:32
.LBB26_26:
	s_or_b64 exec, exec, s[4:5]
	v_add_co_u32_e64 v0, s[2:3], 16, v0
	v_addc_co_u32_e64 v1, s[2:3], 0, v1, s[2:3]
	v_cmp_gt_i64_e64 s[2:3], s[22:23], v[0:1]
	s_and_b64 exec, exec, s[2:3]
	s_cbranch_execz .LBB26_19
; %bb.27:
	s_lshl_b64 s[2:3], s[14:15], 5
	v_mov_b32_e32 v0, s3
	v_add_co_u32_e64 v1, s[2:3], s2, v6
	v_addc_co_u32_e64 v4, s[2:3], v7, v0, s[2:3]
	s_lshl_b64 s[2:3], s[24:25], 5
	v_mov_b32_e32 v0, s3
	v_add_co_u32_e64 v5, s[2:3], s2, v8
	v_addc_co_u32_e64 v6, s[2:3], v9, v0, s[2:3]
	v_add_co_u32_e64 v0, s[2:3], v1, v2
	v_addc_co_u32_e64 v1, s[2:3], v4, v3, s[2:3]
	v_add_co_u32_e64 v2, s[2:3], v5, v2
	v_addc_co_u32_e64 v3, s[2:3], v6, v3, s[2:3]
	s_and_saveexec_b64 s[2:3], vcc
	s_cbranch_execz .LBB26_29
; %bb.28:
	global_load_ushort v4, v[0:1], off
	s_waitcnt vmcnt(0)
	v_mul_f16_e32 v4, s28, v4
	v_fma_f16 v4, v12, s9, v4
	global_store_short v[2:3], v4, off
.LBB26_29:
	s_or_b64 exec, exec, s[2:3]
	s_and_b64 exec, exec, s[0:1]
	s_cbranch_execz .LBB26_19
; %bb.30:
	global_load_ushort v0, v[0:1], off offset:32
	v_lshrrev_b32_e32 v1, 16, v12
	s_waitcnt vmcnt(0)
	v_mul_f16_e32 v0, s28, v0
	v_fma_f16 v0, v1, s9, v0
	global_store_short v[2:3], v0, off offset:32
	s_endpgm
	.section	.rodata,"a",@progbits
	.p2align	6, 0x0
	.amdhsa_kernel _ZN12_GLOBAL__N_135rocblas_gemm_batched_general_kernelIDF16_Li16ELi16ELi32ELi32ELi8ELi32ELi8ELi8ELi32ELc67ELc84EKDF16_S1_DF16_EEvlllT_PT11_llS4_llS2_PT12_llPT13_lli
		.amdhsa_group_segment_fixed_size 1024
		.amdhsa_private_segment_fixed_size 0
		.amdhsa_kernarg_size 140
		.amdhsa_user_sgpr_count 6
		.amdhsa_user_sgpr_private_segment_buffer 1
		.amdhsa_user_sgpr_dispatch_ptr 0
		.amdhsa_user_sgpr_queue_ptr 0
		.amdhsa_user_sgpr_kernarg_segment_ptr 1
		.amdhsa_user_sgpr_dispatch_id 0
		.amdhsa_user_sgpr_flat_scratch_init 0
		.amdhsa_user_sgpr_kernarg_preload_length 0
		.amdhsa_user_sgpr_kernarg_preload_offset 0
		.amdhsa_user_sgpr_private_segment_size 0
		.amdhsa_uses_dynamic_stack 0
		.amdhsa_system_sgpr_private_segment_wavefront_offset 0
		.amdhsa_system_sgpr_workgroup_id_x 1
		.amdhsa_system_sgpr_workgroup_id_y 1
		.amdhsa_system_sgpr_workgroup_id_z 1
		.amdhsa_system_sgpr_workgroup_info 0
		.amdhsa_system_vgpr_workitem_id 1
		.amdhsa_next_free_vgpr 41
		.amdhsa_next_free_sgpr 36
		.amdhsa_accum_offset 44
		.amdhsa_reserve_vcc 1
		.amdhsa_reserve_flat_scratch 0
		.amdhsa_float_round_mode_32 0
		.amdhsa_float_round_mode_16_64 0
		.amdhsa_float_denorm_mode_32 3
		.amdhsa_float_denorm_mode_16_64 3
		.amdhsa_dx10_clamp 1
		.amdhsa_ieee_mode 1
		.amdhsa_fp16_overflow 0
		.amdhsa_tg_split 0
		.amdhsa_exception_fp_ieee_invalid_op 0
		.amdhsa_exception_fp_denorm_src 0
		.amdhsa_exception_fp_ieee_div_zero 0
		.amdhsa_exception_fp_ieee_overflow 0
		.amdhsa_exception_fp_ieee_underflow 0
		.amdhsa_exception_fp_ieee_inexact 0
		.amdhsa_exception_int_div_zero 0
	.end_amdhsa_kernel
	.section	.text._ZN12_GLOBAL__N_135rocblas_gemm_batched_general_kernelIDF16_Li16ELi16ELi32ELi32ELi8ELi32ELi8ELi8ELi32ELc67ELc84EKDF16_S1_DF16_EEvlllT_PT11_llS4_llS2_PT12_llPT13_lli,"axG",@progbits,_ZN12_GLOBAL__N_135rocblas_gemm_batched_general_kernelIDF16_Li16ELi16ELi32ELi32ELi8ELi32ELi8ELi8ELi32ELc67ELc84EKDF16_S1_DF16_EEvlllT_PT11_llS4_llS2_PT12_llPT13_lli,comdat
.Lfunc_end26:
	.size	_ZN12_GLOBAL__N_135rocblas_gemm_batched_general_kernelIDF16_Li16ELi16ELi32ELi32ELi8ELi32ELi8ELi8ELi32ELc67ELc84EKDF16_S1_DF16_EEvlllT_PT11_llS4_llS2_PT12_llPT13_lli, .Lfunc_end26-_ZN12_GLOBAL__N_135rocblas_gemm_batched_general_kernelIDF16_Li16ELi16ELi32ELi32ELi8ELi32ELi8ELi8ELi32ELc67ELc84EKDF16_S1_DF16_EEvlllT_PT11_llS4_llS2_PT12_llPT13_lli
                                        ; -- End function
	.section	.AMDGPU.csdata,"",@progbits
; Kernel info:
; codeLenInByte = 2120
; NumSgprs: 40
; NumVgprs: 41
; NumAgprs: 0
; TotalNumVgprs: 41
; ScratchSize: 0
; MemoryBound: 0
; FloatMode: 240
; IeeeMode: 1
; LDSByteSize: 1024 bytes/workgroup (compile time only)
; SGPRBlocks: 4
; VGPRBlocks: 5
; NumSGPRsForWavesPerEU: 40
; NumVGPRsForWavesPerEU: 41
; AccumOffset: 44
; Occupancy: 8
; WaveLimiterHint : 0
; COMPUTE_PGM_RSRC2:SCRATCH_EN: 0
; COMPUTE_PGM_RSRC2:USER_SGPR: 6
; COMPUTE_PGM_RSRC2:TRAP_HANDLER: 0
; COMPUTE_PGM_RSRC2:TGID_X_EN: 1
; COMPUTE_PGM_RSRC2:TGID_Y_EN: 1
; COMPUTE_PGM_RSRC2:TGID_Z_EN: 1
; COMPUTE_PGM_RSRC2:TIDIG_COMP_CNT: 1
; COMPUTE_PGM_RSRC3_GFX90A:ACCUM_OFFSET: 10
; COMPUTE_PGM_RSRC3_GFX90A:TG_SPLIT: 0
	.section	.text._ZN12_GLOBAL__N_135rocblas_gemm_batched_general_kernelIDF16_Li16ELi16ELi32ELi32ELi8ELi32ELi8ELi8ELi32ELc78ELc67EKDF16_S1_DF16_EEvlllT_PT11_llS4_llS2_PT12_llPT13_lli,"axG",@progbits,_ZN12_GLOBAL__N_135rocblas_gemm_batched_general_kernelIDF16_Li16ELi16ELi32ELi32ELi8ELi32ELi8ELi8ELi32ELc78ELc67EKDF16_S1_DF16_EEvlllT_PT11_llS4_llS2_PT12_llPT13_lli,comdat
	.globl	_ZN12_GLOBAL__N_135rocblas_gemm_batched_general_kernelIDF16_Li16ELi16ELi32ELi32ELi8ELi32ELi8ELi8ELi32ELc78ELc67EKDF16_S1_DF16_EEvlllT_PT11_llS4_llS2_PT12_llPT13_lli ; -- Begin function _ZN12_GLOBAL__N_135rocblas_gemm_batched_general_kernelIDF16_Li16ELi16ELi32ELi32ELi8ELi32ELi8ELi8ELi32ELc78ELc67EKDF16_S1_DF16_EEvlllT_PT11_llS4_llS2_PT12_llPT13_lli
	.p2align	8
	.type	_ZN12_GLOBAL__N_135rocblas_gemm_batched_general_kernelIDF16_Li16ELi16ELi32ELi32ELi8ELi32ELi8ELi8ELi32ELc78ELc67EKDF16_S1_DF16_EEvlllT_PT11_llS4_llS2_PT12_llPT13_lli,@function
_ZN12_GLOBAL__N_135rocblas_gemm_batched_general_kernelIDF16_Li16ELi16ELi32ELi32ELi8ELi32ELi8ELi8ELi32ELc78ELc67EKDF16_S1_DF16_EEvlllT_PT11_llS4_llS2_PT12_llPT13_lli: ; @_ZN12_GLOBAL__N_135rocblas_gemm_batched_general_kernelIDF16_Li16ELi16ELi32ELi32ELi8ELi32ELi8ELi8ELi32ELc78ELc67EKDF16_S1_DF16_EEvlllT_PT11_llS4_llS2_PT12_llPT13_lli
; %bb.0:
	s_load_dwordx4 s[20:23], s[4:5], 0x0
	s_load_dwordx2 s[30:31], s[4:5], 0x10
	s_mov_b32 s34, s7
	s_ashr_i32 s7, s6, 31
	s_ashr_i32 s35, s34, 31
	v_and_b32_e32 v10, 0x3ff, v0
	s_waitcnt lgkmcnt(0)
	v_cmp_lt_i64_e64 s[0:1], s[30:31], 1
	v_bfe_u32 v1, v0, 10, 10
	s_lshl_b64 s[10:11], s[6:7], 5
	s_lshl_b64 s[28:29], s[34:35], 5
	s_and_b64 vcc, exec, s[0:1]
	v_mov_b32_e32 v12, 0
	v_mov_b32_e32 v11, 0
	s_cbranch_vccnz .LBB27_7
; %bb.1:
	v_lshlrev_b32_e32 v8, 4, v1
	v_add_u32_e32 v3, v8, v10
	s_load_dwordx8 s[12:19], s[4:5], 0x20
	s_load_dwordx4 s[24:27], s[4:5], 0x40
	v_lshrrev_b32_e32 v9, 3, v3
	v_mov_b32_e32 v5, s29
	v_add_co_u32_e32 v4, vcc, s28, v9
	v_and_b32_e32 v2, 7, v10
	v_addc_co_u32_e32 v5, vcc, 0, v5, vcc
	v_cmp_gt_i64_e64 s[2:3], s[22:23], v[4:5]
	v_lshlrev_b32_e32 v4, 1, v2
	v_lshrrev_b32_e32 v0, 5, v3
	v_and_b32_e32 v3, 31, v3
	v_lshl_or_b32 v4, v9, 4, v4
	v_mov_b32_e32 v7, s11
	v_or_b32_e32 v6, s10, v3
	v_add_u32_e32 v13, 0x200, v4
	s_waitcnt lgkmcnt(0)
	s_mul_i32 s9, s27, s8
	s_mul_hi_u32 s27, s26, s8
	v_mad_u64_u32 v[4:5], s[36:37], s24, v2, 0
	v_cmp_gt_i64_e64 s[0:1], s[20:21], v[6:7]
	s_add_i32 s27, s27, s9
	s_mul_i32 s26, s26, s8
	v_mov_b32_e32 v6, v5
	s_lshl_b64 s[26:27], s[26:27], 1
	v_mad_u64_u32 v[6:7], s[36:37], s25, v2, v[6:7]
	s_lshl_b64 s[34:35], s[34:35], 6
	v_mov_b32_e32 v5, v6
	s_add_u32 s9, s34, s26
	v_lshlrev_b64 v[4:5], 1, v[4:5]
	s_addc_u32 s26, s35, s27
	v_mov_b32_e32 v6, s26
	v_add_co_u32_e32 v4, vcc, s9, v4
	v_addc_co_u32_e32 v5, vcc, v6, v5, vcc
	v_lshlrev_b32_e32 v6, 1, v9
	v_add_co_u32_e32 v4, vcc, v4, v6
	v_addc_co_u32_e32 v5, vcc, 0, v5, vcc
	v_mov_b32_e32 v6, s19
	v_add_co_u32_e32 v4, vcc, s18, v4
	v_addc_co_u32_e32 v5, vcc, v6, v5, vcc
	s_lshl_b64 s[18:19], s[24:25], 4
	v_mad_u64_u32 v[6:7], s[24:25], s14, v0, 0
	s_mul_i32 s9, s17, s8
	s_mul_hi_u32 s17, s16, s8
	v_add_u32_e32 v15, 0x200, v8
	v_mov_b32_e32 v8, v7
	s_add_i32 s17, s17, s9
	s_mul_i32 s16, s16, s8
	v_mad_u64_u32 v[8:9], s[24:25], s15, v0, v[8:9]
	s_lshl_b64 s[16:17], s[16:17], 1
	s_lshl_b64 s[6:7], s[6:7], 6
	v_mov_b32_e32 v7, v8
	s_add_u32 s6, s6, s16
	v_lshlrev_b64 v[6:7], 1, v[6:7]
	s_addc_u32 s7, s7, s17
	v_mov_b32_e32 v8, s7
	v_add_co_u32_e32 v6, vcc, s6, v6
	v_lshlrev_b32_e32 v12, 1, v3
	v_addc_co_u32_e32 v7, vcc, v8, v7, vcc
	v_add_co_u32_e32 v6, vcc, v6, v12
	v_addc_co_u32_e32 v7, vcc, 0, v7, vcc
	v_mov_b32_e32 v8, s13
	v_add_co_u32_e32 v6, vcc, s12, v6
	s_lshl_b64 s[6:7], s[14:15], 4
	v_mov_b32_e32 v11, 0
	v_lshl_or_b32 v3, v0, 6, v12
	v_lshlrev_b32_e32 v14, 1, v10
	v_addc_co_u32_e32 v7, vcc, v8, v7, vcc
	s_mov_b64 s[12:13], 0
	v_mov_b32_e32 v16, s19
	v_mov_b32_e32 v17, s7
	v_pk_mov_b32 v[8:9], s[30:31], s[30:31] op_sel:[0,1]
	v_mov_b32_e32 v12, 0
	s_branch .LBB27_3
.LBB27_2:                               ;   in Loop: Header=BB27_3 Depth=1
	s_or_b64 exec, exec, s[14:15]
	s_waitcnt vmcnt(0)
	ds_write_b16 v13, v18
	s_waitcnt lgkmcnt(0)
	s_barrier
	ds_read_b128 v[18:21], v15
	ds_read_b128 v[22:25], v15 offset:256
	ds_read_u16 v30, v14
	ds_read_u16 v31, v14 offset:32
	ds_read_u16 v32, v14 offset:64
	;; [unrolled: 1-line block ×7, first 2 shown]
	v_add_co_u32_e32 v4, vcc, s18, v4
	s_waitcnt lgkmcnt(7)
	v_fma_f16 v38, v30, v18, v11
	v_lshrrev_b32_e32 v11, 16, v11
	v_lshrrev_b32_e32 v26, 16, v18
	s_waitcnt lgkmcnt(6)
	v_fma_f16 v11, v31, v18, v11
	v_fma_f16 v30, v30, v22, v12
	v_lshrrev_b32_e32 v12, 16, v12
	v_lshrrev_b32_e32 v18, 16, v22
	v_fma_f16 v12, v31, v22, v12
	s_waitcnt lgkmcnt(5)
	v_fma_f16 v22, v32, v26, v38
	s_waitcnt lgkmcnt(4)
	v_fma_f16 v11, v33, v26, v11
	v_lshrrev_b32_e32 v27, 16, v19
	v_fma_f16 v26, v32, v18, v30
	v_fma_f16 v12, v33, v18, v12
	s_waitcnt lgkmcnt(3)
	v_fma_f16 v18, v34, v19, v22
	s_waitcnt lgkmcnt(2)
	v_fma_f16 v11, v35, v19, v11
	v_lshrrev_b32_e32 v39, 16, v23
	v_fma_f16 v19, v34, v23, v26
	v_fma_f16 v12, v35, v23, v12
	s_waitcnt lgkmcnt(1)
	v_fma_f16 v18, v36, v27, v18
	s_waitcnt lgkmcnt(0)
	v_fma_f16 v11, v37, v27, v11
	ds_read_u16 v22, v14 offset:256
	ds_read_u16 v23, v14 offset:288
	;; [unrolled: 1-line block ×8, first 2 shown]
	v_fma_f16 v19, v36, v39, v19
	v_fma_f16 v12, v37, v39, v12
	v_lshrrev_b32_e32 v28, 16, v20
	v_lshrrev_b32_e32 v40, 16, v24
	s_waitcnt lgkmcnt(7)
	v_fma_f16 v18, v22, v20, v18
	s_waitcnt lgkmcnt(6)
	v_fma_f16 v11, v23, v20, v11
	v_fma_f16 v19, v22, v24, v19
	;; [unrolled: 1-line block ×3, first 2 shown]
	v_addc_co_u32_e32 v5, vcc, v5, v16, vcc
	s_waitcnt lgkmcnt(5)
	v_fma_f16 v18, v26, v28, v18
	s_waitcnt lgkmcnt(4)
	v_fma_f16 v11, v27, v28, v11
	v_fma_f16 v19, v26, v40, v19
	;; [unrolled: 1-line block ×3, first 2 shown]
	s_add_u32 s12, s12, 8
	v_add_co_u32_e32 v6, vcc, s6, v6
	v_lshrrev_b32_e32 v29, 16, v21
	v_lshrrev_b32_e32 v41, 16, v25
	s_waitcnt lgkmcnt(3)
	v_fma_f16 v18, v30, v21, v18
	s_waitcnt lgkmcnt(2)
	v_fma_f16 v11, v31, v21, v11
	v_fma_f16 v19, v30, v25, v19
	;; [unrolled: 1-line block ×3, first 2 shown]
	s_addc_u32 s13, s13, 0
	v_addc_co_u32_e32 v7, vcc, v7, v17, vcc
	s_waitcnt lgkmcnt(1)
	v_fma_f16 v18, v32, v29, v18
	s_waitcnt lgkmcnt(0)
	v_fma_f16 v11, v33, v29, v11
	v_fma_f16 v19, v32, v41, v19
	;; [unrolled: 1-line block ×3, first 2 shown]
	v_cmp_lt_i64_e32 vcc, s[12:13], v[8:9]
	v_pack_b32_f16 v11, v18, v11
	v_pack_b32_f16 v12, v19, v12
	s_barrier
	s_cbranch_vccz .LBB27_7
.LBB27_3:                               ; =>This Inner Loop Header: Depth=1
	v_mov_b32_e32 v19, s13
	v_add_co_u32_e32 v18, vcc, s12, v0
	v_addc_co_u32_e32 v19, vcc, 0, v19, vcc
	v_cmp_gt_i64_e32 vcc, s[30:31], v[18:19]
	s_and_b64 s[16:17], s[0:1], vcc
	v_mov_b32_e32 v18, 0
	s_and_saveexec_b64 s[14:15], s[16:17]
	s_cbranch_execz .LBB27_5
; %bb.4:                                ;   in Loop: Header=BB27_3 Depth=1
	global_load_ushort v18, v[6:7], off
.LBB27_5:                               ;   in Loop: Header=BB27_3 Depth=1
	s_or_b64 exec, exec, s[14:15]
	s_waitcnt vmcnt(0)
	ds_write_b16 v3, v18
	v_mov_b32_e32 v19, s13
	v_add_co_u32_e32 v18, vcc, s12, v2
	v_addc_co_u32_e32 v19, vcc, 0, v19, vcc
	v_cmp_gt_i64_e32 vcc, s[30:31], v[18:19]
	s_and_b64 s[16:17], vcc, s[2:3]
	v_mov_b32_e32 v18, 0
	s_and_saveexec_b64 s[14:15], s[16:17]
	s_cbranch_execz .LBB27_2
; %bb.6:                                ;   in Loop: Header=BB27_3 Depth=1
	global_load_ushort v18, v[4:5], off
	s_branch .LBB27_2
.LBB27_7:
	s_load_dwordx4 s[24:27], s[4:5], 0x78
	s_load_dword s9, s[4:5], 0x18
	s_load_dword s30, s[4:5], 0x50
	s_load_dwordx8 s[12:19], s[4:5], 0x58
	v_mov_b32_e32 v2, s29
	s_waitcnt lgkmcnt(0)
	s_mul_i32 s0, s8, s27
	s_mul_hi_u32 s1, s8, s26
	s_add_i32 s1, s1, s0
	s_mul_i32 s0, s8, s26
	s_lshl_b64 s[0:1], s[0:1], 1
	v_add_co_u32_e32 v0, vcc, s28, v1
	s_add_u32 s26, s18, s0
	v_addc_co_u32_e32 v1, vcc, 0, v2, vcc
	v_cmp_neq_f16_e64 s[2:3], s30, 0
	s_addc_u32 s27, s19, s1
	v_cmp_gt_i64_e64 s[0:1], s[22:23], v[0:1]
	s_and_b64 vcc, exec, s[2:3]
	s_cbranch_vccnz .LBB27_20
; %bb.8:
	s_and_saveexec_b64 s[6:7], s[0:1]
	s_cbranch_execz .LBB27_18
; %bb.9:
	v_mov_b32_e32 v2, s11
	v_add_co_u32_e32 v4, vcc, s10, v10
	v_addc_co_u32_e32 v5, vcc, 0, v2, vcc
	v_mul_lo_u32 v6, v1, s24
	v_mul_lo_u32 v7, v0, s25
	v_mad_u64_u32 v[2:3], s[2:3], v0, s24, 0
	v_add3_u32 v3, v3, v7, v6
	v_lshlrev_b64 v[2:3], 1, v[2:3]
	v_mov_b32_e32 v7, s27
	v_add_co_u32_e64 v6, s[2:3], s26, v2
	v_cmp_gt_i64_e32 vcc, s[20:21], v[4:5]
	v_addc_co_u32_e64 v7, s[2:3], v7, v3, s[2:3]
	v_lshlrev_b64 v[2:3], 1, v[4:5]
	s_and_saveexec_b64 s[4:5], vcc
	s_cbranch_execz .LBB27_11
; %bb.10:
	v_add_co_u32_e64 v8, s[2:3], v6, v2
	v_addc_co_u32_e64 v9, s[2:3], v7, v3, s[2:3]
	v_mul_f16_e32 v13, s9, v11
	global_store_short v[8:9], v13, off
.LBB27_11:
	s_or_b64 exec, exec, s[4:5]
	v_add_co_u32_e64 v4, s[2:3], 16, v4
	v_addc_co_u32_e64 v5, s[2:3], 0, v5, s[2:3]
	v_cmp_gt_i64_e64 s[2:3], s[20:21], v[4:5]
	s_and_saveexec_b64 s[18:19], s[2:3]
	s_cbranch_execz .LBB27_13
; %bb.12:
	v_add_co_u32_e64 v4, s[4:5], v6, v2
	v_addc_co_u32_e64 v5, s[4:5], v7, v3, s[4:5]
	v_mul_f16_sdwa v8, v11, s9 dst_sel:DWORD dst_unused:UNUSED_PAD src0_sel:WORD_1 src1_sel:DWORD
	global_store_short v[4:5], v8, off offset:32
.LBB27_13:
	s_or_b64 exec, exec, s[18:19]
	v_add_co_u32_e64 v4, s[4:5], 16, v0
	v_addc_co_u32_e64 v5, s[4:5], 0, v1, s[4:5]
	v_cmp_gt_i64_e64 s[4:5], s[22:23], v[4:5]
	s_and_b64 exec, exec, s[4:5]
	s_cbranch_execz .LBB27_18
; %bb.14:
	s_lshl_b64 s[4:5], s[24:25], 5
	v_mov_b32_e32 v4, s5
	v_add_co_u32_e64 v5, s[4:5], s4, v6
	v_addc_co_u32_e64 v4, s[4:5], v7, v4, s[4:5]
	v_add_co_u32_e64 v2, s[4:5], v5, v2
	v_addc_co_u32_e64 v3, s[4:5], v4, v3, s[4:5]
	s_and_saveexec_b64 s[4:5], vcc
	s_cbranch_execz .LBB27_16
; %bb.15:
	v_mul_f16_e32 v4, s9, v12
	global_store_short v[2:3], v4, off
.LBB27_16:
	s_or_b64 exec, exec, s[4:5]
	s_and_b64 exec, exec, s[2:3]
	s_cbranch_execz .LBB27_18
; %bb.17:
	v_mul_f16_sdwa v4, v12, s9 dst_sel:DWORD dst_unused:UNUSED_PAD src0_sel:WORD_1 src1_sel:DWORD
	global_store_short v[2:3], v4, off offset:32
.LBB27_18:
	s_or_b64 exec, exec, s[6:7]
	s_cbranch_execz .LBB27_21
.LBB27_19:
	s_endpgm
.LBB27_20:
.LBB27_21:
	s_and_saveexec_b64 s[2:3], s[0:1]
	s_cbranch_execz .LBB27_19
; %bb.22:
	s_mul_i32 s0, s8, s17
	s_mul_hi_u32 s1, s8, s16
	s_add_i32 s1, s1, s0
	s_mul_i32 s0, s8, s16
	s_lshl_b64 s[0:1], s[0:1], 1
	s_add_u32 s2, s12, s0
	v_mov_b32_e32 v2, s11
	v_add_co_u32_e32 v4, vcc, s10, v10
	s_addc_u32 s3, s13, s1
	v_addc_co_u32_e32 v5, vcc, 0, v2, vcc
	v_mul_lo_u32 v6, v1, s14
	v_mul_lo_u32 v7, v0, s15
	v_mad_u64_u32 v[2:3], s[0:1], v0, s14, 0
	v_add3_u32 v3, v3, v7, v6
	v_mul_lo_u32 v6, v1, s24
	v_mul_lo_u32 v7, v0, s25
	v_mad_u64_u32 v[8:9], s[0:1], v0, s24, 0
	v_lshlrev_b64 v[2:3], 1, v[2:3]
	v_add3_u32 v9, v9, v7, v6
	v_mov_b32_e32 v7, s3
	v_add_co_u32_e64 v6, s[0:1], s2, v2
	v_addc_co_u32_e64 v7, s[0:1], v7, v3, s[0:1]
	v_lshlrev_b64 v[2:3], 1, v[8:9]
	v_mov_b32_e32 v9, s27
	v_add_co_u32_e64 v8, s[0:1], s26, v2
	v_cmp_gt_i64_e32 vcc, s[20:21], v[4:5]
	v_addc_co_u32_e64 v9, s[0:1], v9, v3, s[0:1]
	v_lshlrev_b64 v[2:3], 1, v[4:5]
	s_and_saveexec_b64 s[2:3], vcc
	s_cbranch_execz .LBB27_24
; %bb.23:
	v_add_co_u32_e64 v14, s[0:1], v6, v2
	v_addc_co_u32_e64 v15, s[0:1], v7, v3, s[0:1]
	global_load_ushort v10, v[14:15], off
	v_add_co_u32_e64 v14, s[0:1], v8, v2
	v_addc_co_u32_e64 v15, s[0:1], v9, v3, s[0:1]
	s_waitcnt vmcnt(0)
	v_mul_f16_e32 v10, s30, v10
	v_fma_f16 v10, v11, s9, v10
	global_store_short v[14:15], v10, off
.LBB27_24:
	s_or_b64 exec, exec, s[2:3]
	v_add_co_u32_e64 v4, s[0:1], 16, v4
	v_addc_co_u32_e64 v5, s[0:1], 0, v5, s[0:1]
	v_cmp_gt_i64_e64 s[0:1], s[20:21], v[4:5]
	s_and_saveexec_b64 s[4:5], s[0:1]
	s_cbranch_execz .LBB27_26
; %bb.25:
	v_add_co_u32_e64 v4, s[2:3], v6, v2
	v_addc_co_u32_e64 v5, s[2:3], v7, v3, s[2:3]
	global_load_ushort v4, v[4:5], off offset:32
	v_lshrrev_b32_e32 v5, 16, v11
	s_waitcnt vmcnt(0)
	v_mul_f16_e32 v4, s30, v4
	v_fma_f16 v10, v5, s9, v4
	v_add_co_u32_e64 v4, s[2:3], v8, v2
	v_addc_co_u32_e64 v5, s[2:3], v9, v3, s[2:3]
	global_store_short v[4:5], v10, off offset:32
.LBB27_26:
	s_or_b64 exec, exec, s[4:5]
	v_add_co_u32_e64 v0, s[2:3], 16, v0
	v_addc_co_u32_e64 v1, s[2:3], 0, v1, s[2:3]
	v_cmp_gt_i64_e64 s[2:3], s[22:23], v[0:1]
	s_and_b64 exec, exec, s[2:3]
	s_cbranch_execz .LBB27_19
; %bb.27:
	s_lshl_b64 s[2:3], s[14:15], 5
	v_mov_b32_e32 v0, s3
	v_add_co_u32_e64 v1, s[2:3], s2, v6
	v_addc_co_u32_e64 v4, s[2:3], v7, v0, s[2:3]
	s_lshl_b64 s[2:3], s[24:25], 5
	v_mov_b32_e32 v0, s3
	v_add_co_u32_e64 v5, s[2:3], s2, v8
	v_addc_co_u32_e64 v6, s[2:3], v9, v0, s[2:3]
	v_add_co_u32_e64 v0, s[2:3], v1, v2
	v_addc_co_u32_e64 v1, s[2:3], v4, v3, s[2:3]
	v_add_co_u32_e64 v2, s[2:3], v5, v2
	v_addc_co_u32_e64 v3, s[2:3], v6, v3, s[2:3]
	s_and_saveexec_b64 s[2:3], vcc
	s_cbranch_execz .LBB27_29
; %bb.28:
	global_load_ushort v4, v[0:1], off
	s_waitcnt vmcnt(0)
	v_mul_f16_e32 v4, s30, v4
	v_fma_f16 v4, v12, s9, v4
	global_store_short v[2:3], v4, off
.LBB27_29:
	s_or_b64 exec, exec, s[2:3]
	s_and_b64 exec, exec, s[0:1]
	s_cbranch_execz .LBB27_19
; %bb.30:
	global_load_ushort v0, v[0:1], off offset:32
	v_lshrrev_b32_e32 v1, 16, v12
	s_waitcnt vmcnt(0)
	v_mul_f16_e32 v0, s30, v0
	v_fma_f16 v0, v1, s9, v0
	global_store_short v[2:3], v0, off offset:32
	s_endpgm
	.section	.rodata,"a",@progbits
	.p2align	6, 0x0
	.amdhsa_kernel _ZN12_GLOBAL__N_135rocblas_gemm_batched_general_kernelIDF16_Li16ELi16ELi32ELi32ELi8ELi32ELi8ELi8ELi32ELc78ELc67EKDF16_S1_DF16_EEvlllT_PT11_llS4_llS2_PT12_llPT13_lli
		.amdhsa_group_segment_fixed_size 1024
		.amdhsa_private_segment_fixed_size 0
		.amdhsa_kernarg_size 140
		.amdhsa_user_sgpr_count 6
		.amdhsa_user_sgpr_private_segment_buffer 1
		.amdhsa_user_sgpr_dispatch_ptr 0
		.amdhsa_user_sgpr_queue_ptr 0
		.amdhsa_user_sgpr_kernarg_segment_ptr 1
		.amdhsa_user_sgpr_dispatch_id 0
		.amdhsa_user_sgpr_flat_scratch_init 0
		.amdhsa_user_sgpr_kernarg_preload_length 0
		.amdhsa_user_sgpr_kernarg_preload_offset 0
		.amdhsa_user_sgpr_private_segment_size 0
		.amdhsa_uses_dynamic_stack 0
		.amdhsa_system_sgpr_private_segment_wavefront_offset 0
		.amdhsa_system_sgpr_workgroup_id_x 1
		.amdhsa_system_sgpr_workgroup_id_y 1
		.amdhsa_system_sgpr_workgroup_id_z 1
		.amdhsa_system_sgpr_workgroup_info 0
		.amdhsa_system_vgpr_workitem_id 1
		.amdhsa_next_free_vgpr 42
		.amdhsa_next_free_sgpr 38
		.amdhsa_accum_offset 44
		.amdhsa_reserve_vcc 1
		.amdhsa_reserve_flat_scratch 0
		.amdhsa_float_round_mode_32 0
		.amdhsa_float_round_mode_16_64 0
		.amdhsa_float_denorm_mode_32 3
		.amdhsa_float_denorm_mode_16_64 3
		.amdhsa_dx10_clamp 1
		.amdhsa_ieee_mode 1
		.amdhsa_fp16_overflow 0
		.amdhsa_tg_split 0
		.amdhsa_exception_fp_ieee_invalid_op 0
		.amdhsa_exception_fp_denorm_src 0
		.amdhsa_exception_fp_ieee_div_zero 0
		.amdhsa_exception_fp_ieee_overflow 0
		.amdhsa_exception_fp_ieee_underflow 0
		.amdhsa_exception_fp_ieee_inexact 0
		.amdhsa_exception_int_div_zero 0
	.end_amdhsa_kernel
	.section	.text._ZN12_GLOBAL__N_135rocblas_gemm_batched_general_kernelIDF16_Li16ELi16ELi32ELi32ELi8ELi32ELi8ELi8ELi32ELc78ELc67EKDF16_S1_DF16_EEvlllT_PT11_llS4_llS2_PT12_llPT13_lli,"axG",@progbits,_ZN12_GLOBAL__N_135rocblas_gemm_batched_general_kernelIDF16_Li16ELi16ELi32ELi32ELi8ELi32ELi8ELi8ELi32ELc78ELc67EKDF16_S1_DF16_EEvlllT_PT11_llS4_llS2_PT12_llPT13_lli,comdat
.Lfunc_end27:
	.size	_ZN12_GLOBAL__N_135rocblas_gemm_batched_general_kernelIDF16_Li16ELi16ELi32ELi32ELi8ELi32ELi8ELi8ELi32ELc78ELc67EKDF16_S1_DF16_EEvlllT_PT11_llS4_llS2_PT12_llPT13_lli, .Lfunc_end27-_ZN12_GLOBAL__N_135rocblas_gemm_batched_general_kernelIDF16_Li16ELi16ELi32ELi32ELi8ELi32ELi8ELi8ELi32ELc78ELc67EKDF16_S1_DF16_EEvlllT_PT11_llS4_llS2_PT12_llPT13_lli
                                        ; -- End function
	.section	.AMDGPU.csdata,"",@progbits
; Kernel info:
; codeLenInByte = 2116
; NumSgprs: 42
; NumVgprs: 42
; NumAgprs: 0
; TotalNumVgprs: 42
; ScratchSize: 0
; MemoryBound: 0
; FloatMode: 240
; IeeeMode: 1
; LDSByteSize: 1024 bytes/workgroup (compile time only)
; SGPRBlocks: 5
; VGPRBlocks: 5
; NumSGPRsForWavesPerEU: 42
; NumVGPRsForWavesPerEU: 42
; AccumOffset: 44
; Occupancy: 8
; WaveLimiterHint : 0
; COMPUTE_PGM_RSRC2:SCRATCH_EN: 0
; COMPUTE_PGM_RSRC2:USER_SGPR: 6
; COMPUTE_PGM_RSRC2:TRAP_HANDLER: 0
; COMPUTE_PGM_RSRC2:TGID_X_EN: 1
; COMPUTE_PGM_RSRC2:TGID_Y_EN: 1
; COMPUTE_PGM_RSRC2:TGID_Z_EN: 1
; COMPUTE_PGM_RSRC2:TIDIG_COMP_CNT: 1
; COMPUTE_PGM_RSRC3_GFX90A:ACCUM_OFFSET: 10
; COMPUTE_PGM_RSRC3_GFX90A:TG_SPLIT: 0
	.section	.text._ZN12_GLOBAL__N_135rocblas_gemm_batched_general_kernelIDF16_Li16ELi16ELi32ELi32ELi8ELi32ELi8ELi8ELi32ELc84ELc67EKDF16_S1_DF16_EEvlllT_PT11_llS4_llS2_PT12_llPT13_lli,"axG",@progbits,_ZN12_GLOBAL__N_135rocblas_gemm_batched_general_kernelIDF16_Li16ELi16ELi32ELi32ELi8ELi32ELi8ELi8ELi32ELc84ELc67EKDF16_S1_DF16_EEvlllT_PT11_llS4_llS2_PT12_llPT13_lli,comdat
	.globl	_ZN12_GLOBAL__N_135rocblas_gemm_batched_general_kernelIDF16_Li16ELi16ELi32ELi32ELi8ELi32ELi8ELi8ELi32ELc84ELc67EKDF16_S1_DF16_EEvlllT_PT11_llS4_llS2_PT12_llPT13_lli ; -- Begin function _ZN12_GLOBAL__N_135rocblas_gemm_batched_general_kernelIDF16_Li16ELi16ELi32ELi32ELi8ELi32ELi8ELi8ELi32ELc84ELc67EKDF16_S1_DF16_EEvlllT_PT11_llS4_llS2_PT12_llPT13_lli
	.p2align	8
	.type	_ZN12_GLOBAL__N_135rocblas_gemm_batched_general_kernelIDF16_Li16ELi16ELi32ELi32ELi8ELi32ELi8ELi8ELi32ELc84ELc67EKDF16_S1_DF16_EEvlllT_PT11_llS4_llS2_PT12_llPT13_lli,@function
_ZN12_GLOBAL__N_135rocblas_gemm_batched_general_kernelIDF16_Li16ELi16ELi32ELi32ELi8ELi32ELi8ELi8ELi32ELc84ELc67EKDF16_S1_DF16_EEvlllT_PT11_llS4_llS2_PT12_llPT13_lli: ; @_ZN12_GLOBAL__N_135rocblas_gemm_batched_general_kernelIDF16_Li16ELi16ELi32ELi32ELi8ELi32ELi8ELi8ELi32ELc84ELc67EKDF16_S1_DF16_EEvlllT_PT11_llS4_llS2_PT12_llPT13_lli
; %bb.0:
	s_load_dwordx4 s[20:23], s[4:5], 0x0
	s_load_dwordx2 s[28:29], s[4:5], 0x10
	s_mov_b32 s30, s7
	s_ashr_i32 s7, s6, 31
	s_ashr_i32 s31, s30, 31
	v_and_b32_e32 v10, 0x3ff, v0
	s_waitcnt lgkmcnt(0)
	v_cmp_lt_i64_e64 s[0:1], s[28:29], 1
	v_bfe_u32 v1, v0, 10, 10
	s_lshl_b64 s[6:7], s[6:7], 5
	s_lshl_b64 s[10:11], s[30:31], 5
	s_and_b64 vcc, exec, s[0:1]
	v_mov_b32_e32 v12, 0
	v_mov_b32_e32 v11, 0
	s_cbranch_vccnz .LBB28_7
; %bb.1:
	v_lshlrev_b32_e32 v8, 4, v1
	v_add_u32_e32 v3, v8, v10
	s_load_dwordx8 s[12:19], s[4:5], 0x20
	s_load_dwordx4 s[24:27], s[4:5], 0x40
	v_lshrrev_b32_e32 v9, 3, v3
	v_mov_b32_e32 v5, s11
	v_add_co_u32_e32 v4, vcc, s10, v9
	v_and_b32_e32 v2, 7, v10
	v_addc_co_u32_e32 v5, vcc, 0, v5, vcc
	v_cmp_gt_i64_e64 s[2:3], s[22:23], v[4:5]
	v_lshlrev_b32_e32 v4, 1, v2
	v_and_b32_e32 v12, 31, v3
	v_lshl_or_b32 v4, v9, 4, v4
	v_mov_b32_e32 v7, s7
	v_or_b32_e32 v6, s6, v12
	v_add_u32_e32 v13, 0x200, v4
	s_waitcnt lgkmcnt(0)
	s_mul_i32 s9, s27, s8
	s_mul_hi_u32 s27, s26, s8
	v_mad_u64_u32 v[4:5], s[34:35], s24, v2, 0
	v_cmp_gt_i64_e64 s[0:1], s[20:21], v[6:7]
	s_add_i32 s27, s27, s9
	s_mul_i32 s26, s26, s8
	v_mov_b32_e32 v6, v5
	s_lshl_b64 s[26:27], s[26:27], 1
	v_mad_u64_u32 v[6:7], s[34:35], s25, v2, v[6:7]
	s_lshl_b64 s[30:31], s[30:31], 6
	v_mov_b32_e32 v5, v6
	s_add_u32 s9, s30, s26
	v_lshlrev_b64 v[4:5], 1, v[4:5]
	s_addc_u32 s26, s31, s27
	v_mov_b32_e32 v6, s26
	v_add_co_u32_e32 v4, vcc, s9, v4
	v_addc_co_u32_e32 v5, vcc, v6, v5, vcc
	v_lshlrev_b32_e32 v6, 1, v9
	v_add_co_u32_e32 v4, vcc, v4, v6
	v_addc_co_u32_e32 v5, vcc, 0, v5, vcc
	v_mov_b32_e32 v6, s19
	v_add_co_u32_e32 v4, vcc, s18, v4
	v_addc_co_u32_e32 v5, vcc, v6, v5, vcc
	v_mov_b32_e32 v6, s7
	v_add_co_u32_e32 v7, vcc, s6, v12
	v_addc_co_u32_e32 v6, vcc, 0, v6, vcc
	v_add_u32_e32 v15, 0x200, v8
	v_mul_lo_u32 v8, s15, v7
	v_mul_lo_u32 v9, s14, v6
	v_mad_u64_u32 v[6:7], s[14:15], s14, v7, 0
	s_mul_i32 s9, s17, s8
	s_mul_hi_u32 s14, s16, s8
	v_add3_u32 v7, v7, v9, v8
	s_add_i32 s15, s14, s9
	s_mul_i32 s14, s16, s8
	v_lshlrev_b64 v[6:7], 1, v[6:7]
	s_lshl_b64 s[14:15], s[14:15], 1
	v_lshrrev_b32_e32 v0, 5, v3
	v_mov_b32_e32 v8, s15
	v_add_co_u32_e32 v6, vcc, s14, v6
	v_addc_co_u32_e32 v7, vcc, v7, v8, vcc
	v_lshlrev_b32_e32 v8, 1, v0
	v_add_co_u32_e32 v6, vcc, v6, v8
	v_addc_co_u32_e32 v7, vcc, 0, v7, vcc
	v_lshlrev_b32_e32 v3, 1, v12
	s_lshl_b64 s[18:19], s[24:25], 4
	v_mov_b32_e32 v8, s13
	v_add_co_u32_e32 v6, vcc, s12, v6
	v_mov_b32_e32 v11, 0
	v_lshl_or_b32 v3, v0, 6, v3
	v_lshlrev_b32_e32 v14, 1, v10
	v_addc_co_u32_e32 v7, vcc, v8, v7, vcc
	s_mov_b64 s[12:13], 0
	v_mov_b32_e32 v16, s19
	v_pk_mov_b32 v[8:9], s[28:29], s[28:29] op_sel:[0,1]
	v_mov_b32_e32 v12, 0
	s_branch .LBB28_3
.LBB28_2:                               ;   in Loop: Header=BB28_3 Depth=1
	s_or_b64 exec, exec, s[14:15]
	s_waitcnt vmcnt(0)
	ds_write_b16 v13, v17
	s_waitcnt lgkmcnt(0)
	s_barrier
	ds_read_b128 v[18:21], v15
	ds_read_b128 v[22:25], v15 offset:256
	ds_read_u16 v29, v14
	ds_read_u16 v30, v14 offset:32
	ds_read_u16 v31, v14 offset:64
	ds_read_u16 v32, v14 offset:96
	ds_read_u16 v33, v14 offset:128
	ds_read_u16 v34, v14 offset:160
	ds_read_u16 v35, v14 offset:192
	ds_read_u16 v36, v14 offset:224
	v_add_co_u32_e32 v4, vcc, s18, v4
	s_waitcnt lgkmcnt(7)
	v_fma_f16 v37, v29, v18, v11
	v_lshrrev_b32_e32 v11, 16, v11
	v_lshrrev_b32_e32 v17, 16, v18
	s_waitcnt lgkmcnt(6)
	v_fma_f16 v11, v30, v18, v11
	v_fma_f16 v29, v29, v22, v12
	v_lshrrev_b32_e32 v12, 16, v12
	v_lshrrev_b32_e32 v18, 16, v22
	v_fma_f16 v12, v30, v22, v12
	s_waitcnt lgkmcnt(5)
	v_fma_f16 v22, v31, v17, v37
	s_waitcnt lgkmcnt(4)
	v_fma_f16 v11, v32, v17, v11
	v_lshrrev_b32_e32 v26, 16, v19
	v_fma_f16 v17, v31, v18, v29
	v_fma_f16 v12, v32, v18, v12
	s_waitcnt lgkmcnt(3)
	v_fma_f16 v18, v33, v19, v22
	s_waitcnt lgkmcnt(2)
	v_fma_f16 v11, v34, v19, v11
	v_lshrrev_b32_e32 v38, 16, v23
	v_fma_f16 v17, v33, v23, v17
	v_fma_f16 v12, v34, v23, v12
	s_waitcnt lgkmcnt(1)
	v_fma_f16 v18, v35, v26, v18
	s_waitcnt lgkmcnt(0)
	v_fma_f16 v11, v36, v26, v11
	ds_read_u16 v19, v14 offset:256
	ds_read_u16 v22, v14 offset:288
	;; [unrolled: 1-line block ×8, first 2 shown]
	v_fma_f16 v17, v35, v38, v17
	v_fma_f16 v12, v36, v38, v12
	v_lshrrev_b32_e32 v27, 16, v20
	v_lshrrev_b32_e32 v39, 16, v24
	s_waitcnt lgkmcnt(7)
	v_fma_f16 v18, v19, v20, v18
	s_waitcnt lgkmcnt(6)
	v_fma_f16 v11, v22, v20, v11
	v_fma_f16 v17, v19, v24, v17
	;; [unrolled: 1-line block ×3, first 2 shown]
	v_addc_co_u32_e32 v5, vcc, v5, v16, vcc
	s_waitcnt lgkmcnt(5)
	v_fma_f16 v18, v23, v27, v18
	s_waitcnt lgkmcnt(4)
	v_fma_f16 v11, v26, v27, v11
	v_fma_f16 v17, v23, v39, v17
	;; [unrolled: 1-line block ×3, first 2 shown]
	s_add_u32 s12, s12, 8
	v_add_co_u32_e32 v6, vcc, 16, v6
	v_lshrrev_b32_e32 v28, 16, v21
	v_lshrrev_b32_e32 v40, 16, v25
	s_waitcnt lgkmcnt(3)
	v_fma_f16 v18, v29, v21, v18
	s_waitcnt lgkmcnt(2)
	v_fma_f16 v11, v30, v21, v11
	v_fma_f16 v17, v29, v25, v17
	;; [unrolled: 1-line block ×3, first 2 shown]
	s_addc_u32 s13, s13, 0
	v_addc_co_u32_e32 v7, vcc, 0, v7, vcc
	s_waitcnt lgkmcnt(1)
	v_fma_f16 v18, v31, v28, v18
	s_waitcnt lgkmcnt(0)
	v_fma_f16 v11, v32, v28, v11
	v_fma_f16 v17, v31, v40, v17
	;; [unrolled: 1-line block ×3, first 2 shown]
	v_cmp_lt_i64_e32 vcc, s[12:13], v[8:9]
	v_pack_b32_f16 v11, v18, v11
	v_pack_b32_f16 v12, v17, v12
	s_barrier
	s_cbranch_vccz .LBB28_7
.LBB28_3:                               ; =>This Inner Loop Header: Depth=1
	v_mov_b32_e32 v17, s13
	v_add_co_u32_e32 v18, vcc, s12, v0
	v_addc_co_u32_e32 v19, vcc, 0, v17, vcc
	v_cmp_gt_i64_e32 vcc, s[28:29], v[18:19]
	s_and_b64 s[16:17], s[0:1], vcc
	v_mov_b32_e32 v17, 0
	s_and_saveexec_b64 s[14:15], s[16:17]
	s_cbranch_execz .LBB28_5
; %bb.4:                                ;   in Loop: Header=BB28_3 Depth=1
	global_load_ushort v17, v[6:7], off
.LBB28_5:                               ;   in Loop: Header=BB28_3 Depth=1
	s_or_b64 exec, exec, s[14:15]
	s_waitcnt vmcnt(0)
	ds_write_b16 v3, v17
	v_mov_b32_e32 v17, s13
	v_add_co_u32_e32 v18, vcc, s12, v2
	v_addc_co_u32_e32 v19, vcc, 0, v17, vcc
	v_cmp_gt_i64_e32 vcc, s[28:29], v[18:19]
	s_and_b64 s[16:17], vcc, s[2:3]
	v_mov_b32_e32 v17, 0
	s_and_saveexec_b64 s[14:15], s[16:17]
	s_cbranch_execz .LBB28_2
; %bb.6:                                ;   in Loop: Header=BB28_3 Depth=1
	global_load_ushort v17, v[4:5], off
	s_branch .LBB28_2
.LBB28_7:
	s_load_dwordx4 s[24:27], s[4:5], 0x78
	s_load_dword s9, s[4:5], 0x18
	s_load_dword s28, s[4:5], 0x50
	s_load_dwordx8 s[12:19], s[4:5], 0x58
	v_mov_b32_e32 v2, s11
	s_waitcnt lgkmcnt(0)
	s_mul_i32 s0, s8, s27
	s_mul_hi_u32 s1, s8, s26
	s_add_i32 s1, s1, s0
	s_mul_i32 s0, s8, s26
	s_lshl_b64 s[0:1], s[0:1], 1
	v_add_co_u32_e32 v0, vcc, s10, v1
	s_add_u32 s26, s18, s0
	v_addc_co_u32_e32 v1, vcc, 0, v2, vcc
	v_cmp_neq_f16_e64 s[2:3], s28, 0
	s_addc_u32 s27, s19, s1
	v_cmp_gt_i64_e64 s[0:1], s[22:23], v[0:1]
	s_and_b64 vcc, exec, s[2:3]
	s_cbranch_vccnz .LBB28_20
; %bb.8:
	s_and_saveexec_b64 s[10:11], s[0:1]
	s_cbranch_execz .LBB28_18
; %bb.9:
	v_mov_b32_e32 v2, s7
	v_add_co_u32_e32 v4, vcc, s6, v10
	v_addc_co_u32_e32 v5, vcc, 0, v2, vcc
	v_mul_lo_u32 v6, v1, s24
	v_mul_lo_u32 v7, v0, s25
	v_mad_u64_u32 v[2:3], s[2:3], v0, s24, 0
	v_add3_u32 v3, v3, v7, v6
	v_lshlrev_b64 v[2:3], 1, v[2:3]
	v_mov_b32_e32 v7, s27
	v_add_co_u32_e64 v6, s[2:3], s26, v2
	v_cmp_gt_i64_e32 vcc, s[20:21], v[4:5]
	v_addc_co_u32_e64 v7, s[2:3], v7, v3, s[2:3]
	v_lshlrev_b64 v[2:3], 1, v[4:5]
	s_and_saveexec_b64 s[4:5], vcc
	s_cbranch_execz .LBB28_11
; %bb.10:
	v_add_co_u32_e64 v8, s[2:3], v6, v2
	v_addc_co_u32_e64 v9, s[2:3], v7, v3, s[2:3]
	v_mul_f16_e32 v13, s9, v11
	global_store_short v[8:9], v13, off
.LBB28_11:
	s_or_b64 exec, exec, s[4:5]
	v_add_co_u32_e64 v4, s[2:3], 16, v4
	v_addc_co_u32_e64 v5, s[2:3], 0, v5, s[2:3]
	v_cmp_gt_i64_e64 s[2:3], s[20:21], v[4:5]
	s_and_saveexec_b64 s[18:19], s[2:3]
	s_cbranch_execz .LBB28_13
; %bb.12:
	v_add_co_u32_e64 v4, s[4:5], v6, v2
	v_addc_co_u32_e64 v5, s[4:5], v7, v3, s[4:5]
	v_mul_f16_sdwa v8, v11, s9 dst_sel:DWORD dst_unused:UNUSED_PAD src0_sel:WORD_1 src1_sel:DWORD
	global_store_short v[4:5], v8, off offset:32
.LBB28_13:
	s_or_b64 exec, exec, s[18:19]
	v_add_co_u32_e64 v4, s[4:5], 16, v0
	v_addc_co_u32_e64 v5, s[4:5], 0, v1, s[4:5]
	v_cmp_gt_i64_e64 s[4:5], s[22:23], v[4:5]
	s_and_b64 exec, exec, s[4:5]
	s_cbranch_execz .LBB28_18
; %bb.14:
	s_lshl_b64 s[4:5], s[24:25], 5
	v_mov_b32_e32 v4, s5
	v_add_co_u32_e64 v5, s[4:5], s4, v6
	v_addc_co_u32_e64 v4, s[4:5], v7, v4, s[4:5]
	v_add_co_u32_e64 v2, s[4:5], v5, v2
	v_addc_co_u32_e64 v3, s[4:5], v4, v3, s[4:5]
	s_and_saveexec_b64 s[4:5], vcc
	s_cbranch_execz .LBB28_16
; %bb.15:
	v_mul_f16_e32 v4, s9, v12
	global_store_short v[2:3], v4, off
.LBB28_16:
	s_or_b64 exec, exec, s[4:5]
	s_and_b64 exec, exec, s[2:3]
	s_cbranch_execz .LBB28_18
; %bb.17:
	v_mul_f16_sdwa v4, v12, s9 dst_sel:DWORD dst_unused:UNUSED_PAD src0_sel:WORD_1 src1_sel:DWORD
	global_store_short v[2:3], v4, off offset:32
.LBB28_18:
	s_or_b64 exec, exec, s[10:11]
	s_cbranch_execz .LBB28_21
.LBB28_19:
	s_endpgm
.LBB28_20:
.LBB28_21:
	s_and_saveexec_b64 s[2:3], s[0:1]
	s_cbranch_execz .LBB28_19
; %bb.22:
	s_mul_i32 s0, s8, s17
	s_mul_hi_u32 s1, s8, s16
	s_add_i32 s1, s1, s0
	s_mul_i32 s0, s8, s16
	s_lshl_b64 s[0:1], s[0:1], 1
	s_add_u32 s2, s12, s0
	v_mov_b32_e32 v2, s7
	v_add_co_u32_e32 v4, vcc, s6, v10
	s_addc_u32 s3, s13, s1
	v_addc_co_u32_e32 v5, vcc, 0, v2, vcc
	v_mul_lo_u32 v6, v1, s14
	v_mul_lo_u32 v7, v0, s15
	v_mad_u64_u32 v[2:3], s[0:1], v0, s14, 0
	v_add3_u32 v3, v3, v7, v6
	v_mul_lo_u32 v6, v1, s24
	v_mul_lo_u32 v7, v0, s25
	v_mad_u64_u32 v[8:9], s[0:1], v0, s24, 0
	v_lshlrev_b64 v[2:3], 1, v[2:3]
	v_add3_u32 v9, v9, v7, v6
	v_mov_b32_e32 v7, s3
	v_add_co_u32_e64 v6, s[0:1], s2, v2
	v_addc_co_u32_e64 v7, s[0:1], v7, v3, s[0:1]
	v_lshlrev_b64 v[2:3], 1, v[8:9]
	v_mov_b32_e32 v9, s27
	v_add_co_u32_e64 v8, s[0:1], s26, v2
	v_cmp_gt_i64_e32 vcc, s[20:21], v[4:5]
	v_addc_co_u32_e64 v9, s[0:1], v9, v3, s[0:1]
	v_lshlrev_b64 v[2:3], 1, v[4:5]
	s_and_saveexec_b64 s[2:3], vcc
	s_cbranch_execz .LBB28_24
; %bb.23:
	v_add_co_u32_e64 v14, s[0:1], v6, v2
	v_addc_co_u32_e64 v15, s[0:1], v7, v3, s[0:1]
	global_load_ushort v10, v[14:15], off
	v_add_co_u32_e64 v14, s[0:1], v8, v2
	v_addc_co_u32_e64 v15, s[0:1], v9, v3, s[0:1]
	s_waitcnt vmcnt(0)
	v_mul_f16_e32 v10, s28, v10
	v_fma_f16 v10, v11, s9, v10
	global_store_short v[14:15], v10, off
.LBB28_24:
	s_or_b64 exec, exec, s[2:3]
	v_add_co_u32_e64 v4, s[0:1], 16, v4
	v_addc_co_u32_e64 v5, s[0:1], 0, v5, s[0:1]
	v_cmp_gt_i64_e64 s[0:1], s[20:21], v[4:5]
	s_and_saveexec_b64 s[4:5], s[0:1]
	s_cbranch_execz .LBB28_26
; %bb.25:
	v_add_co_u32_e64 v4, s[2:3], v6, v2
	v_addc_co_u32_e64 v5, s[2:3], v7, v3, s[2:3]
	global_load_ushort v4, v[4:5], off offset:32
	v_lshrrev_b32_e32 v5, 16, v11
	s_waitcnt vmcnt(0)
	v_mul_f16_e32 v4, s28, v4
	v_fma_f16 v10, v5, s9, v4
	v_add_co_u32_e64 v4, s[2:3], v8, v2
	v_addc_co_u32_e64 v5, s[2:3], v9, v3, s[2:3]
	global_store_short v[4:5], v10, off offset:32
.LBB28_26:
	s_or_b64 exec, exec, s[4:5]
	v_add_co_u32_e64 v0, s[2:3], 16, v0
	v_addc_co_u32_e64 v1, s[2:3], 0, v1, s[2:3]
	v_cmp_gt_i64_e64 s[2:3], s[22:23], v[0:1]
	s_and_b64 exec, exec, s[2:3]
	s_cbranch_execz .LBB28_19
; %bb.27:
	s_lshl_b64 s[2:3], s[14:15], 5
	v_mov_b32_e32 v0, s3
	v_add_co_u32_e64 v1, s[2:3], s2, v6
	v_addc_co_u32_e64 v4, s[2:3], v7, v0, s[2:3]
	s_lshl_b64 s[2:3], s[24:25], 5
	v_mov_b32_e32 v0, s3
	v_add_co_u32_e64 v5, s[2:3], s2, v8
	v_addc_co_u32_e64 v6, s[2:3], v9, v0, s[2:3]
	v_add_co_u32_e64 v0, s[2:3], v1, v2
	v_addc_co_u32_e64 v1, s[2:3], v4, v3, s[2:3]
	;; [unrolled: 2-line block ×3, first 2 shown]
	s_and_saveexec_b64 s[2:3], vcc
	s_cbranch_execz .LBB28_29
; %bb.28:
	global_load_ushort v4, v[0:1], off
	s_waitcnt vmcnt(0)
	v_mul_f16_e32 v4, s28, v4
	v_fma_f16 v4, v12, s9, v4
	global_store_short v[2:3], v4, off
.LBB28_29:
	s_or_b64 exec, exec, s[2:3]
	s_and_b64 exec, exec, s[0:1]
	s_cbranch_execz .LBB28_19
; %bb.30:
	global_load_ushort v0, v[0:1], off offset:32
	v_lshrrev_b32_e32 v1, 16, v12
	s_waitcnt vmcnt(0)
	v_mul_f16_e32 v0, s28, v0
	v_fma_f16 v0, v1, s9, v0
	global_store_short v[2:3], v0, off offset:32
	s_endpgm
	.section	.rodata,"a",@progbits
	.p2align	6, 0x0
	.amdhsa_kernel _ZN12_GLOBAL__N_135rocblas_gemm_batched_general_kernelIDF16_Li16ELi16ELi32ELi32ELi8ELi32ELi8ELi8ELi32ELc84ELc67EKDF16_S1_DF16_EEvlllT_PT11_llS4_llS2_PT12_llPT13_lli
		.amdhsa_group_segment_fixed_size 1024
		.amdhsa_private_segment_fixed_size 0
		.amdhsa_kernarg_size 140
		.amdhsa_user_sgpr_count 6
		.amdhsa_user_sgpr_private_segment_buffer 1
		.amdhsa_user_sgpr_dispatch_ptr 0
		.amdhsa_user_sgpr_queue_ptr 0
		.amdhsa_user_sgpr_kernarg_segment_ptr 1
		.amdhsa_user_sgpr_dispatch_id 0
		.amdhsa_user_sgpr_flat_scratch_init 0
		.amdhsa_user_sgpr_kernarg_preload_length 0
		.amdhsa_user_sgpr_kernarg_preload_offset 0
		.amdhsa_user_sgpr_private_segment_size 0
		.amdhsa_uses_dynamic_stack 0
		.amdhsa_system_sgpr_private_segment_wavefront_offset 0
		.amdhsa_system_sgpr_workgroup_id_x 1
		.amdhsa_system_sgpr_workgroup_id_y 1
		.amdhsa_system_sgpr_workgroup_id_z 1
		.amdhsa_system_sgpr_workgroup_info 0
		.amdhsa_system_vgpr_workitem_id 1
		.amdhsa_next_free_vgpr 41
		.amdhsa_next_free_sgpr 36
		.amdhsa_accum_offset 44
		.amdhsa_reserve_vcc 1
		.amdhsa_reserve_flat_scratch 0
		.amdhsa_float_round_mode_32 0
		.amdhsa_float_round_mode_16_64 0
		.amdhsa_float_denorm_mode_32 3
		.amdhsa_float_denorm_mode_16_64 3
		.amdhsa_dx10_clamp 1
		.amdhsa_ieee_mode 1
		.amdhsa_fp16_overflow 0
		.amdhsa_tg_split 0
		.amdhsa_exception_fp_ieee_invalid_op 0
		.amdhsa_exception_fp_denorm_src 0
		.amdhsa_exception_fp_ieee_div_zero 0
		.amdhsa_exception_fp_ieee_overflow 0
		.amdhsa_exception_fp_ieee_underflow 0
		.amdhsa_exception_fp_ieee_inexact 0
		.amdhsa_exception_int_div_zero 0
	.end_amdhsa_kernel
	.section	.text._ZN12_GLOBAL__N_135rocblas_gemm_batched_general_kernelIDF16_Li16ELi16ELi32ELi32ELi8ELi32ELi8ELi8ELi32ELc84ELc67EKDF16_S1_DF16_EEvlllT_PT11_llS4_llS2_PT12_llPT13_lli,"axG",@progbits,_ZN12_GLOBAL__N_135rocblas_gemm_batched_general_kernelIDF16_Li16ELi16ELi32ELi32ELi8ELi32ELi8ELi8ELi32ELc84ELc67EKDF16_S1_DF16_EEvlllT_PT11_llS4_llS2_PT12_llPT13_lli,comdat
.Lfunc_end28:
	.size	_ZN12_GLOBAL__N_135rocblas_gemm_batched_general_kernelIDF16_Li16ELi16ELi32ELi32ELi8ELi32ELi8ELi8ELi32ELc84ELc67EKDF16_S1_DF16_EEvlllT_PT11_llS4_llS2_PT12_llPT13_lli, .Lfunc_end28-_ZN12_GLOBAL__N_135rocblas_gemm_batched_general_kernelIDF16_Li16ELi16ELi32ELi32ELi8ELi32ELi8ELi8ELi32ELc84ELc67EKDF16_S1_DF16_EEvlllT_PT11_llS4_llS2_PT12_llPT13_lli
                                        ; -- End function
	.section	.AMDGPU.csdata,"",@progbits
; Kernel info:
; codeLenInByte = 2120
; NumSgprs: 40
; NumVgprs: 41
; NumAgprs: 0
; TotalNumVgprs: 41
; ScratchSize: 0
; MemoryBound: 0
; FloatMode: 240
; IeeeMode: 1
; LDSByteSize: 1024 bytes/workgroup (compile time only)
; SGPRBlocks: 4
; VGPRBlocks: 5
; NumSGPRsForWavesPerEU: 40
; NumVGPRsForWavesPerEU: 41
; AccumOffset: 44
; Occupancy: 8
; WaveLimiterHint : 0
; COMPUTE_PGM_RSRC2:SCRATCH_EN: 0
; COMPUTE_PGM_RSRC2:USER_SGPR: 6
; COMPUTE_PGM_RSRC2:TRAP_HANDLER: 0
; COMPUTE_PGM_RSRC2:TGID_X_EN: 1
; COMPUTE_PGM_RSRC2:TGID_Y_EN: 1
; COMPUTE_PGM_RSRC2:TGID_Z_EN: 1
; COMPUTE_PGM_RSRC2:TIDIG_COMP_CNT: 1
; COMPUTE_PGM_RSRC3_GFX90A:ACCUM_OFFSET: 10
; COMPUTE_PGM_RSRC3_GFX90A:TG_SPLIT: 0
	.section	.text._ZN12_GLOBAL__N_125rocblas_gemm_scale_kernelILi32ELi32EfPfEEviiT1_T2_llli,"axG",@progbits,_ZN12_GLOBAL__N_125rocblas_gemm_scale_kernelILi32ELi32EfPfEEviiT1_T2_llli,comdat
	.globl	_ZN12_GLOBAL__N_125rocblas_gemm_scale_kernelILi32ELi32EfPfEEviiT1_T2_llli ; -- Begin function _ZN12_GLOBAL__N_125rocblas_gemm_scale_kernelILi32ELi32EfPfEEviiT1_T2_llli
	.p2align	8
	.type	_ZN12_GLOBAL__N_125rocblas_gemm_scale_kernelILi32ELi32EfPfEEviiT1_T2_llli,@function
_ZN12_GLOBAL__N_125rocblas_gemm_scale_kernelILi32ELi32EfPfEEviiT1_T2_llli: ; @_ZN12_GLOBAL__N_125rocblas_gemm_scale_kernelILi32ELi32EfPfEEviiT1_T2_llli
; %bb.0:
	s_load_dwordx4 s[0:3], s[4:5], 0x0
	v_and_b32_e32 v1, 0x3ff, v0
	v_bfe_u32 v0, v0, 10, 10
	v_lshl_add_u32 v2, s6, 5, v1
	v_lshl_add_u32 v0, s7, 5, v0
	s_waitcnt lgkmcnt(0)
	v_cmp_gt_u32_e32 vcc, s0, v2
	v_cmp_gt_u32_e64 s[0:1], s1, v0
	s_and_b64 s[0:1], vcc, s[0:1]
	s_and_saveexec_b64 s[6:7], s[0:1]
	s_cbranch_execz .LBB29_4
; %bb.1:
	s_load_dwordx8 s[12:19], s[4:5], 0x10
	v_mov_b32_e32 v3, 0
	v_mov_b32_e32 v6, 0
	s_waitcnt lgkmcnt(0)
	s_mul_i32 s1, s8, s19
	s_mul_hi_u32 s3, s8, s18
	s_mul_i32 s0, s8, s18
	s_add_i32 s1, s3, s1
	s_lshl_b64 s[0:1], s[0:1], 2
	s_add_u32 s3, s12, s0
	v_mad_u64_u32 v[4:5], s[6:7], v0, s16, 0
	s_addc_u32 s4, s13, s1
	s_lshl_b64 s[0:1], s[14:15], 2
	v_mov_b32_e32 v8, v5
	s_add_u32 s0, s3, s0
	v_mad_u64_u32 v[0:1], s[6:7], v0, s17, v[8:9]
	s_addc_u32 s1, s4, s1
	v_cmp_eq_f32_e64 s[4:5], s2, 0
	v_mov_b32_e32 v5, v0
	s_and_b64 vcc, exec, s[4:5]
	v_lshlrev_b64 v[4:5], 2, v[4:5]
	v_lshlrev_b64 v[0:1], 2, v[2:3]
	s_cbranch_vccnz .LBB29_3
; %bb.2:
	v_mov_b32_e32 v2, s1
	v_add_co_u32_e32 v3, vcc, s0, v4
	v_addc_co_u32_e32 v6, vcc, v2, v5, vcc
	v_add_co_u32_e32 v2, vcc, v3, v0
	v_addc_co_u32_e32 v3, vcc, v6, v1, vcc
	global_load_dword v2, v[2:3], off
	s_waitcnt vmcnt(0)
	v_mul_f32_e32 v6, s2, v2
.LBB29_3:
	v_mov_b32_e32 v2, s1
	v_add_co_u32_e32 v3, vcc, s0, v4
	v_addc_co_u32_e32 v2, vcc, v2, v5, vcc
	v_add_co_u32_e32 v0, vcc, v3, v0
	v_addc_co_u32_e32 v1, vcc, v2, v1, vcc
	global_store_dword v[0:1], v6, off
.LBB29_4:
	s_endpgm
	.section	.rodata,"a",@progbits
	.p2align	6, 0x0
	.amdhsa_kernel _ZN12_GLOBAL__N_125rocblas_gemm_scale_kernelILi32ELi32EfPfEEviiT1_T2_llli
		.amdhsa_group_segment_fixed_size 0
		.amdhsa_private_segment_fixed_size 0
		.amdhsa_kernarg_size 52
		.amdhsa_user_sgpr_count 6
		.amdhsa_user_sgpr_private_segment_buffer 1
		.amdhsa_user_sgpr_dispatch_ptr 0
		.amdhsa_user_sgpr_queue_ptr 0
		.amdhsa_user_sgpr_kernarg_segment_ptr 1
		.amdhsa_user_sgpr_dispatch_id 0
		.amdhsa_user_sgpr_flat_scratch_init 0
		.amdhsa_user_sgpr_kernarg_preload_length 0
		.amdhsa_user_sgpr_kernarg_preload_offset 0
		.amdhsa_user_sgpr_private_segment_size 0
		.amdhsa_uses_dynamic_stack 0
		.amdhsa_system_sgpr_private_segment_wavefront_offset 0
		.amdhsa_system_sgpr_workgroup_id_x 1
		.amdhsa_system_sgpr_workgroup_id_y 1
		.amdhsa_system_sgpr_workgroup_id_z 1
		.amdhsa_system_sgpr_workgroup_info 0
		.amdhsa_system_vgpr_workitem_id 1
		.amdhsa_next_free_vgpr 10
		.amdhsa_next_free_sgpr 20
		.amdhsa_accum_offset 12
		.amdhsa_reserve_vcc 1
		.amdhsa_reserve_flat_scratch 0
		.amdhsa_float_round_mode_32 0
		.amdhsa_float_round_mode_16_64 0
		.amdhsa_float_denorm_mode_32 3
		.amdhsa_float_denorm_mode_16_64 3
		.amdhsa_dx10_clamp 1
		.amdhsa_ieee_mode 1
		.amdhsa_fp16_overflow 0
		.amdhsa_tg_split 0
		.amdhsa_exception_fp_ieee_invalid_op 0
		.amdhsa_exception_fp_denorm_src 0
		.amdhsa_exception_fp_ieee_div_zero 0
		.amdhsa_exception_fp_ieee_overflow 0
		.amdhsa_exception_fp_ieee_underflow 0
		.amdhsa_exception_fp_ieee_inexact 0
		.amdhsa_exception_int_div_zero 0
	.end_amdhsa_kernel
	.section	.text._ZN12_GLOBAL__N_125rocblas_gemm_scale_kernelILi32ELi32EfPfEEviiT1_T2_llli,"axG",@progbits,_ZN12_GLOBAL__N_125rocblas_gemm_scale_kernelILi32ELi32EfPfEEviiT1_T2_llli,comdat
.Lfunc_end29:
	.size	_ZN12_GLOBAL__N_125rocblas_gemm_scale_kernelILi32ELi32EfPfEEviiT1_T2_llli, .Lfunc_end29-_ZN12_GLOBAL__N_125rocblas_gemm_scale_kernelILi32ELi32EfPfEEviiT1_T2_llli
                                        ; -- End function
	.section	.AMDGPU.csdata,"",@progbits
; Kernel info:
; codeLenInByte = 252
; NumSgprs: 24
; NumVgprs: 10
; NumAgprs: 0
; TotalNumVgprs: 10
; ScratchSize: 0
; MemoryBound: 0
; FloatMode: 240
; IeeeMode: 1
; LDSByteSize: 0 bytes/workgroup (compile time only)
; SGPRBlocks: 2
; VGPRBlocks: 1
; NumSGPRsForWavesPerEU: 24
; NumVGPRsForWavesPerEU: 10
; AccumOffset: 12
; Occupancy: 8
; WaveLimiterHint : 0
; COMPUTE_PGM_RSRC2:SCRATCH_EN: 0
; COMPUTE_PGM_RSRC2:USER_SGPR: 6
; COMPUTE_PGM_RSRC2:TRAP_HANDLER: 0
; COMPUTE_PGM_RSRC2:TGID_X_EN: 1
; COMPUTE_PGM_RSRC2:TGID_Y_EN: 1
; COMPUTE_PGM_RSRC2:TGID_Z_EN: 1
; COMPUTE_PGM_RSRC2:TIDIG_COMP_CNT: 1
; COMPUTE_PGM_RSRC3_GFX90A:ACCUM_OFFSET: 2
; COMPUTE_PGM_RSRC3_GFX90A:TG_SPLIT: 0
	.section	.text._ZN12_GLOBAL__N_120gemm_ex_scale_kernelILi32ELi32EfPKfPfEEviiT1_T2_lllT3_llli,"axG",@progbits,_ZN12_GLOBAL__N_120gemm_ex_scale_kernelILi32ELi32EfPKfPfEEviiT1_T2_lllT3_llli,comdat
	.globl	_ZN12_GLOBAL__N_120gemm_ex_scale_kernelILi32ELi32EfPKfPfEEviiT1_T2_lllT3_llli ; -- Begin function _ZN12_GLOBAL__N_120gemm_ex_scale_kernelILi32ELi32EfPKfPfEEviiT1_T2_lllT3_llli
	.p2align	8
	.type	_ZN12_GLOBAL__N_120gemm_ex_scale_kernelILi32ELi32EfPKfPfEEviiT1_T2_lllT3_llli,@function
_ZN12_GLOBAL__N_120gemm_ex_scale_kernelILi32ELi32EfPKfPfEEviiT1_T2_lllT3_llli: ; @_ZN12_GLOBAL__N_120gemm_ex_scale_kernelILi32ELi32EfPKfPfEEviiT1_T2_lllT3_llli
; %bb.0:
	s_load_dwordx4 s[0:3], s[4:5], 0x0
	v_and_b32_e32 v1, 0x3ff, v0
	v_bfe_u32 v0, v0, 10, 10
	v_lshl_add_u32 v2, s6, 5, v1
	v_lshl_add_u32 v0, s7, 5, v0
	s_waitcnt lgkmcnt(0)
	v_cmp_gt_u32_e32 vcc, s0, v2
	v_cmp_gt_u32_e64 s[0:1], s1, v0
	s_and_b64 s[0:1], vcc, s[0:1]
	s_and_saveexec_b64 s[6:7], s[0:1]
	s_cbranch_execz .LBB30_5
; %bb.1:
	v_cmp_neq_f32_e64 s[0:1], s2, 0
	s_mov_b32 s3, 0
	s_and_b64 vcc, exec, s[0:1]
	s_cbranch_vccnz .LBB30_6
; %bb.2:
	v_mov_b32_e32 v3, 0
	s_load_dwordx16 s[12:27], s[4:5], 0x10
	v_mov_b32_e32 v1, s3
	s_cbranch_execnz .LBB30_4
.LBB30_3:
	s_waitcnt lgkmcnt(0)
	s_mul_i32 s0, s8, s19
	s_mul_hi_u32 s1, s8, s18
	s_add_i32 s1, s1, s0
	s_mul_i32 s0, s8, s18
	s_lshl_b64 s[0:1], s[0:1], 2
	s_add_u32 s3, s12, s0
	s_addc_u32 s4, s13, s1
	s_lshl_b64 s[0:1], s[14:15], 2
	s_add_u32 s3, s3, s0
	s_addc_u32 s4, s4, s1
	v_mad_u64_u32 v[4:5], s[0:1], v0, s16, 0
	v_mov_b32_e32 v6, v5
	v_mad_u64_u32 v[6:7], s[0:1], v0, s17, v[6:7]
	v_mov_b32_e32 v5, v6
	v_lshlrev_b64 v[4:5], 2, v[4:5]
	v_mov_b32_e32 v3, 0
	v_mov_b32_e32 v1, s4
	v_add_co_u32_e32 v6, vcc, s3, v4
	v_addc_co_u32_e32 v1, vcc, v1, v5, vcc
	v_lshlrev_b64 v[4:5], 2, v[2:3]
	v_add_co_u32_e32 v4, vcc, v6, v4
	v_addc_co_u32_e32 v5, vcc, v1, v5, vcc
	global_load_dword v1, v[4:5], off
	s_waitcnt vmcnt(0)
	v_mul_f32_e32 v1, s2, v1
.LBB30_4:
	s_waitcnt lgkmcnt(0)
	s_mul_i32 s0, s8, s27
	s_mul_hi_u32 s1, s8, s26
	s_add_i32 s1, s1, s0
	s_mul_i32 s0, s8, s26
	s_lshl_b64 s[0:1], s[0:1], 2
	s_add_u32 s2, s20, s0
	s_addc_u32 s3, s21, s1
	s_lshl_b64 s[0:1], s[22:23], 2
	s_add_u32 s2, s2, s0
	s_addc_u32 s3, s3, s1
	v_mad_u64_u32 v[4:5], s[0:1], v0, s24, 0
	v_mov_b32_e32 v6, v5
	v_mad_u64_u32 v[6:7], s[0:1], v0, s25, v[6:7]
	v_mov_b32_e32 v5, v6
	v_lshlrev_b64 v[4:5], 2, v[4:5]
	v_mov_b32_e32 v0, s3
	v_add_co_u32_e32 v4, vcc, s2, v4
	v_addc_co_u32_e32 v0, vcc, v0, v5, vcc
	v_lshlrev_b64 v[2:3], 2, v[2:3]
	v_add_co_u32_e32 v2, vcc, v4, v2
	v_addc_co_u32_e32 v3, vcc, v0, v3, vcc
	global_store_dword v[2:3], v1, off
.LBB30_5:
	s_endpgm
.LBB30_6:
                                        ; implicit-def: $sgpr3
	s_load_dwordx16 s[12:27], s[4:5], 0x10
	v_mov_b32_e32 v1, s3
	s_branch .LBB30_3
	.section	.rodata,"a",@progbits
	.p2align	6, 0x0
	.amdhsa_kernel _ZN12_GLOBAL__N_120gemm_ex_scale_kernelILi32ELi32EfPKfPfEEviiT1_T2_lllT3_llli
		.amdhsa_group_segment_fixed_size 0
		.amdhsa_private_segment_fixed_size 0
		.amdhsa_kernarg_size 84
		.amdhsa_user_sgpr_count 6
		.amdhsa_user_sgpr_private_segment_buffer 1
		.amdhsa_user_sgpr_dispatch_ptr 0
		.amdhsa_user_sgpr_queue_ptr 0
		.amdhsa_user_sgpr_kernarg_segment_ptr 1
		.amdhsa_user_sgpr_dispatch_id 0
		.amdhsa_user_sgpr_flat_scratch_init 0
		.amdhsa_user_sgpr_kernarg_preload_length 0
		.amdhsa_user_sgpr_kernarg_preload_offset 0
		.amdhsa_user_sgpr_private_segment_size 0
		.amdhsa_uses_dynamic_stack 0
		.amdhsa_system_sgpr_private_segment_wavefront_offset 0
		.amdhsa_system_sgpr_workgroup_id_x 1
		.amdhsa_system_sgpr_workgroup_id_y 1
		.amdhsa_system_sgpr_workgroup_id_z 1
		.amdhsa_system_sgpr_workgroup_info 0
		.amdhsa_system_vgpr_workitem_id 1
		.amdhsa_next_free_vgpr 8
		.amdhsa_next_free_sgpr 28
		.amdhsa_accum_offset 8
		.amdhsa_reserve_vcc 1
		.amdhsa_reserve_flat_scratch 0
		.amdhsa_float_round_mode_32 0
		.amdhsa_float_round_mode_16_64 0
		.amdhsa_float_denorm_mode_32 3
		.amdhsa_float_denorm_mode_16_64 3
		.amdhsa_dx10_clamp 1
		.amdhsa_ieee_mode 1
		.amdhsa_fp16_overflow 0
		.amdhsa_tg_split 0
		.amdhsa_exception_fp_ieee_invalid_op 0
		.amdhsa_exception_fp_denorm_src 0
		.amdhsa_exception_fp_ieee_div_zero 0
		.amdhsa_exception_fp_ieee_overflow 0
		.amdhsa_exception_fp_ieee_underflow 0
		.amdhsa_exception_fp_ieee_inexact 0
		.amdhsa_exception_int_div_zero 0
	.end_amdhsa_kernel
	.section	.text._ZN12_GLOBAL__N_120gemm_ex_scale_kernelILi32ELi32EfPKfPfEEviiT1_T2_lllT3_llli,"axG",@progbits,_ZN12_GLOBAL__N_120gemm_ex_scale_kernelILi32ELi32EfPKfPfEEviiT1_T2_lllT3_llli,comdat
.Lfunc_end30:
	.size	_ZN12_GLOBAL__N_120gemm_ex_scale_kernelILi32ELi32EfPKfPfEEviiT1_T2_lllT3_llli, .Lfunc_end30-_ZN12_GLOBAL__N_120gemm_ex_scale_kernelILi32ELi32EfPKfPfEEviiT1_T2_lllT3_llli
                                        ; -- End function
	.section	.AMDGPU.csdata,"",@progbits
; Kernel info:
; codeLenInByte = 364
; NumSgprs: 32
; NumVgprs: 8
; NumAgprs: 0
; TotalNumVgprs: 8
; ScratchSize: 0
; MemoryBound: 0
; FloatMode: 240
; IeeeMode: 1
; LDSByteSize: 0 bytes/workgroup (compile time only)
; SGPRBlocks: 3
; VGPRBlocks: 0
; NumSGPRsForWavesPerEU: 32
; NumVGPRsForWavesPerEU: 8
; AccumOffset: 8
; Occupancy: 8
; WaveLimiterHint : 0
; COMPUTE_PGM_RSRC2:SCRATCH_EN: 0
; COMPUTE_PGM_RSRC2:USER_SGPR: 6
; COMPUTE_PGM_RSRC2:TRAP_HANDLER: 0
; COMPUTE_PGM_RSRC2:TGID_X_EN: 1
; COMPUTE_PGM_RSRC2:TGID_Y_EN: 1
; COMPUTE_PGM_RSRC2:TGID_Z_EN: 1
; COMPUTE_PGM_RSRC2:TIDIG_COMP_CNT: 1
; COMPUTE_PGM_RSRC3_GFX90A:ACCUM_OFFSET: 1
; COMPUTE_PGM_RSRC3_GFX90A:TG_SPLIT: 0
	.section	.text._ZN12_GLOBAL__N_127rocblas_gemm_batched_kernelIfLi16ELi16ELi64ELi64ELi4ELi64ELi4ELi4ELi64ELc78ELc78EKfS1_fEEvlllT_PT11_llS4_llS2_PT12_llPT13_lli,"axG",@progbits,_ZN12_GLOBAL__N_127rocblas_gemm_batched_kernelIfLi16ELi16ELi64ELi64ELi4ELi64ELi4ELi4ELi64ELc78ELc78EKfS1_fEEvlllT_PT11_llS4_llS2_PT12_llPT13_lli,comdat
	.globl	_ZN12_GLOBAL__N_127rocblas_gemm_batched_kernelIfLi16ELi16ELi64ELi64ELi4ELi64ELi4ELi4ELi64ELc78ELc78EKfS1_fEEvlllT_PT11_llS4_llS2_PT12_llPT13_lli ; -- Begin function _ZN12_GLOBAL__N_127rocblas_gemm_batched_kernelIfLi16ELi16ELi64ELi64ELi4ELi64ELi4ELi4ELi64ELc78ELc78EKfS1_fEEvlllT_PT11_llS4_llS2_PT12_llPT13_lli
	.p2align	8
	.type	_ZN12_GLOBAL__N_127rocblas_gemm_batched_kernelIfLi16ELi16ELi64ELi64ELi4ELi64ELi4ELi4ELi64ELc78ELc78EKfS1_fEEvlllT_PT11_llS4_llS2_PT12_llPT13_lli,@function
_ZN12_GLOBAL__N_127rocblas_gemm_batched_kernelIfLi16ELi16ELi64ELi64ELi4ELi64ELi4ELi4ELi64ELc78ELc78EKfS1_fEEvlllT_PT11_llS4_llS2_PT12_llPT13_lli: ; @_ZN12_GLOBAL__N_127rocblas_gemm_batched_kernelIfLi16ELi16ELi64ELi64ELi4ELi64ELi4ELi4ELi64ELc78ELc78EKfS1_fEEvlllT_PT11_llS4_llS2_PT12_llPT13_lli
; %bb.0:
	s_load_dwordx2 s[20:21], s[4:5], 0x10
	s_mov_b32 s0, s7
	s_ashr_i32 s1, s0, 31
	s_ashr_i32 s7, s6, 31
	s_lshl_b64 s[10:11], s[0:1], 6
	s_waitcnt lgkmcnt(0)
	v_cmp_lt_i64_e64 s[0:1], s[20:21], 1
	v_bfe_u32 v23, v0, 10, 10
	v_and_b32_e32 v22, 0x3ff, v0
	s_lshl_b64 s[6:7], s[6:7], 6
	s_and_b64 vcc, exec, s[0:1]
	s_cbranch_vccnz .LBB31_3
; %bb.1:
	s_load_dwordx8 s[12:19], s[4:5], 0x20
	s_load_dwordx4 s[0:3], s[4:5], 0x40
	v_lshlrev_b32_e32 v0, 4, v23
	v_add_u32_e32 v1, v0, v22
	v_lshrrev_b32_e32 v2, 2, v1
	v_and_b32_e32 v5, 3, v22
	v_and_b32_e32 v6, 63, v1
	v_mov_b32_e32 v3, s11
	v_add_co_u32_e32 v4, vcc, s10, v2
	v_lshrrev_b32_e32 v7, 6, v1
	v_lshlrev_b32_e32 v1, 2, v6
	v_lshlrev_b32_e32 v5, 2, v5
	v_addc_co_u32_e32 v3, vcc, 0, v3, vcc
	v_lshl_or_b32 v24, v7, 8, v1
	v_lshl_or_b32 v1, v2, 4, v5
	v_add_u32_e32 v25, 0x400, v1
	v_add_u32_e32 v27, 0x400, v0
	s_waitcnt lgkmcnt(0)
	v_mul_lo_u32 v2, s1, v4
	v_mul_lo_u32 v3, s0, v3
	v_mad_u64_u32 v[0:1], s[0:1], s0, v4, 0
	s_mul_i32 s0, s3, s8
	s_mul_hi_u32 s1, s2, s8
	v_add3_u32 v1, v1, v3, v2
	s_add_i32 s1, s1, s0
	s_mul_i32 s0, s2, s8
	v_lshlrev_b64 v[0:1], 2, v[0:1]
	s_lshl_b64 s[0:1], s[0:1], 2
	v_mov_b32_e32 v2, s1
	v_add_co_u32_e32 v0, vcc, s0, v0
	v_addc_co_u32_e32 v1, vcc, v1, v2, vcc
	v_add_co_u32_e32 v0, vcc, v0, v5
	v_addc_co_u32_e32 v1, vcc, 0, v1, vcc
	v_mov_b32_e32 v2, s19
	v_add_co_u32_e32 v8, vcc, s18, v0
	v_addc_co_u32_e32 v9, vcc, v2, v1, vcc
	v_pk_mov_b32 v[0:1], s[6:7], s[6:7] op_sel:[0,1]
	v_mad_u64_u32 v[0:1], s[2:3], v7, s14, v[0:1]
	s_mul_i32 s0, s17, s8
	s_mul_hi_u32 s1, s16, s8
	v_mov_b32_e32 v2, v1
	s_add_i32 s1, s1, s0
	s_mul_i32 s0, s16, s8
	v_mad_u64_u32 v[2:3], s[2:3], v7, s15, v[2:3]
	s_lshl_b64 s[0:1], s[0:1], 2
	v_mov_b32_e32 v1, v2
	v_add_co_u32_e32 v0, vcc, v0, v6
	v_addc_co_u32_e32 v1, vcc, 0, v1, vcc
	s_add_u32 s0, s12, s0
	v_lshlrev_b64 v[0:1], 2, v[0:1]
	s_addc_u32 s1, s13, s1
	v_mov_b32_e32 v2, s1
	v_add_co_u32_e32 v10, vcc, s0, v0
	s_lshl_b64 s[0:1], s[14:15], 4
	v_mov_b32_e32 v14, 0
	v_lshlrev_b32_e32 v26, 2, v22
	v_addc_co_u32_e32 v11, vcc, v2, v1, vcc
	s_mov_b64 s[2:3], 0
	v_mov_b32_e32 v28, s1
	v_pk_mov_b32 v[12:13], s[20:21], s[20:21] op_sel:[0,1]
	v_mov_b32_e32 v15, 0
	v_mov_b32_e32 v16, 0
	;; [unrolled: 1-line block ×15, first 2 shown]
.LBB31_2:                               ; =>This Inner Loop Header: Depth=1
	global_load_dword v29, v[10:11], off
	s_add_u32 s2, s2, 4
	s_addc_u32 s3, s3, 0
	s_waitcnt vmcnt(0)
	ds_write_b32 v24, v29
	global_load_dword v29, v[8:9], off
	v_add_co_u32_e32 v8, vcc, 16, v8
	v_addc_co_u32_e32 v9, vcc, 0, v9, vcc
	v_add_co_u32_e32 v10, vcc, s0, v10
	v_addc_co_u32_e32 v11, vcc, v11, v28, vcc
	v_cmp_lt_i64_e32 vcc, s[2:3], v[12:13]
	s_and_b64 vcc, exec, vcc
	s_waitcnt vmcnt(0)
	ds_write_b32 v25, v29
	s_waitcnt lgkmcnt(0)
	s_barrier
	ds_read2_b32 v[46:47], v26 offset1:16
	ds_read2_b32 v[48:49], v26 offset0:32 offset1:48
	ds_read2_b32 v[50:51], v26 offset0:64 offset1:80
	;; [unrolled: 1-line block ×3, first 2 shown]
	ds_read_b128 v[30:33], v27
	ds_read_b128 v[34:37], v27 offset:256
	ds_read_b128 v[38:41], v27 offset:512
	;; [unrolled: 1-line block ×3, first 2 shown]
	s_waitcnt lgkmcnt(4)
	v_mov_b32_e32 v55, v53
	s_waitcnt lgkmcnt(3)
	v_fmac_f32_e32 v20, v47, v30
	v_fmac_f32_e32 v19, v48, v30
	s_waitcnt lgkmcnt(2)
	v_fmac_f32_e32 v18, v47, v34
	v_fmac_f32_e32 v17, v48, v34
	;; [unrolled: 3-line block ×4, first 2 shown]
	v_fmac_f32_e32 v19, v52, v31
	v_fmac_f32_e32 v18, v51, v35
	;; [unrolled: 1-line block ×6, first 2 shown]
	v_mul_f32_e32 v51, v52, v43
	ds_read2_b32 v[52:53], v26 offset0:128 offset1:144
	ds_read2_b32 v[64:65], v26 offset0:160 offset1:176
	;; [unrolled: 1-line block ×4, first 2 shown]
	v_mov_b32_e32 v54, v49
	v_fmac_f32_e32 v21, v46, v30
	v_pk_mul_f32 v[56:57], v[54:55], v[30:31]
	v_fmac_f32_e32 v21, v50, v31
	v_mul_f32_e32 v30, v46, v34
	v_pk_mul_f32 v[58:59], v[54:55], v[34:35]
	s_waitcnt lgkmcnt(2)
	v_mov_b32_e32 v70, v65
	s_waitcnt lgkmcnt(0)
	v_mov_b32_e32 v71, v69
	v_mov_b32_e32 v31, v56
	v_mul_f32_e32 v34, v50, v35
	v_mul_f32_e32 v60, v46, v38
	v_fmac_f32_e32 v21, v52, v32
	v_fmac_f32_e32 v20, v53, v32
	;; [unrolled: 1-line block ×3, first 2 shown]
	v_pk_mul_f32 v[72:73], v[70:71], v[32:33]
	v_pk_add_f32 v[6:7], v[6:7], v[30:31]
	v_mov_b32_e32 v35, v57
	v_mov_b32_e32 v61, v58
	v_pk_mul_f32 v[62:63], v[54:55], v[38:39]
	v_mul_f32_e32 v38, v50, v39
	v_fmac_f32_e32 v21, v66, v33
	v_fmac_f32_e32 v20, v67, v33
	;; [unrolled: 1-line block ×3, first 2 shown]
	v_mul_f32_e32 v32, v52, v36
	v_pk_add_f32 v[6:7], v[6:7], v[34:35]
	v_mov_b32_e32 v33, v72
	v_pk_mul_f32 v[30:31], v[70:71], v[36:37]
	v_pk_add_f32 v[4:5], v[4:5], v[60:61]
	v_mov_b32_e32 v39, v59
	v_mul_f32_e32 v46, v46, v42
	v_pk_mul_f32 v[54:55], v[54:55], v[42:43]
	v_pk_add_f32 v[6:7], v[6:7], v[32:33]
	v_mul_f32_e32 v32, v52, v40
	v_pk_add_f32 v[4:5], v[4:5], v[38:39]
	v_mov_b32_e32 v33, v30
	v_mov_b32_e32 v47, v62
	v_mul_f32_e32 v49, v48, v42
	v_mul_f32_e32 v42, v50, v43
	v_pk_add_f32 v[4:5], v[4:5], v[32:33]
	v_pk_mul_f32 v[32:33], v[70:71], v[40:41]
	v_mul_f32_e32 v30, v66, v41
	v_pk_add_f32 v[2:3], v[2:3], v[46:47]
	v_mov_b32_e32 v43, v63
	v_mov_b32_e32 v48, v54
	v_pk_add_f32 v[4:5], v[4:5], v[30:31]
	v_mul_f32_e32 v30, v52, v44
	v_pk_add_f32 v[2:3], v[2:3], v[42:43]
	v_mov_b32_e32 v31, v32
	v_pk_mul_f32 v[34:35], v[70:71], v[44:45]
	v_pk_add_f32 v[0:1], v[0:1], v[48:49]
	v_mov_b32_e32 v50, v55
	v_pk_add_f32 v[2:3], v[2:3], v[30:31]
	v_mul_f32_e32 v31, v64, v44
	v_pk_add_f32 v[0:1], v[0:1], v[50:51]
	v_mov_b32_e32 v30, v34
	v_fmac_f32_e32 v18, v53, v36
	v_fmac_f32_e32 v17, v64, v36
	v_mul_f32_e32 v72, v66, v37
	v_fmac_f32_e32 v16, v53, v40
	v_fmac_f32_e32 v15, v64, v40
	;; [unrolled: 1-line block ×3, first 2 shown]
	v_pk_add_f32 v[0:1], v[0:1], v[30:31]
	v_mul_f32_e32 v32, v66, v45
	v_mul_f32_e32 v31, v68, v45
	v_mov_b32_e32 v30, v35
	v_pk_add_f32 v[6:7], v[6:7], v[72:73]
	v_fmac_f32_e32 v18, v67, v37
	v_fmac_f32_e32 v17, v68, v37
	;; [unrolled: 1-line block ×4, first 2 shown]
	v_pk_add_f32 v[2:3], v[2:3], v[32:33]
	v_fmac_f32_e32 v14, v67, v45
	v_pk_add_f32 v[0:1], v[0:1], v[30:31]
	s_barrier
	s_cbranch_vccnz .LBB31_2
	s_branch .LBB31_4
.LBB31_3:
	v_mov_b32_e32 v21, 0
	v_mov_b32_e32 v20, 0
	v_mov_b32_e32 v19, 0
	v_mov_b32_e32 v7, 0
	v_mov_b32_e32 v6, v21
	v_mov_b32_e32 v18, 0
	v_mov_b32_e32 v17, 0
	v_mov_b32_e32 v5, 0
	v_mov_b32_e32 v4, v21
	v_mov_b32_e32 v16, 0
	v_mov_b32_e32 v15, 0
	v_mov_b32_e32 v3, 0
	v_mov_b32_e32 v2, v21
	v_mov_b32_e32 v14, 0
	v_mov_b32_e32 v1, 0
	v_mov_b32_e32 v0, v21
.LBB31_4:
	s_load_dwordx4 s[0:3], s[4:5], 0x78
	s_load_dword s9, s[4:5], 0x18
	s_load_dword s20, s[4:5], 0x50
	s_load_dwordx8 s[12:19], s[4:5], 0x58
	v_mov_b32_e32 v8, s11
	s_waitcnt lgkmcnt(0)
	s_mul_i32 s3, s8, s3
	s_mul_hi_u32 s4, s8, s2
	s_add_i32 s3, s4, s3
	s_mul_i32 s2, s8, s2
	v_add_co_u32_e32 v10, vcc, s10, v23
	s_lshl_b64 s[2:3], s[2:3], 2
	v_addc_co_u32_e32 v13, vcc, 0, v8, vcc
	s_add_u32 s4, s18, s2
	v_mov_b32_e32 v9, s7
	v_add_co_u32_e32 v8, vcc, s6, v22
	s_addc_u32 s5, s19, s3
	v_cmp_neq_f32_e64 s[2:3], s20, 0
	v_addc_co_u32_e32 v9, vcc, 0, v9, vcc
	s_and_b64 vcc, exec, s[2:3]
	v_mul_lo_u32 v11, v13, s0
	v_mul_lo_u32 v12, v10, s1
	v_lshlrev_b64 v[8:9], 2, v[8:9]
	s_cbranch_vccnz .LBB31_8
; %bb.5:
	v_mad_u64_u32 v[22:23], s[2:3], v10, s0, 0
	v_add3_u32 v23, v23, v12, v11
	v_lshlrev_b64 v[22:23], 2, v[22:23]
	v_mov_b32_e32 v24, s5
	v_add_co_u32_e32 v22, vcc, s4, v22
	v_addc_co_u32_e32 v23, vcc, v24, v23, vcc
	v_add_co_u32_e32 v22, vcc, v22, v8
	v_mul_f32_e32 v24, s9, v21
	v_addc_co_u32_e32 v23, vcc, v23, v9, vcc
	global_store_dword v[22:23], v24, off
	v_mul_f32_e32 v24, s9, v20
	global_store_dword v[22:23], v24, off offset:64
	v_mul_f32_e32 v24, s9, v19
	global_store_dword v[22:23], v24, off offset:128
	v_mul_f32_e32 v24, s9, v7
	s_lshl_b64 s[2:3], s[0:1], 6
	global_store_dword v[22:23], v24, off offset:192
	v_mov_b32_e32 v25, s3
	v_add_co_u32_e32 v22, vcc, s2, v22
	v_mul_f32_e32 v24, s9, v6
	v_addc_co_u32_e32 v23, vcc, v23, v25, vcc
	global_store_dword v[22:23], v24, off
	v_mul_f32_e32 v24, s9, v18
	global_store_dword v[22:23], v24, off offset:64
	v_mul_f32_e32 v24, s9, v17
	global_store_dword v[22:23], v24, off offset:128
	v_mul_f32_e32 v24, s9, v5
	global_store_dword v[22:23], v24, off offset:192
	v_add_co_u32_e32 v22, vcc, s2, v22
	v_mul_f32_e32 v24, s9, v4
	v_addc_co_u32_e32 v23, vcc, v23, v25, vcc
	global_store_dword v[22:23], v24, off
	v_mul_f32_e32 v24, s9, v16
	global_store_dword v[22:23], v24, off offset:64
	v_mul_f32_e32 v24, s9, v15
	global_store_dword v[22:23], v24, off offset:128
	v_mul_f32_e32 v24, s9, v3
	global_store_dword v[22:23], v24, off offset:192
	;; [unrolled: 10-line block ×3, first 2 shown]
	s_cbranch_execnz .LBB31_7
.LBB31_6:
	s_mul_i32 s2, s8, s17
	s_mul_hi_u32 s3, s8, s16
	s_add_i32 s3, s3, s2
	s_mul_i32 s2, s8, s16
	s_lshl_b64 s[2:3], s[2:3], 2
	s_add_u32 s6, s12, s2
	s_addc_u32 s7, s13, s3
	v_mul_lo_u32 v13, v13, s14
	v_mul_lo_u32 v24, v10, s15
	v_mad_u64_u32 v[22:23], s[2:3], v10, s14, 0
	v_add3_u32 v23, v23, v24, v13
	v_lshlrev_b64 v[22:23], 2, v[22:23]
	v_mov_b32_e32 v13, s7
	v_add_co_u32_e32 v22, vcc, s6, v22
	v_addc_co_u32_e32 v13, vcc, v13, v23, vcc
	v_add_co_u32_e32 v22, vcc, v22, v8
	v_addc_co_u32_e32 v23, vcc, v13, v9, vcc
	global_load_dword v13, v[22:23], off
	v_mad_u64_u32 v[24:25], s[2:3], v10, s0, 0
	v_add3_u32 v25, v25, v12, v11
	v_lshlrev_b64 v[10:11], 2, v[24:25]
	v_mov_b32_e32 v26, s5
	v_add_co_u32_e32 v10, vcc, s4, v10
	v_addc_co_u32_e32 v11, vcc, v26, v11, vcc
	v_add_co_u32_e32 v8, vcc, v10, v8
	v_addc_co_u32_e32 v9, vcc, v11, v9, vcc
	s_lshl_b64 s[2:3], s[14:15], 6
	s_lshl_b64 s[0:1], s[0:1], 6
	s_waitcnt vmcnt(0)
	v_mul_f32_e32 v10, s20, v13
	v_fmac_f32_e32 v10, s9, v21
	global_store_dword v[8:9], v10, off
	global_load_dword v10, v[22:23], off offset:64
	v_mov_b32_e32 v13, s3
	s_waitcnt vmcnt(0)
	v_mul_f32_e32 v10, s20, v10
	v_fmac_f32_e32 v10, s9, v20
	global_store_dword v[8:9], v10, off offset:64
	global_load_dword v10, v[22:23], off offset:128
	s_waitcnt vmcnt(0)
	v_mul_f32_e32 v10, s20, v10
	v_fmac_f32_e32 v10, s9, v19
	global_store_dword v[8:9], v10, off offset:128
	global_load_dword v12, v[22:23], off offset:192
	v_add_co_u32_e32 v10, vcc, s2, v22
	v_addc_co_u32_e32 v11, vcc, v23, v13, vcc
	s_waitcnt vmcnt(0)
	v_mul_f32_e32 v12, s20, v12
	v_fmac_f32_e32 v12, s9, v7
	global_store_dword v[8:9], v12, off offset:192
	global_load_dword v7, v[10:11], off
	v_mov_b32_e32 v12, s1
	v_add_co_u32_e32 v8, vcc, s0, v8
	v_addc_co_u32_e32 v9, vcc, v9, v12, vcc
	s_waitcnt vmcnt(0)
	v_mul_f32_e32 v7, s20, v7
	v_fmac_f32_e32 v7, s9, v6
	global_store_dword v[8:9], v7, off
	global_load_dword v6, v[10:11], off offset:64
	s_waitcnt vmcnt(0)
	v_mul_f32_e32 v6, s20, v6
	v_fmac_f32_e32 v6, s9, v18
	global_store_dword v[8:9], v6, off offset:64
	global_load_dword v6, v[10:11], off offset:128
	s_waitcnt vmcnt(0)
	v_mul_f32_e32 v6, s20, v6
	v_fmac_f32_e32 v6, s9, v17
	global_store_dword v[8:9], v6, off offset:128
	global_load_dword v17, v[10:11], off offset:192
	v_add_co_u32_e32 v6, vcc, s2, v10
	v_addc_co_u32_e32 v7, vcc, v11, v13, vcc
	s_waitcnt vmcnt(0)
	v_mul_f32_e32 v10, s20, v17
	v_fmac_f32_e32 v10, s9, v5
	global_store_dword v[8:9], v10, off offset:192
	global_load_dword v5, v[6:7], off
	v_add_co_u32_e32 v8, vcc, s0, v8
	v_addc_co_u32_e32 v9, vcc, v9, v12, vcc
	s_waitcnt vmcnt(0)
	v_mul_f32_e32 v5, s20, v5
	v_fmac_f32_e32 v5, s9, v4
	global_store_dword v[8:9], v5, off
	global_load_dword v4, v[6:7], off offset:64
	s_waitcnt vmcnt(0)
	v_mul_f32_e32 v4, s20, v4
	v_fmac_f32_e32 v4, s9, v16
	global_store_dword v[8:9], v4, off offset:64
	global_load_dword v4, v[6:7], off offset:128
	s_waitcnt vmcnt(0)
	v_mul_f32_e32 v4, s20, v4
	v_fmac_f32_e32 v4, s9, v15
	global_store_dword v[8:9], v4, off offset:128
	global_load_dword v10, v[6:7], off offset:192
	v_add_co_u32_e32 v4, vcc, s2, v6
	v_addc_co_u32_e32 v5, vcc, v7, v13, vcc
	s_waitcnt vmcnt(0)
	v_mul_f32_e32 v6, s20, v10
	v_fmac_f32_e32 v6, s9, v3
	global_store_dword v[8:9], v6, off offset:192
	global_load_dword v3, v[4:5], off
	s_waitcnt vmcnt(0)
	v_mul_f32_e32 v6, s20, v3
	v_fmac_f32_e32 v6, s9, v2
	v_add_co_u32_e32 v2, vcc, s0, v8
	v_addc_co_u32_e32 v3, vcc, v9, v12, vcc
	global_store_dword v[2:3], v6, off
	global_load_dword v6, v[4:5], off offset:64
	s_waitcnt vmcnt(0)
	v_mul_f32_e32 v6, s20, v6
	v_fmac_f32_e32 v6, s9, v14
	global_store_dword v[2:3], v6, off offset:64
	global_load_dword v6, v[4:5], off offset:128
	s_waitcnt vmcnt(0)
	v_mul_f32_e32 v6, s20, v6
	v_fmac_f32_e32 v6, s9, v1
	global_store_dword v[2:3], v6, off offset:128
	;; [unrolled: 5-line block ×3, first 2 shown]
.LBB31_7:
	s_endpgm
.LBB31_8:
	s_branch .LBB31_6
	.section	.rodata,"a",@progbits
	.p2align	6, 0x0
	.amdhsa_kernel _ZN12_GLOBAL__N_127rocblas_gemm_batched_kernelIfLi16ELi16ELi64ELi64ELi4ELi64ELi4ELi4ELi64ELc78ELc78EKfS1_fEEvlllT_PT11_llS4_llS2_PT12_llPT13_lli
		.amdhsa_group_segment_fixed_size 2048
		.amdhsa_private_segment_fixed_size 0
		.amdhsa_kernarg_size 140
		.amdhsa_user_sgpr_count 6
		.amdhsa_user_sgpr_private_segment_buffer 1
		.amdhsa_user_sgpr_dispatch_ptr 0
		.amdhsa_user_sgpr_queue_ptr 0
		.amdhsa_user_sgpr_kernarg_segment_ptr 1
		.amdhsa_user_sgpr_dispatch_id 0
		.amdhsa_user_sgpr_flat_scratch_init 0
		.amdhsa_user_sgpr_kernarg_preload_length 0
		.amdhsa_user_sgpr_kernarg_preload_offset 0
		.amdhsa_user_sgpr_private_segment_size 0
		.amdhsa_uses_dynamic_stack 0
		.amdhsa_system_sgpr_private_segment_wavefront_offset 0
		.amdhsa_system_sgpr_workgroup_id_x 1
		.amdhsa_system_sgpr_workgroup_id_y 1
		.amdhsa_system_sgpr_workgroup_id_z 1
		.amdhsa_system_sgpr_workgroup_info 0
		.amdhsa_system_vgpr_workitem_id 1
		.amdhsa_next_free_vgpr 74
		.amdhsa_next_free_sgpr 22
		.amdhsa_accum_offset 76
		.amdhsa_reserve_vcc 1
		.amdhsa_reserve_flat_scratch 0
		.amdhsa_float_round_mode_32 0
		.amdhsa_float_round_mode_16_64 0
		.amdhsa_float_denorm_mode_32 3
		.amdhsa_float_denorm_mode_16_64 3
		.amdhsa_dx10_clamp 1
		.amdhsa_ieee_mode 1
		.amdhsa_fp16_overflow 0
		.amdhsa_tg_split 0
		.amdhsa_exception_fp_ieee_invalid_op 0
		.amdhsa_exception_fp_denorm_src 0
		.amdhsa_exception_fp_ieee_div_zero 0
		.amdhsa_exception_fp_ieee_overflow 0
		.amdhsa_exception_fp_ieee_underflow 0
		.amdhsa_exception_fp_ieee_inexact 0
		.amdhsa_exception_int_div_zero 0
	.end_amdhsa_kernel
	.section	.text._ZN12_GLOBAL__N_127rocblas_gemm_batched_kernelIfLi16ELi16ELi64ELi64ELi4ELi64ELi4ELi4ELi64ELc78ELc78EKfS1_fEEvlllT_PT11_llS4_llS2_PT12_llPT13_lli,"axG",@progbits,_ZN12_GLOBAL__N_127rocblas_gemm_batched_kernelIfLi16ELi16ELi64ELi64ELi4ELi64ELi4ELi4ELi64ELc78ELc78EKfS1_fEEvlllT_PT11_llS4_llS2_PT12_llPT13_lli,comdat
.Lfunc_end31:
	.size	_ZN12_GLOBAL__N_127rocblas_gemm_batched_kernelIfLi16ELi16ELi64ELi64ELi4ELi64ELi4ELi4ELi64ELc78ELc78EKfS1_fEEvlllT_PT11_llS4_llS2_PT12_llPT13_lli, .Lfunc_end31-_ZN12_GLOBAL__N_127rocblas_gemm_batched_kernelIfLi16ELi16ELi64ELi64ELi4ELi64ELi4ELi4ELi64ELc78ELc78EKfS1_fEEvlllT_PT11_llS4_llS2_PT12_llPT13_lli
                                        ; -- End function
	.section	.AMDGPU.csdata,"",@progbits
; Kernel info:
; codeLenInByte = 2212
; NumSgprs: 26
; NumVgprs: 74
; NumAgprs: 0
; TotalNumVgprs: 74
; ScratchSize: 0
; MemoryBound: 0
; FloatMode: 240
; IeeeMode: 1
; LDSByteSize: 2048 bytes/workgroup (compile time only)
; SGPRBlocks: 3
; VGPRBlocks: 9
; NumSGPRsForWavesPerEU: 26
; NumVGPRsForWavesPerEU: 74
; AccumOffset: 76
; Occupancy: 6
; WaveLimiterHint : 0
; COMPUTE_PGM_RSRC2:SCRATCH_EN: 0
; COMPUTE_PGM_RSRC2:USER_SGPR: 6
; COMPUTE_PGM_RSRC2:TRAP_HANDLER: 0
; COMPUTE_PGM_RSRC2:TGID_X_EN: 1
; COMPUTE_PGM_RSRC2:TGID_Y_EN: 1
; COMPUTE_PGM_RSRC2:TGID_Z_EN: 1
; COMPUTE_PGM_RSRC2:TIDIG_COMP_CNT: 1
; COMPUTE_PGM_RSRC3_GFX90A:ACCUM_OFFSET: 18
; COMPUTE_PGM_RSRC3_GFX90A:TG_SPLIT: 0
	.section	.text._ZN12_GLOBAL__N_127rocblas_gemm_batched_kernelIfLi16ELi16ELi64ELi64ELi4ELi64ELi4ELi4ELi64ELc84ELc78EKfS1_fEEvlllT_PT11_llS4_llS2_PT12_llPT13_lli,"axG",@progbits,_ZN12_GLOBAL__N_127rocblas_gemm_batched_kernelIfLi16ELi16ELi64ELi64ELi4ELi64ELi4ELi4ELi64ELc84ELc78EKfS1_fEEvlllT_PT11_llS4_llS2_PT12_llPT13_lli,comdat
	.globl	_ZN12_GLOBAL__N_127rocblas_gemm_batched_kernelIfLi16ELi16ELi64ELi64ELi4ELi64ELi4ELi4ELi64ELc84ELc78EKfS1_fEEvlllT_PT11_llS4_llS2_PT12_llPT13_lli ; -- Begin function _ZN12_GLOBAL__N_127rocblas_gemm_batched_kernelIfLi16ELi16ELi64ELi64ELi4ELi64ELi4ELi4ELi64ELc84ELc78EKfS1_fEEvlllT_PT11_llS4_llS2_PT12_llPT13_lli
	.p2align	8
	.type	_ZN12_GLOBAL__N_127rocblas_gemm_batched_kernelIfLi16ELi16ELi64ELi64ELi4ELi64ELi4ELi4ELi64ELc84ELc78EKfS1_fEEvlllT_PT11_llS4_llS2_PT12_llPT13_lli,@function
_ZN12_GLOBAL__N_127rocblas_gemm_batched_kernelIfLi16ELi16ELi64ELi64ELi4ELi64ELi4ELi4ELi64ELc84ELc78EKfS1_fEEvlllT_PT11_llS4_llS2_PT12_llPT13_lli: ; @_ZN12_GLOBAL__N_127rocblas_gemm_batched_kernelIfLi16ELi16ELi64ELi64ELi4ELi64ELi4ELi4ELi64ELc84ELc78EKfS1_fEEvlllT_PT11_llS4_llS2_PT12_llPT13_lli
; %bb.0:
	s_load_dwordx2 s[2:3], s[4:5], 0x10
	s_mov_b32 s0, s7
	s_ashr_i32 s1, s0, 31
	s_ashr_i32 s7, s6, 31
	s_lshl_b64 s[10:11], s[0:1], 6
	s_waitcnt lgkmcnt(0)
	v_cmp_lt_i64_e64 s[0:1], s[2:3], 1
	v_bfe_u32 v23, v0, 10, 10
	v_and_b32_e32 v22, 0x3ff, v0
	s_lshl_b64 s[6:7], s[6:7], 6
	s_and_b64 vcc, exec, s[0:1]
	s_cbranch_vccnz .LBB32_3
; %bb.1:
	s_load_dwordx8 s[12:19], s[4:5], 0x20
	s_load_dwordx4 s[20:23], s[4:5], 0x40
	v_lshlrev_b32_e32 v0, 4, v23
	v_add_u32_e32 v1, v0, v22
	v_and_b32_e32 v5, 3, v22
	v_and_b32_e32 v6, 63, v1
	v_lshrrev_b32_e32 v2, 2, v1
	v_lshrrev_b32_e32 v7, 6, v1
	v_lshlrev_b32_e32 v1, 2, v6
	v_lshlrev_b32_e32 v5, 2, v5
	v_mov_b32_e32 v3, s11
	v_add_co_u32_e32 v4, vcc, s10, v2
	v_lshl_or_b32 v24, v7, 8, v1
	v_lshl_or_b32 v1, v2, 4, v5
	v_addc_co_u32_e32 v3, vcc, 0, v3, vcc
	v_add_u32_e32 v25, 0x400, v1
	v_add_u32_e32 v27, 0x400, v0
	s_waitcnt lgkmcnt(0)
	v_mad_u64_u32 v[0:1], s[0:1], s20, v4, 0
	v_mul_lo_u32 v2, s21, v4
	v_mul_lo_u32 v3, s20, v3
	s_mul_i32 s0, s23, s8
	s_mul_hi_u32 s1, s22, s8
	v_add3_u32 v1, v1, v3, v2
	s_add_i32 s1, s1, s0
	s_mul_i32 s0, s22, s8
	v_lshlrev_b64 v[0:1], 2, v[0:1]
	s_lshl_b64 s[0:1], s[0:1], 2
	v_mov_b32_e32 v2, s1
	v_add_co_u32_e32 v0, vcc, s0, v0
	v_addc_co_u32_e32 v1, vcc, v1, v2, vcc
	v_add_co_u32_e32 v0, vcc, v0, v5
	v_addc_co_u32_e32 v1, vcc, 0, v1, vcc
	v_mov_b32_e32 v2, s19
	v_add_co_u32_e32 v8, vcc, s18, v0
	v_addc_co_u32_e32 v9, vcc, v2, v1, vcc
	v_mov_b32_e32 v0, s7
	v_add_co_u32_e32 v1, vcc, s6, v6
	v_addc_co_u32_e32 v0, vcc, 0, v0, vcc
	v_mul_lo_u32 v2, s15, v1
	v_mul_lo_u32 v3, s14, v0
	v_mad_u64_u32 v[0:1], s[0:1], s14, v1, 0
	s_mul_i32 s0, s17, s8
	s_mul_hi_u32 s1, s16, s8
	v_add3_u32 v1, v1, v3, v2
	s_add_i32 s1, s1, s0
	s_mul_i32 s0, s16, s8
	v_lshlrev_b64 v[0:1], 2, v[0:1]
	s_lshl_b64 s[0:1], s[0:1], 2
	v_mov_b32_e32 v2, s1
	v_add_co_u32_e32 v0, vcc, s0, v0
	v_addc_co_u32_e32 v1, vcc, v1, v2, vcc
	v_lshlrev_b32_e32 v2, 2, v7
	v_add_co_u32_e32 v0, vcc, v0, v2
	v_addc_co_u32_e32 v1, vcc, 0, v1, vcc
	v_mov_b32_e32 v2, s13
	v_add_co_u32_e32 v10, vcc, s12, v0
	v_mov_b32_e32 v14, 0
	v_lshlrev_b32_e32 v26, 2, v22
	v_addc_co_u32_e32 v11, vcc, v2, v1, vcc
	s_mov_b64 s[0:1], 0
	v_pk_mov_b32 v[12:13], s[2:3], s[2:3] op_sel:[0,1]
	v_mov_b32_e32 v15, 0
	v_mov_b32_e32 v16, 0
	;; [unrolled: 1-line block ×15, first 2 shown]
.LBB32_2:                               ; =>This Inner Loop Header: Depth=1
	global_load_dword v28, v[10:11], off
	s_add_u32 s0, s0, 4
	s_addc_u32 s1, s1, 0
	s_waitcnt vmcnt(0)
	ds_write_b32 v24, v28
	global_load_dword v28, v[8:9], off
	v_add_co_u32_e32 v8, vcc, 16, v8
	v_addc_co_u32_e32 v9, vcc, 0, v9, vcc
	v_add_co_u32_e32 v10, vcc, 16, v10
	v_addc_co_u32_e32 v11, vcc, 0, v11, vcc
	v_cmp_lt_i64_e32 vcc, s[0:1], v[12:13]
	s_and_b64 vcc, exec, vcc
	s_waitcnt vmcnt(0)
	ds_write_b32 v25, v28
	s_waitcnt lgkmcnt(0)
	s_barrier
	ds_read2_b32 v[44:45], v26 offset1:16
	ds_read2_b32 v[46:47], v26 offset0:32 offset1:48
	ds_read2_b32 v[48:49], v26 offset0:64 offset1:80
	;; [unrolled: 1-line block ×3, first 2 shown]
	ds_read_b128 v[28:31], v27
	ds_read_b128 v[32:35], v27 offset:256
	ds_read_b128 v[36:39], v27 offset:512
	;; [unrolled: 1-line block ×3, first 2 shown]
	s_waitcnt lgkmcnt(4)
	v_mov_b32_e32 v53, v51
	s_waitcnt lgkmcnt(3)
	v_fmac_f32_e32 v20, v45, v28
	v_fmac_f32_e32 v19, v46, v28
	s_waitcnt lgkmcnt(2)
	v_fmac_f32_e32 v18, v45, v32
	v_fmac_f32_e32 v17, v46, v32
	;; [unrolled: 3-line block ×4, first 2 shown]
	v_fmac_f32_e32 v19, v50, v29
	v_fmac_f32_e32 v18, v49, v33
	;; [unrolled: 1-line block ×6, first 2 shown]
	v_mul_f32_e32 v49, v50, v41
	ds_read2_b32 v[50:51], v26 offset0:128 offset1:144
	ds_read2_b32 v[62:63], v26 offset0:160 offset1:176
	ds_read2_b32 v[64:65], v26 offset0:192 offset1:208
	ds_read2_b32 v[66:67], v26 offset0:224 offset1:240
	v_mov_b32_e32 v52, v47
	v_fmac_f32_e32 v21, v44, v28
	v_pk_mul_f32 v[54:55], v[52:53], v[28:29]
	v_fmac_f32_e32 v21, v48, v29
	v_mul_f32_e32 v28, v44, v32
	v_pk_mul_f32 v[56:57], v[52:53], v[32:33]
	s_waitcnt lgkmcnt(2)
	v_mov_b32_e32 v68, v63
	s_waitcnt lgkmcnt(0)
	v_mov_b32_e32 v69, v67
	v_mov_b32_e32 v29, v54
	v_mul_f32_e32 v32, v48, v33
	v_mul_f32_e32 v58, v44, v36
	v_fmac_f32_e32 v21, v50, v30
	v_fmac_f32_e32 v20, v51, v30
	;; [unrolled: 1-line block ×3, first 2 shown]
	v_pk_mul_f32 v[70:71], v[68:69], v[30:31]
	v_pk_add_f32 v[6:7], v[6:7], v[28:29]
	v_mov_b32_e32 v33, v55
	v_mov_b32_e32 v59, v56
	v_pk_mul_f32 v[60:61], v[52:53], v[36:37]
	v_mul_f32_e32 v36, v48, v37
	v_fmac_f32_e32 v21, v64, v31
	v_fmac_f32_e32 v20, v65, v31
	;; [unrolled: 1-line block ×3, first 2 shown]
	v_mul_f32_e32 v30, v50, v34
	v_pk_add_f32 v[6:7], v[6:7], v[32:33]
	v_mov_b32_e32 v31, v70
	v_pk_mul_f32 v[28:29], v[68:69], v[34:35]
	v_pk_add_f32 v[4:5], v[4:5], v[58:59]
	v_mov_b32_e32 v37, v57
	v_mul_f32_e32 v44, v44, v40
	v_pk_mul_f32 v[52:53], v[52:53], v[40:41]
	v_pk_add_f32 v[6:7], v[6:7], v[30:31]
	v_mul_f32_e32 v30, v50, v38
	v_pk_add_f32 v[4:5], v[4:5], v[36:37]
	v_mov_b32_e32 v31, v28
	v_mov_b32_e32 v45, v60
	v_mul_f32_e32 v47, v46, v40
	v_mul_f32_e32 v40, v48, v41
	v_pk_add_f32 v[4:5], v[4:5], v[30:31]
	v_pk_mul_f32 v[30:31], v[68:69], v[38:39]
	v_mul_f32_e32 v28, v64, v39
	v_pk_add_f32 v[2:3], v[2:3], v[44:45]
	v_mov_b32_e32 v41, v61
	v_mov_b32_e32 v46, v52
	v_pk_add_f32 v[4:5], v[4:5], v[28:29]
	v_mul_f32_e32 v28, v50, v42
	v_pk_add_f32 v[2:3], v[2:3], v[40:41]
	v_mov_b32_e32 v29, v30
	v_pk_mul_f32 v[32:33], v[68:69], v[42:43]
	v_pk_add_f32 v[0:1], v[0:1], v[46:47]
	v_mov_b32_e32 v48, v53
	v_pk_add_f32 v[2:3], v[2:3], v[28:29]
	v_mul_f32_e32 v29, v62, v42
	v_pk_add_f32 v[0:1], v[0:1], v[48:49]
	v_mov_b32_e32 v28, v32
	v_fmac_f32_e32 v18, v51, v34
	v_fmac_f32_e32 v17, v62, v34
	v_mul_f32_e32 v70, v64, v35
	v_fmac_f32_e32 v16, v51, v38
	v_fmac_f32_e32 v15, v62, v38
	;; [unrolled: 1-line block ×3, first 2 shown]
	v_pk_add_f32 v[0:1], v[0:1], v[28:29]
	v_mul_f32_e32 v30, v64, v43
	v_mul_f32_e32 v29, v66, v43
	v_mov_b32_e32 v28, v33
	v_pk_add_f32 v[6:7], v[6:7], v[70:71]
	v_fmac_f32_e32 v18, v65, v35
	v_fmac_f32_e32 v17, v66, v35
	v_fmac_f32_e32 v16, v65, v39
	v_fmac_f32_e32 v15, v66, v39
	v_pk_add_f32 v[2:3], v[2:3], v[30:31]
	v_fmac_f32_e32 v14, v65, v43
	v_pk_add_f32 v[0:1], v[0:1], v[28:29]
	s_barrier
	s_cbranch_vccnz .LBB32_2
	s_branch .LBB32_4
.LBB32_3:
	v_mov_b32_e32 v21, 0
	v_mov_b32_e32 v20, 0
	;; [unrolled: 1-line block ×16, first 2 shown]
.LBB32_4:
	s_load_dwordx4 s[0:3], s[4:5], 0x78
	s_load_dword s9, s[4:5], 0x18
	s_load_dword s20, s[4:5], 0x50
	s_load_dwordx8 s[12:19], s[4:5], 0x58
	v_mov_b32_e32 v8, s11
	s_waitcnt lgkmcnt(0)
	s_mul_i32 s3, s8, s3
	s_mul_hi_u32 s4, s8, s2
	s_add_i32 s3, s4, s3
	s_mul_i32 s2, s8, s2
	v_add_co_u32_e32 v10, vcc, s10, v23
	s_lshl_b64 s[2:3], s[2:3], 2
	v_addc_co_u32_e32 v13, vcc, 0, v8, vcc
	s_add_u32 s4, s18, s2
	v_mov_b32_e32 v9, s7
	v_add_co_u32_e32 v8, vcc, s6, v22
	s_addc_u32 s5, s19, s3
	v_cmp_neq_f32_e64 s[2:3], s20, 0
	v_addc_co_u32_e32 v9, vcc, 0, v9, vcc
	s_and_b64 vcc, exec, s[2:3]
	v_mul_lo_u32 v11, v13, s0
	v_mul_lo_u32 v12, v10, s1
	v_lshlrev_b64 v[8:9], 2, v[8:9]
	s_cbranch_vccnz .LBB32_8
; %bb.5:
	v_mad_u64_u32 v[22:23], s[2:3], v10, s0, 0
	v_add3_u32 v23, v23, v12, v11
	v_lshlrev_b64 v[22:23], 2, v[22:23]
	v_mov_b32_e32 v24, s5
	v_add_co_u32_e32 v22, vcc, s4, v22
	v_addc_co_u32_e32 v23, vcc, v24, v23, vcc
	v_add_co_u32_e32 v22, vcc, v22, v8
	v_mul_f32_e32 v24, s9, v21
	v_addc_co_u32_e32 v23, vcc, v23, v9, vcc
	global_store_dword v[22:23], v24, off
	v_mul_f32_e32 v24, s9, v20
	global_store_dword v[22:23], v24, off offset:64
	v_mul_f32_e32 v24, s9, v19
	global_store_dword v[22:23], v24, off offset:128
	v_mul_f32_e32 v24, s9, v7
	s_lshl_b64 s[2:3], s[0:1], 6
	global_store_dword v[22:23], v24, off offset:192
	v_mov_b32_e32 v25, s3
	v_add_co_u32_e32 v22, vcc, s2, v22
	v_mul_f32_e32 v24, s9, v6
	v_addc_co_u32_e32 v23, vcc, v23, v25, vcc
	global_store_dword v[22:23], v24, off
	v_mul_f32_e32 v24, s9, v18
	global_store_dword v[22:23], v24, off offset:64
	v_mul_f32_e32 v24, s9, v17
	global_store_dword v[22:23], v24, off offset:128
	v_mul_f32_e32 v24, s9, v5
	global_store_dword v[22:23], v24, off offset:192
	v_add_co_u32_e32 v22, vcc, s2, v22
	v_mul_f32_e32 v24, s9, v4
	v_addc_co_u32_e32 v23, vcc, v23, v25, vcc
	global_store_dword v[22:23], v24, off
	v_mul_f32_e32 v24, s9, v16
	global_store_dword v[22:23], v24, off offset:64
	v_mul_f32_e32 v24, s9, v15
	global_store_dword v[22:23], v24, off offset:128
	v_mul_f32_e32 v24, s9, v3
	global_store_dword v[22:23], v24, off offset:192
	;; [unrolled: 10-line block ×3, first 2 shown]
	s_cbranch_execnz .LBB32_7
.LBB32_6:
	s_mul_i32 s2, s8, s17
	s_mul_hi_u32 s3, s8, s16
	s_add_i32 s3, s3, s2
	s_mul_i32 s2, s8, s16
	s_lshl_b64 s[2:3], s[2:3], 2
	s_add_u32 s6, s12, s2
	s_addc_u32 s7, s13, s3
	v_mul_lo_u32 v13, v13, s14
	v_mul_lo_u32 v24, v10, s15
	v_mad_u64_u32 v[22:23], s[2:3], v10, s14, 0
	v_add3_u32 v23, v23, v24, v13
	v_lshlrev_b64 v[22:23], 2, v[22:23]
	v_mov_b32_e32 v13, s7
	v_add_co_u32_e32 v22, vcc, s6, v22
	v_addc_co_u32_e32 v13, vcc, v13, v23, vcc
	v_add_co_u32_e32 v22, vcc, v22, v8
	v_addc_co_u32_e32 v23, vcc, v13, v9, vcc
	global_load_dword v13, v[22:23], off
	v_mad_u64_u32 v[24:25], s[2:3], v10, s0, 0
	v_add3_u32 v25, v25, v12, v11
	v_lshlrev_b64 v[10:11], 2, v[24:25]
	v_mov_b32_e32 v26, s5
	v_add_co_u32_e32 v10, vcc, s4, v10
	v_addc_co_u32_e32 v11, vcc, v26, v11, vcc
	v_add_co_u32_e32 v8, vcc, v10, v8
	v_addc_co_u32_e32 v9, vcc, v11, v9, vcc
	s_lshl_b64 s[2:3], s[14:15], 6
	s_lshl_b64 s[0:1], s[0:1], 6
	s_waitcnt vmcnt(0)
	v_mul_f32_e32 v10, s20, v13
	v_fmac_f32_e32 v10, s9, v21
	global_store_dword v[8:9], v10, off
	global_load_dword v10, v[22:23], off offset:64
	v_mov_b32_e32 v13, s3
	s_waitcnt vmcnt(0)
	v_mul_f32_e32 v10, s20, v10
	v_fmac_f32_e32 v10, s9, v20
	global_store_dword v[8:9], v10, off offset:64
	global_load_dword v10, v[22:23], off offset:128
	s_waitcnt vmcnt(0)
	v_mul_f32_e32 v10, s20, v10
	v_fmac_f32_e32 v10, s9, v19
	global_store_dword v[8:9], v10, off offset:128
	global_load_dword v12, v[22:23], off offset:192
	v_add_co_u32_e32 v10, vcc, s2, v22
	v_addc_co_u32_e32 v11, vcc, v23, v13, vcc
	s_waitcnt vmcnt(0)
	v_mul_f32_e32 v12, s20, v12
	v_fmac_f32_e32 v12, s9, v7
	global_store_dword v[8:9], v12, off offset:192
	global_load_dword v7, v[10:11], off
	v_mov_b32_e32 v12, s1
	v_add_co_u32_e32 v8, vcc, s0, v8
	v_addc_co_u32_e32 v9, vcc, v9, v12, vcc
	s_waitcnt vmcnt(0)
	v_mul_f32_e32 v7, s20, v7
	v_fmac_f32_e32 v7, s9, v6
	global_store_dword v[8:9], v7, off
	global_load_dword v6, v[10:11], off offset:64
	s_waitcnt vmcnt(0)
	v_mul_f32_e32 v6, s20, v6
	v_fmac_f32_e32 v6, s9, v18
	global_store_dword v[8:9], v6, off offset:64
	global_load_dword v6, v[10:11], off offset:128
	s_waitcnt vmcnt(0)
	v_mul_f32_e32 v6, s20, v6
	v_fmac_f32_e32 v6, s9, v17
	global_store_dword v[8:9], v6, off offset:128
	global_load_dword v17, v[10:11], off offset:192
	v_add_co_u32_e32 v6, vcc, s2, v10
	v_addc_co_u32_e32 v7, vcc, v11, v13, vcc
	s_waitcnt vmcnt(0)
	v_mul_f32_e32 v10, s20, v17
	v_fmac_f32_e32 v10, s9, v5
	global_store_dword v[8:9], v10, off offset:192
	global_load_dword v5, v[6:7], off
	v_add_co_u32_e32 v8, vcc, s0, v8
	v_addc_co_u32_e32 v9, vcc, v9, v12, vcc
	s_waitcnt vmcnt(0)
	v_mul_f32_e32 v5, s20, v5
	v_fmac_f32_e32 v5, s9, v4
	global_store_dword v[8:9], v5, off
	global_load_dword v4, v[6:7], off offset:64
	s_waitcnt vmcnt(0)
	v_mul_f32_e32 v4, s20, v4
	v_fmac_f32_e32 v4, s9, v16
	global_store_dword v[8:9], v4, off offset:64
	global_load_dword v4, v[6:7], off offset:128
	s_waitcnt vmcnt(0)
	v_mul_f32_e32 v4, s20, v4
	v_fmac_f32_e32 v4, s9, v15
	global_store_dword v[8:9], v4, off offset:128
	global_load_dword v10, v[6:7], off offset:192
	v_add_co_u32_e32 v4, vcc, s2, v6
	v_addc_co_u32_e32 v5, vcc, v7, v13, vcc
	s_waitcnt vmcnt(0)
	v_mul_f32_e32 v6, s20, v10
	v_fmac_f32_e32 v6, s9, v3
	global_store_dword v[8:9], v6, off offset:192
	global_load_dword v3, v[4:5], off
	s_waitcnt vmcnt(0)
	v_mul_f32_e32 v6, s20, v3
	v_fmac_f32_e32 v6, s9, v2
	v_add_co_u32_e32 v2, vcc, s0, v8
	v_addc_co_u32_e32 v3, vcc, v9, v12, vcc
	global_store_dword v[2:3], v6, off
	global_load_dword v6, v[4:5], off offset:64
	s_waitcnt vmcnt(0)
	v_mul_f32_e32 v6, s20, v6
	v_fmac_f32_e32 v6, s9, v14
	global_store_dword v[2:3], v6, off offset:64
	global_load_dword v6, v[4:5], off offset:128
	s_waitcnt vmcnt(0)
	v_mul_f32_e32 v6, s20, v6
	v_fmac_f32_e32 v6, s9, v1
	global_store_dword v[2:3], v6, off offset:128
	;; [unrolled: 5-line block ×3, first 2 shown]
.LBB32_7:
	s_endpgm
.LBB32_8:
	s_branch .LBB32_6
	.section	.rodata,"a",@progbits
	.p2align	6, 0x0
	.amdhsa_kernel _ZN12_GLOBAL__N_127rocblas_gemm_batched_kernelIfLi16ELi16ELi64ELi64ELi4ELi64ELi4ELi4ELi64ELc84ELc78EKfS1_fEEvlllT_PT11_llS4_llS2_PT12_llPT13_lli
		.amdhsa_group_segment_fixed_size 2048
		.amdhsa_private_segment_fixed_size 0
		.amdhsa_kernarg_size 140
		.amdhsa_user_sgpr_count 6
		.amdhsa_user_sgpr_private_segment_buffer 1
		.amdhsa_user_sgpr_dispatch_ptr 0
		.amdhsa_user_sgpr_queue_ptr 0
		.amdhsa_user_sgpr_kernarg_segment_ptr 1
		.amdhsa_user_sgpr_dispatch_id 0
		.amdhsa_user_sgpr_flat_scratch_init 0
		.amdhsa_user_sgpr_kernarg_preload_length 0
		.amdhsa_user_sgpr_kernarg_preload_offset 0
		.amdhsa_user_sgpr_private_segment_size 0
		.amdhsa_uses_dynamic_stack 0
		.amdhsa_system_sgpr_private_segment_wavefront_offset 0
		.amdhsa_system_sgpr_workgroup_id_x 1
		.amdhsa_system_sgpr_workgroup_id_y 1
		.amdhsa_system_sgpr_workgroup_id_z 1
		.amdhsa_system_sgpr_workgroup_info 0
		.amdhsa_system_vgpr_workitem_id 1
		.amdhsa_next_free_vgpr 72
		.amdhsa_next_free_sgpr 24
		.amdhsa_accum_offset 72
		.amdhsa_reserve_vcc 1
		.amdhsa_reserve_flat_scratch 0
		.amdhsa_float_round_mode_32 0
		.amdhsa_float_round_mode_16_64 0
		.amdhsa_float_denorm_mode_32 3
		.amdhsa_float_denorm_mode_16_64 3
		.amdhsa_dx10_clamp 1
		.amdhsa_ieee_mode 1
		.amdhsa_fp16_overflow 0
		.amdhsa_tg_split 0
		.amdhsa_exception_fp_ieee_invalid_op 0
		.amdhsa_exception_fp_denorm_src 0
		.amdhsa_exception_fp_ieee_div_zero 0
		.amdhsa_exception_fp_ieee_overflow 0
		.amdhsa_exception_fp_ieee_underflow 0
		.amdhsa_exception_fp_ieee_inexact 0
		.amdhsa_exception_int_div_zero 0
	.end_amdhsa_kernel
	.section	.text._ZN12_GLOBAL__N_127rocblas_gemm_batched_kernelIfLi16ELi16ELi64ELi64ELi4ELi64ELi4ELi4ELi64ELc84ELc78EKfS1_fEEvlllT_PT11_llS4_llS2_PT12_llPT13_lli,"axG",@progbits,_ZN12_GLOBAL__N_127rocblas_gemm_batched_kernelIfLi16ELi16ELi64ELi64ELi4ELi64ELi4ELi4ELi64ELc84ELc78EKfS1_fEEvlllT_PT11_llS4_llS2_PT12_llPT13_lli,comdat
.Lfunc_end32:
	.size	_ZN12_GLOBAL__N_127rocblas_gemm_batched_kernelIfLi16ELi16ELi64ELi64ELi4ELi64ELi4ELi4ELi64ELc84ELc78EKfS1_fEEvlllT_PT11_llS4_llS2_PT12_llPT13_lli, .Lfunc_end32-_ZN12_GLOBAL__N_127rocblas_gemm_batched_kernelIfLi16ELi16ELi64ELi64ELi4ELi64ELi4ELi4ELi64ELc84ELc78EKfS1_fEEvlllT_PT11_llS4_llS2_PT12_llPT13_lli
                                        ; -- End function
	.section	.AMDGPU.csdata,"",@progbits
; Kernel info:
; codeLenInByte = 2224
; NumSgprs: 28
; NumVgprs: 72
; NumAgprs: 0
; TotalNumVgprs: 72
; ScratchSize: 0
; MemoryBound: 0
; FloatMode: 240
; IeeeMode: 1
; LDSByteSize: 2048 bytes/workgroup (compile time only)
; SGPRBlocks: 3
; VGPRBlocks: 8
; NumSGPRsForWavesPerEU: 28
; NumVGPRsForWavesPerEU: 72
; AccumOffset: 72
; Occupancy: 7
; WaveLimiterHint : 0
; COMPUTE_PGM_RSRC2:SCRATCH_EN: 0
; COMPUTE_PGM_RSRC2:USER_SGPR: 6
; COMPUTE_PGM_RSRC2:TRAP_HANDLER: 0
; COMPUTE_PGM_RSRC2:TGID_X_EN: 1
; COMPUTE_PGM_RSRC2:TGID_Y_EN: 1
; COMPUTE_PGM_RSRC2:TGID_Z_EN: 1
; COMPUTE_PGM_RSRC2:TIDIG_COMP_CNT: 1
; COMPUTE_PGM_RSRC3_GFX90A:ACCUM_OFFSET: 17
; COMPUTE_PGM_RSRC3_GFX90A:TG_SPLIT: 0
	.section	.text._ZN12_GLOBAL__N_127rocblas_gemm_batched_kernelIfLi16ELi16ELi64ELi64ELi4ELi64ELi4ELi4ELi64ELc78ELc84EKfS1_fEEvlllT_PT11_llS4_llS2_PT12_llPT13_lli,"axG",@progbits,_ZN12_GLOBAL__N_127rocblas_gemm_batched_kernelIfLi16ELi16ELi64ELi64ELi4ELi64ELi4ELi4ELi64ELc78ELc84EKfS1_fEEvlllT_PT11_llS4_llS2_PT12_llPT13_lli,comdat
	.globl	_ZN12_GLOBAL__N_127rocblas_gemm_batched_kernelIfLi16ELi16ELi64ELi64ELi4ELi64ELi4ELi4ELi64ELc78ELc84EKfS1_fEEvlllT_PT11_llS4_llS2_PT12_llPT13_lli ; -- Begin function _ZN12_GLOBAL__N_127rocblas_gemm_batched_kernelIfLi16ELi16ELi64ELi64ELi4ELi64ELi4ELi4ELi64ELc78ELc84EKfS1_fEEvlllT_PT11_llS4_llS2_PT12_llPT13_lli
	.p2align	8
	.type	_ZN12_GLOBAL__N_127rocblas_gemm_batched_kernelIfLi16ELi16ELi64ELi64ELi4ELi64ELi4ELi4ELi64ELc78ELc84EKfS1_fEEvlllT_PT11_llS4_llS2_PT12_llPT13_lli,@function
_ZN12_GLOBAL__N_127rocblas_gemm_batched_kernelIfLi16ELi16ELi64ELi64ELi4ELi64ELi4ELi4ELi64ELc78ELc84EKfS1_fEEvlllT_PT11_llS4_llS2_PT12_llPT13_lli: ; @_ZN12_GLOBAL__N_127rocblas_gemm_batched_kernelIfLi16ELi16ELi64ELi64ELi4ELi64ELi4ELi4ELi64ELc78ELc84EKfS1_fEEvlllT_PT11_llS4_llS2_PT12_llPT13_lli
; %bb.0:
	s_load_dwordx2 s[20:21], s[4:5], 0x10
	s_mov_b32 s0, s7
	s_ashr_i32 s1, s0, 31
	s_ashr_i32 s7, s6, 31
	s_lshl_b64 s[10:11], s[0:1], 6
	s_waitcnt lgkmcnt(0)
	v_cmp_lt_i64_e64 s[0:1], s[20:21], 1
	v_bfe_u32 v35, v0, 10, 10
	v_and_b32_e32 v34, 0x3ff, v0
	s_lshl_b64 s[6:7], s[6:7], 6
	s_and_b64 vcc, exec, s[0:1]
	s_cbranch_vccnz .LBB33_3
; %bb.1:
	v_lshlrev_b32_e32 v2, 4, v35
	s_load_dwordx8 s[12:19], s[4:5], 0x20
	s_load_dwordx4 s[0:3], s[4:5], 0x40
	v_add_u32_e32 v3, v2, v34
	v_and_b32_e32 v6, 63, v3
	v_lshrrev_b32_e32 v0, 2, v3
	v_and_b32_e32 v4, 3, v34
	v_lshrrev_b32_e32 v7, 6, v3
	v_lshlrev_b32_e32 v3, 2, v6
	v_lshl_or_b32 v36, v7, 8, v3
	v_lshlrev_b32_e32 v3, 2, v4
	v_mov_b32_e32 v1, 0
	v_lshl_or_b32 v3, v0, 4, v3
	v_add_u32_e32 v37, 0x400, v3
	v_add_u32_e32 v39, 0x400, v2
	s_waitcnt lgkmcnt(0)
	v_mad_u64_u32 v[2:3], s[22:23], v4, s0, v[0:1]
	s_mul_i32 s3, s3, s8
	s_mul_hi_u32 s9, s2, s8
	v_mov_b32_e32 v0, v3
	s_add_i32 s3, s9, s3
	s_mul_i32 s2, s2, s8
	v_mad_u64_u32 v[4:5], s[22:23], v4, s1, v[0:1]
	s_lshl_b64 s[2:3], s[2:3], 2
	v_mov_b32_e32 v3, v4
	v_mov_b32_e32 v0, s11
	v_add_co_u32_e32 v2, vcc, s10, v2
	v_addc_co_u32_e32 v3, vcc, v3, v0, vcc
	s_add_u32 s2, s18, s2
	v_lshlrev_b64 v[2:3], 2, v[2:3]
	s_addc_u32 s3, s19, s3
	v_mov_b32_e32 v0, s3
	v_add_co_u32_e32 v10, vcc, s2, v2
	v_addc_co_u32_e32 v11, vcc, v0, v3, vcc
	s_mul_i32 s2, s17, s8
	s_mul_hi_u32 s3, s16, s8
	v_pk_mov_b32 v[2:3], s[6:7], s[6:7] op_sel:[0,1]
	s_add_i32 s3, s3, s2
	s_mul_i32 s2, s16, s8
	v_mad_u64_u32 v[2:3], s[16:17], v7, s14, v[2:3]
	v_mov_b32_e32 v0, v3
	v_mad_u64_u32 v[4:5], s[16:17], v7, s15, v[0:1]
	s_lshl_b64 s[0:1], s[0:1], 4
	s_lshl_b64 s[2:3], s[2:3], 2
	v_mov_b32_e32 v3, v4
	v_add_co_u32_e32 v2, vcc, v2, v6
	v_addc_co_u32_e32 v3, vcc, 0, v3, vcc
	s_add_u32 s2, s12, s2
	v_lshlrev_b64 v[2:3], 2, v[2:3]
	s_addc_u32 s3, s13, s3
	v_mov_b32_e32 v0, s3
	v_add_co_u32_e32 v12, vcc, s2, v2
	s_lshl_b64 s[2:3], s[14:15], 4
	v_lshlrev_b32_e32 v38, 2, v34
	v_addc_co_u32_e32 v13, vcc, v0, v3, vcc
	s_mov_b64 s[12:13], 0
	v_mov_b32_e32 v40, s1
	v_mov_b32_e32 v41, s3
	v_pk_mov_b32 v[14:15], s[20:21], s[20:21] op_sel:[0,1]
	v_mov_b32_e32 v0, v1
	v_mov_b32_e32 v28, v1
	;; [unrolled: 1-line block ×15, first 2 shown]
.LBB33_2:                               ; =>This Inner Loop Header: Depth=1
	global_load_dword v16, v[12:13], off
	global_load_dword v17, v[10:11], off
	v_add_co_u32_e32 v10, vcc, s0, v10
	v_addc_co_u32_e32 v11, vcc, v11, v40, vcc
	s_add_u32 s12, s12, 4
	v_add_co_u32_e32 v12, vcc, s2, v12
	v_addc_co_u32_e32 v13, vcc, v13, v41, vcc
	s_addc_u32 s13, s13, 0
	v_cmp_lt_i64_e32 vcc, s[12:13], v[14:15]
	s_and_b64 vcc, exec, vcc
	s_waitcnt vmcnt(1)
	ds_write_b32 v36, v16
	s_waitcnt vmcnt(0)
	ds_write_b32 v37, v17
	s_waitcnt lgkmcnt(0)
	s_barrier
	ds_read2_b32 v[20:21], v38 offset1:16
	ds_read2_b32 v[16:17], v38 offset0:32 offset1:48
	ds_read2_b32 v[22:23], v38 offset0:64 offset1:80
	;; [unrolled: 1-line block ×4, first 2 shown]
	ds_read_b128 v[42:45], v39
	ds_read2_b32 v[50:51], v38 offset0:160 offset1:176
	ds_read2_b32 v[26:27], v38 offset0:192 offset1:208
	;; [unrolled: 1-line block ×3, first 2 shown]
	ds_read_b128 v[46:49], v39 offset:256
	s_waitcnt lgkmcnt(4)
	v_fmac_f32_e32 v33, v20, v42
	v_fmac_f32_e32 v32, v21, v42
	;; [unrolled: 1-line block ×3, first 2 shown]
	s_waitcnt lgkmcnt(3)
	v_mov_b32_e32 v56, v51
	s_waitcnt lgkmcnt(0)
	v_fmac_f32_e32 v30, v21, v46
	v_fmac_f32_e32 v29, v16, v46
	v_mov_b32_e32 v57, v53
	v_fmac_f32_e32 v33, v22, v43
	v_fmac_f32_e32 v32, v23, v43
	;; [unrolled: 1-line block ×5, first 2 shown]
	v_mov_b32_e32 v54, v17
	v_mov_b32_e32 v55, v19
	v_pk_mul_f32 v[66:67], v[56:57], v[44:45]
	v_fmac_f32_e32 v33, v24, v44
	v_fmac_f32_e32 v32, v25, v44
	v_fmac_f32_e32 v31, v50, v44
	v_fmac_f32_e32 v30, v25, v48
	v_fmac_f32_e32 v29, v50, v48
	v_mul_f32_e32 v58, v24, v48
	v_mul_f32_e32 v60, v20, v46
	;; [unrolled: 1-line block ×3, first 2 shown]
	v_pk_mul_f32 v[64:65], v[54:55], v[42:43]
	v_fmac_f32_e32 v33, v26, v45
	v_fmac_f32_e32 v32, v27, v45
	;; [unrolled: 1-line block ×3, first 2 shown]
	v_pk_mul_f32 v[68:69], v[54:55], v[46:47]
	v_pk_mul_f32 v[70:71], v[56:57], v[48:49]
	v_mov_b32_e32 v59, v66
	v_mul_f32_e32 v66, v26, v49
	v_fmac_f32_e32 v30, v27, v49
	v_fmac_f32_e32 v29, v52, v49
	ds_read_b128 v[42:45], v39 offset:512
	ds_read_b128 v[46:49], v39 offset:768
	v_mov_b32_e32 v61, v64
	v_mov_b32_e32 v75, v68
	;; [unrolled: 1-line block ×3, first 2 shown]
	s_waitcnt lgkmcnt(1)
	v_fmac_f32_e32 v28, v21, v42
	v_fmac_f32_e32 v0, v16, v42
	;; [unrolled: 1-line block ×4, first 2 shown]
	v_mul_f32_e32 v74, v20, v42
	v_mul_f32_e32 v76, v22, v43
	v_pk_mul_f32 v[42:43], v[54:55], v[42:43]
	s_waitcnt lgkmcnt(0)
	v_fmac_f32_e32 v1, v21, v46
	v_fmac_f32_e32 v1, v23, v47
	v_mov_b32_e32 v21, v42
	v_mov_b32_e32 v23, v43
	v_pk_mul_f32 v[42:43], v[54:55], v[46:47]
	v_fmac_f32_e32 v28, v25, v44
	v_fmac_f32_e32 v0, v50, v44
	v_mul_f32_e32 v20, v20, v46
	v_mul_f32_e32 v17, v16, v46
	v_mov_b32_e32 v16, v42
	v_mul_f32_e32 v72, v24, v44
	v_mul_f32_e32 v70, v26, v45
	v_fmac_f32_e32 v28, v27, v45
	v_fmac_f32_e32 v0, v52, v45
	v_pk_mul_f32 v[44:45], v[56:57], v[44:45]
	v_mov_b32_e32 v63, v65
	v_mov_b32_e32 v77, v69
	v_mul_f32_e32 v22, v22, v47
	v_mul_f32_e32 v19, v18, v47
	v_mov_b32_e32 v18, v43
	v_mul_f32_e32 v43, v50, v48
	v_pk_mul_f32 v[50:51], v[56:57], v[48:49]
	v_pk_add_f32 v[8:9], v[8:9], v[60:61]
	v_pk_add_f32 v[6:7], v[6:7], v[74:75]
	;; [unrolled: 1-line block ×4, first 2 shown]
	v_mov_b32_e32 v42, v50
	v_fmac_f32_e32 v1, v25, v48
	v_mul_f32_e32 v24, v24, v48
	v_mov_b32_e32 v25, v44
	v_pk_add_f32 v[8:9], v[8:9], v[62:63]
	v_pk_add_f32 v[6:7], v[6:7], v[76:77]
	;; [unrolled: 1-line block ×4, first 2 shown]
	v_mul_f32_e32 v47, v52, v49
	v_mov_b32_e32 v46, v51
	v_mul_f32_e32 v44, v26, v49
	v_pk_add_f32 v[8:9], v[8:9], v[58:59]
	v_pk_add_f32 v[6:7], v[6:7], v[72:73]
	;; [unrolled: 1-line block ×4, first 2 shown]
	v_fmac_f32_e32 v1, v27, v49
	v_pk_add_f32 v[8:9], v[8:9], v[66:67]
	v_pk_add_f32 v[6:7], v[6:7], v[70:71]
	;; [unrolled: 1-line block ×4, first 2 shown]
	s_barrier
	s_cbranch_vccnz .LBB33_2
	s_branch .LBB33_4
.LBB33_3:
	v_mov_b32_e32 v33, 0
	v_mov_b32_e32 v32, 0
	;; [unrolled: 1-line block ×16, first 2 shown]
.LBB33_4:
	s_load_dwordx4 s[0:3], s[4:5], 0x78
	s_load_dword s9, s[4:5], 0x18
	s_load_dword s20, s[4:5], 0x50
	s_load_dwordx8 s[12:19], s[4:5], 0x58
	v_mov_b32_e32 v10, s11
	s_waitcnt lgkmcnt(0)
	s_mul_i32 s3, s8, s3
	s_mul_hi_u32 s4, s8, s2
	s_add_i32 s3, s4, s3
	s_mul_i32 s2, s8, s2
	v_add_co_u32_e32 v12, vcc, s10, v35
	s_lshl_b64 s[2:3], s[2:3], 2
	v_addc_co_u32_e32 v15, vcc, 0, v10, vcc
	s_add_u32 s4, s18, s2
	v_mov_b32_e32 v11, s7
	v_add_co_u32_e32 v10, vcc, s6, v34
	s_addc_u32 s5, s19, s3
	v_cmp_neq_f32_e64 s[2:3], s20, 0
	v_addc_co_u32_e32 v11, vcc, 0, v11, vcc
	s_and_b64 vcc, exec, s[2:3]
	v_mul_lo_u32 v13, v15, s0
	v_mul_lo_u32 v14, v12, s1
	v_lshlrev_b64 v[10:11], 2, v[10:11]
	s_cbranch_vccnz .LBB33_8
; %bb.5:
	v_mad_u64_u32 v[16:17], s[2:3], v12, s0, 0
	v_add3_u32 v17, v17, v14, v13
	v_lshlrev_b64 v[16:17], 2, v[16:17]
	v_mov_b32_e32 v18, s5
	v_add_co_u32_e32 v16, vcc, s4, v16
	v_addc_co_u32_e32 v17, vcc, v18, v17, vcc
	v_add_co_u32_e32 v16, vcc, v16, v10
	v_mul_f32_e32 v18, s9, v33
	v_addc_co_u32_e32 v17, vcc, v17, v11, vcc
	global_store_dword v[16:17], v18, off
	v_mul_f32_e32 v18, s9, v32
	global_store_dword v[16:17], v18, off offset:64
	v_mul_f32_e32 v18, s9, v31
	global_store_dword v[16:17], v18, off offset:128
	v_mul_f32_e32 v18, s9, v9
	s_lshl_b64 s[2:3], s[0:1], 6
	global_store_dword v[16:17], v18, off offset:192
	v_mov_b32_e32 v19, s3
	v_add_co_u32_e32 v16, vcc, s2, v16
	v_mul_f32_e32 v18, s9, v8
	v_addc_co_u32_e32 v17, vcc, v17, v19, vcc
	global_store_dword v[16:17], v18, off
	v_mul_f32_e32 v18, s9, v30
	global_store_dword v[16:17], v18, off offset:64
	v_mul_f32_e32 v18, s9, v29
	global_store_dword v[16:17], v18, off offset:128
	v_mul_f32_e32 v18, s9, v7
	global_store_dword v[16:17], v18, off offset:192
	v_add_co_u32_e32 v16, vcc, s2, v16
	v_mul_f32_e32 v18, s9, v6
	v_addc_co_u32_e32 v17, vcc, v17, v19, vcc
	global_store_dword v[16:17], v18, off
	v_mul_f32_e32 v18, s9, v28
	global_store_dword v[16:17], v18, off offset:64
	v_mul_f32_e32 v18, s9, v0
	global_store_dword v[16:17], v18, off offset:128
	v_mul_f32_e32 v18, s9, v5
	global_store_dword v[16:17], v18, off offset:192
	;; [unrolled: 10-line block ×3, first 2 shown]
	s_cbranch_execnz .LBB33_7
.LBB33_6:
	s_mul_i32 s2, s8, s17
	s_mul_hi_u32 s3, s8, s16
	s_add_i32 s3, s3, s2
	s_mul_i32 s2, s8, s16
	s_lshl_b64 s[2:3], s[2:3], 2
	s_add_u32 s6, s12, s2
	s_addc_u32 s7, s13, s3
	v_mul_lo_u32 v15, v15, s14
	v_mul_lo_u32 v18, v12, s15
	v_mad_u64_u32 v[16:17], s[2:3], v12, s14, 0
	v_add3_u32 v17, v17, v18, v15
	v_lshlrev_b64 v[16:17], 2, v[16:17]
	v_mov_b32_e32 v15, s7
	v_add_co_u32_e32 v16, vcc, s6, v16
	v_addc_co_u32_e32 v15, vcc, v15, v17, vcc
	v_add_co_u32_e32 v16, vcc, v16, v10
	v_addc_co_u32_e32 v17, vcc, v15, v11, vcc
	global_load_dword v15, v[16:17], off
	v_mad_u64_u32 v[18:19], s[2:3], v12, s0, 0
	v_add3_u32 v19, v19, v14, v13
	v_lshlrev_b64 v[12:13], 2, v[18:19]
	v_mov_b32_e32 v20, s5
	v_add_co_u32_e32 v12, vcc, s4, v12
	v_addc_co_u32_e32 v13, vcc, v20, v13, vcc
	v_add_co_u32_e32 v10, vcc, v12, v10
	v_addc_co_u32_e32 v11, vcc, v13, v11, vcc
	s_lshl_b64 s[2:3], s[14:15], 6
	s_lshl_b64 s[0:1], s[0:1], 6
	s_waitcnt vmcnt(0)
	v_mul_f32_e32 v12, s20, v15
	v_fmac_f32_e32 v12, s9, v33
	global_store_dword v[10:11], v12, off
	global_load_dword v12, v[16:17], off offset:64
	v_mov_b32_e32 v15, s3
	s_waitcnt vmcnt(0)
	v_mul_f32_e32 v12, s20, v12
	v_fmac_f32_e32 v12, s9, v32
	global_store_dword v[10:11], v12, off offset:64
	global_load_dword v12, v[16:17], off offset:128
	s_waitcnt vmcnt(0)
	v_mul_f32_e32 v12, s20, v12
	v_fmac_f32_e32 v12, s9, v31
	global_store_dword v[10:11], v12, off offset:128
	global_load_dword v14, v[16:17], off offset:192
	v_add_co_u32_e32 v12, vcc, s2, v16
	v_addc_co_u32_e32 v13, vcc, v17, v15, vcc
	s_waitcnt vmcnt(0)
	v_mul_f32_e32 v14, s20, v14
	v_fmac_f32_e32 v14, s9, v9
	global_store_dword v[10:11], v14, off offset:192
	global_load_dword v9, v[12:13], off
	v_mov_b32_e32 v14, s1
	v_add_co_u32_e32 v10, vcc, s0, v10
	v_addc_co_u32_e32 v11, vcc, v11, v14, vcc
	s_waitcnt vmcnt(0)
	v_mul_f32_e32 v9, s20, v9
	v_fmac_f32_e32 v9, s9, v8
	global_store_dword v[10:11], v9, off
	global_load_dword v8, v[12:13], off offset:64
	s_waitcnt vmcnt(0)
	v_mul_f32_e32 v8, s20, v8
	v_fmac_f32_e32 v8, s9, v30
	global_store_dword v[10:11], v8, off offset:64
	global_load_dword v8, v[12:13], off offset:128
	s_waitcnt vmcnt(0)
	v_mul_f32_e32 v8, s20, v8
	v_fmac_f32_e32 v8, s9, v29
	global_store_dword v[10:11], v8, off offset:128
	global_load_dword v16, v[12:13], off offset:192
	v_add_co_u32_e32 v8, vcc, s2, v12
	v_addc_co_u32_e32 v9, vcc, v13, v15, vcc
	s_waitcnt vmcnt(0)
	v_mul_f32_e32 v12, s20, v16
	v_fmac_f32_e32 v12, s9, v7
	global_store_dword v[10:11], v12, off offset:192
	global_load_dword v7, v[8:9], off
	v_add_co_u32_e32 v10, vcc, s0, v10
	v_addc_co_u32_e32 v11, vcc, v11, v14, vcc
	s_waitcnt vmcnt(0)
	v_mul_f32_e32 v7, s20, v7
	v_fmac_f32_e32 v7, s9, v6
	global_store_dword v[10:11], v7, off
	global_load_dword v6, v[8:9], off offset:64
	s_waitcnt vmcnt(0)
	v_mul_f32_e32 v6, s20, v6
	v_fmac_f32_e32 v6, s9, v28
	global_store_dword v[10:11], v6, off offset:64
	global_load_dword v6, v[8:9], off offset:128
	s_waitcnt vmcnt(0)
	v_mul_f32_e32 v6, s20, v6
	v_fmac_f32_e32 v6, s9, v0
	global_store_dword v[10:11], v6, off offset:128
	global_load_dword v0, v[8:9], off offset:192
	v_add_co_u32_e32 v6, vcc, s2, v8
	v_addc_co_u32_e32 v7, vcc, v9, v15, vcc
	s_waitcnt vmcnt(0)
	v_mul_f32_e32 v0, s20, v0
	v_fmac_f32_e32 v0, s9, v5
	global_store_dword v[10:11], v0, off offset:192
	global_load_dword v0, v[6:7], off
	s_waitcnt vmcnt(0)
	v_mul_f32_e32 v0, s20, v0
	v_fmac_f32_e32 v0, s9, v4
	v_add_co_u32_e32 v4, vcc, s0, v10
	v_addc_co_u32_e32 v5, vcc, v11, v14, vcc
	global_store_dword v[4:5], v0, off
	global_load_dword v0, v[6:7], off offset:64
	s_waitcnt vmcnt(0)
	v_mul_f32_e32 v0, s20, v0
	v_fmac_f32_e32 v0, s9, v1
	global_store_dword v[4:5], v0, off offset:64
	global_load_dword v0, v[6:7], off offset:128
	s_waitcnt vmcnt(0)
	v_mul_f32_e32 v0, s20, v0
	v_fmac_f32_e32 v0, s9, v3
	global_store_dword v[4:5], v0, off offset:128
	;; [unrolled: 5-line block ×3, first 2 shown]
.LBB33_7:
	s_endpgm
.LBB33_8:
	s_branch .LBB33_6
	.section	.rodata,"a",@progbits
	.p2align	6, 0x0
	.amdhsa_kernel _ZN12_GLOBAL__N_127rocblas_gemm_batched_kernelIfLi16ELi16ELi64ELi64ELi4ELi64ELi4ELi4ELi64ELc78ELc84EKfS1_fEEvlllT_PT11_llS4_llS2_PT12_llPT13_lli
		.amdhsa_group_segment_fixed_size 2048
		.amdhsa_private_segment_fixed_size 0
		.amdhsa_kernarg_size 140
		.amdhsa_user_sgpr_count 6
		.amdhsa_user_sgpr_private_segment_buffer 1
		.amdhsa_user_sgpr_dispatch_ptr 0
		.amdhsa_user_sgpr_queue_ptr 0
		.amdhsa_user_sgpr_kernarg_segment_ptr 1
		.amdhsa_user_sgpr_dispatch_id 0
		.amdhsa_user_sgpr_flat_scratch_init 0
		.amdhsa_user_sgpr_kernarg_preload_length 0
		.amdhsa_user_sgpr_kernarg_preload_offset 0
		.amdhsa_user_sgpr_private_segment_size 0
		.amdhsa_uses_dynamic_stack 0
		.amdhsa_system_sgpr_private_segment_wavefront_offset 0
		.amdhsa_system_sgpr_workgroup_id_x 1
		.amdhsa_system_sgpr_workgroup_id_y 1
		.amdhsa_system_sgpr_workgroup_id_z 1
		.amdhsa_system_sgpr_workgroup_info 0
		.amdhsa_system_vgpr_workitem_id 1
		.amdhsa_next_free_vgpr 78
		.amdhsa_next_free_sgpr 24
		.amdhsa_accum_offset 80
		.amdhsa_reserve_vcc 1
		.amdhsa_reserve_flat_scratch 0
		.amdhsa_float_round_mode_32 0
		.amdhsa_float_round_mode_16_64 0
		.amdhsa_float_denorm_mode_32 3
		.amdhsa_float_denorm_mode_16_64 3
		.amdhsa_dx10_clamp 1
		.amdhsa_ieee_mode 1
		.amdhsa_fp16_overflow 0
		.amdhsa_tg_split 0
		.amdhsa_exception_fp_ieee_invalid_op 0
		.amdhsa_exception_fp_denorm_src 0
		.amdhsa_exception_fp_ieee_div_zero 0
		.amdhsa_exception_fp_ieee_overflow 0
		.amdhsa_exception_fp_ieee_underflow 0
		.amdhsa_exception_fp_ieee_inexact 0
		.amdhsa_exception_int_div_zero 0
	.end_amdhsa_kernel
	.section	.text._ZN12_GLOBAL__N_127rocblas_gemm_batched_kernelIfLi16ELi16ELi64ELi64ELi4ELi64ELi4ELi4ELi64ELc78ELc84EKfS1_fEEvlllT_PT11_llS4_llS2_PT12_llPT13_lli,"axG",@progbits,_ZN12_GLOBAL__N_127rocblas_gemm_batched_kernelIfLi16ELi16ELi64ELi64ELi4ELi64ELi4ELi4ELi64ELc78ELc84EKfS1_fEEvlllT_PT11_llS4_llS2_PT12_llPT13_lli,comdat
.Lfunc_end33:
	.size	_ZN12_GLOBAL__N_127rocblas_gemm_batched_kernelIfLi16ELi16ELi64ELi64ELi4ELi64ELi4ELi4ELi64ELc78ELc84EKfS1_fEEvlllT_PT11_llS4_llS2_PT12_llPT13_lli, .Lfunc_end33-_ZN12_GLOBAL__N_127rocblas_gemm_batched_kernelIfLi16ELi16ELi64ELi64ELi4ELi64ELi4ELi4ELi64ELc78ELc84EKfS1_fEEvlllT_PT11_llS4_llS2_PT12_llPT13_lli
                                        ; -- End function
	.section	.AMDGPU.csdata,"",@progbits
; Kernel info:
; codeLenInByte = 2192
; NumSgprs: 28
; NumVgprs: 78
; NumAgprs: 0
; TotalNumVgprs: 78
; ScratchSize: 0
; MemoryBound: 0
; FloatMode: 240
; IeeeMode: 1
; LDSByteSize: 2048 bytes/workgroup (compile time only)
; SGPRBlocks: 3
; VGPRBlocks: 9
; NumSGPRsForWavesPerEU: 28
; NumVGPRsForWavesPerEU: 78
; AccumOffset: 80
; Occupancy: 6
; WaveLimiterHint : 0
; COMPUTE_PGM_RSRC2:SCRATCH_EN: 0
; COMPUTE_PGM_RSRC2:USER_SGPR: 6
; COMPUTE_PGM_RSRC2:TRAP_HANDLER: 0
; COMPUTE_PGM_RSRC2:TGID_X_EN: 1
; COMPUTE_PGM_RSRC2:TGID_Y_EN: 1
; COMPUTE_PGM_RSRC2:TGID_Z_EN: 1
; COMPUTE_PGM_RSRC2:TIDIG_COMP_CNT: 1
; COMPUTE_PGM_RSRC3_GFX90A:ACCUM_OFFSET: 19
; COMPUTE_PGM_RSRC3_GFX90A:TG_SPLIT: 0
	.section	.text._ZN12_GLOBAL__N_127rocblas_gemm_batched_kernelIfLi16ELi16ELi64ELi64ELi4ELi64ELi4ELi4ELi64ELc84ELc84EKfS1_fEEvlllT_PT11_llS4_llS2_PT12_llPT13_lli,"axG",@progbits,_ZN12_GLOBAL__N_127rocblas_gemm_batched_kernelIfLi16ELi16ELi64ELi64ELi4ELi64ELi4ELi4ELi64ELc84ELc84EKfS1_fEEvlllT_PT11_llS4_llS2_PT12_llPT13_lli,comdat
	.globl	_ZN12_GLOBAL__N_127rocblas_gemm_batched_kernelIfLi16ELi16ELi64ELi64ELi4ELi64ELi4ELi4ELi64ELc84ELc84EKfS1_fEEvlllT_PT11_llS4_llS2_PT12_llPT13_lli ; -- Begin function _ZN12_GLOBAL__N_127rocblas_gemm_batched_kernelIfLi16ELi16ELi64ELi64ELi4ELi64ELi4ELi4ELi64ELc84ELc84EKfS1_fEEvlllT_PT11_llS4_llS2_PT12_llPT13_lli
	.p2align	8
	.type	_ZN12_GLOBAL__N_127rocblas_gemm_batched_kernelIfLi16ELi16ELi64ELi64ELi4ELi64ELi4ELi4ELi64ELc84ELc84EKfS1_fEEvlllT_PT11_llS4_llS2_PT12_llPT13_lli,@function
_ZN12_GLOBAL__N_127rocblas_gemm_batched_kernelIfLi16ELi16ELi64ELi64ELi4ELi64ELi4ELi4ELi64ELc84ELc84EKfS1_fEEvlllT_PT11_llS4_llS2_PT12_llPT13_lli: ; @_ZN12_GLOBAL__N_127rocblas_gemm_batched_kernelIfLi16ELi16ELi64ELi64ELi4ELi64ELi4ELi4ELi64ELc84ELc84EKfS1_fEEvlllT_PT11_llS4_llS2_PT12_llPT13_lli
; %bb.0:
	s_load_dwordx2 s[20:21], s[4:5], 0x10
	s_mov_b32 s0, s7
	s_ashr_i32 s1, s0, 31
	s_ashr_i32 s7, s6, 31
	s_lshl_b64 s[10:11], s[0:1], 6
	s_waitcnt lgkmcnt(0)
	v_cmp_lt_i64_e64 s[0:1], s[20:21], 1
	v_bfe_u32 v23, v0, 10, 10
	v_and_b32_e32 v22, 0x3ff, v0
	s_lshl_b64 s[6:7], s[6:7], 6
	s_and_b64 vcc, exec, s[0:1]
	s_cbranch_vccnz .LBB34_3
; %bb.1:
	v_lshlrev_b32_e32 v2, 4, v23
	s_load_dwordx8 s[12:19], s[4:5], 0x20
	s_load_dwordx4 s[0:3], s[4:5], 0x40
	v_add_u32_e32 v3, v2, v22
	v_and_b32_e32 v6, 63, v3
	v_lshrrev_b32_e32 v0, 2, v3
	v_and_b32_e32 v4, 3, v22
	v_lshrrev_b32_e32 v7, 6, v3
	v_lshlrev_b32_e32 v3, 2, v6
	v_lshl_or_b32 v24, v7, 8, v3
	v_lshlrev_b32_e32 v3, 2, v4
	v_mov_b32_e32 v1, 0
	v_lshl_or_b32 v3, v0, 4, v3
	v_add_u32_e32 v25, 0x400, v3
	v_add_u32_e32 v27, 0x400, v2
	s_waitcnt lgkmcnt(0)
	v_mad_u64_u32 v[2:3], s[22:23], v4, s0, v[0:1]
	s_mul_i32 s3, s3, s8
	s_mul_hi_u32 s9, s2, s8
	v_mov_b32_e32 v0, v3
	s_add_i32 s3, s9, s3
	s_mul_i32 s2, s2, s8
	v_mad_u64_u32 v[4:5], s[22:23], v4, s1, v[0:1]
	s_lshl_b64 s[2:3], s[2:3], 2
	v_mov_b32_e32 v3, v4
	v_mov_b32_e32 v0, s11
	v_add_co_u32_e32 v2, vcc, s10, v2
	v_addc_co_u32_e32 v3, vcc, v3, v0, vcc
	s_add_u32 s2, s18, s2
	v_lshlrev_b64 v[2:3], 2, v[2:3]
	s_addc_u32 s3, s19, s3
	v_mov_b32_e32 v0, s3
	v_add_co_u32_e32 v10, vcc, s2, v2
	v_addc_co_u32_e32 v11, vcc, v0, v3, vcc
	v_mov_b32_e32 v0, s7
	v_add_co_u32_e32 v2, vcc, s6, v6
	v_addc_co_u32_e32 v0, vcc, 0, v0, vcc
	v_mul_lo_u32 v4, s15, v2
	v_mad_u64_u32 v[2:3], s[2:3], s14, v2, 0
	v_mul_lo_u32 v0, s14, v0
	s_mul_i32 s2, s17, s8
	s_mul_hi_u32 s3, s16, s8
	v_add3_u32 v3, v3, v0, v4
	s_add_i32 s3, s3, s2
	s_mul_i32 s2, s16, s8
	v_lshlrev_b64 v[2:3], 2, v[2:3]
	s_lshl_b64 s[2:3], s[2:3], 2
	v_mov_b32_e32 v0, s3
	v_add_co_u32_e32 v2, vcc, s2, v2
	v_addc_co_u32_e32 v0, vcc, v3, v0, vcc
	v_lshlrev_b32_e32 v3, 2, v7
	v_add_co_u32_e32 v2, vcc, v2, v3
	v_addc_co_u32_e32 v0, vcc, 0, v0, vcc
	s_lshl_b64 s[0:1], s[0:1], 4
	v_mov_b32_e32 v3, s13
	v_add_co_u32_e32 v12, vcc, s12, v2
	v_lshlrev_b32_e32 v26, 2, v22
	v_addc_co_u32_e32 v13, vcc, v3, v0, vcc
	s_mov_b64 s[2:3], 0
	v_mov_b32_e32 v28, s1
	v_pk_mov_b32 v[14:15], s[20:21], s[20:21] op_sel:[0,1]
	v_mov_b32_e32 v0, v1
	v_mov_b32_e32 v16, v1
	;; [unrolled: 1-line block ×15, first 2 shown]
.LBB34_2:                               ; =>This Inner Loop Header: Depth=1
	global_load_dword v29, v[12:13], off
	s_add_u32 s2, s2, 4
	s_addc_u32 s3, s3, 0
	s_waitcnt vmcnt(0)
	ds_write_b32 v24, v29
	global_load_dword v29, v[10:11], off
	v_add_co_u32_e32 v10, vcc, s0, v10
	v_addc_co_u32_e32 v11, vcc, v11, v28, vcc
	v_add_co_u32_e32 v12, vcc, 16, v12
	v_addc_co_u32_e32 v13, vcc, 0, v13, vcc
	v_cmp_lt_i64_e32 vcc, s[2:3], v[14:15]
	s_and_b64 vcc, exec, vcc
	s_waitcnt vmcnt(0)
	ds_write_b32 v25, v29
	s_waitcnt lgkmcnt(0)
	s_barrier
	ds_read2_b32 v[46:47], v26 offset1:16
	ds_read2_b32 v[48:49], v26 offset0:32 offset1:48
	ds_read2_b32 v[50:51], v26 offset0:64 offset1:80
	;; [unrolled: 1-line block ×3, first 2 shown]
	ds_read_b128 v[30:33], v27
	ds_read_b128 v[34:37], v27 offset:256
	ds_read_b128 v[38:41], v27 offset:512
	;; [unrolled: 1-line block ×3, first 2 shown]
	s_waitcnt lgkmcnt(4)
	v_mov_b32_e32 v55, v53
	s_waitcnt lgkmcnt(3)
	v_fmac_f32_e32 v20, v47, v30
	v_fmac_f32_e32 v19, v48, v30
	s_waitcnt lgkmcnt(2)
	v_fmac_f32_e32 v18, v47, v34
	v_fmac_f32_e32 v17, v48, v34
	;; [unrolled: 3-line block ×4, first 2 shown]
	v_fmac_f32_e32 v19, v52, v31
	v_fmac_f32_e32 v18, v51, v35
	;; [unrolled: 1-line block ×6, first 2 shown]
	v_mul_f32_e32 v51, v52, v43
	ds_read2_b32 v[52:53], v26 offset0:128 offset1:144
	ds_read2_b32 v[64:65], v26 offset0:160 offset1:176
	;; [unrolled: 1-line block ×4, first 2 shown]
	v_mov_b32_e32 v54, v49
	v_fmac_f32_e32 v21, v46, v30
	v_pk_mul_f32 v[56:57], v[54:55], v[30:31]
	v_fmac_f32_e32 v21, v50, v31
	v_mul_f32_e32 v30, v46, v34
	v_pk_mul_f32 v[58:59], v[54:55], v[34:35]
	s_waitcnt lgkmcnt(2)
	v_mov_b32_e32 v70, v65
	s_waitcnt lgkmcnt(0)
	v_mov_b32_e32 v71, v69
	v_mov_b32_e32 v31, v56
	v_mul_f32_e32 v34, v50, v35
	v_mul_f32_e32 v60, v46, v38
	v_fmac_f32_e32 v21, v52, v32
	v_fmac_f32_e32 v20, v53, v32
	;; [unrolled: 1-line block ×3, first 2 shown]
	v_pk_mul_f32 v[72:73], v[70:71], v[32:33]
	v_pk_add_f32 v[8:9], v[8:9], v[30:31]
	v_mov_b32_e32 v35, v57
	v_mov_b32_e32 v61, v58
	v_pk_mul_f32 v[62:63], v[54:55], v[38:39]
	v_mul_f32_e32 v38, v50, v39
	v_fmac_f32_e32 v21, v66, v33
	v_fmac_f32_e32 v20, v67, v33
	;; [unrolled: 1-line block ×3, first 2 shown]
	v_mul_f32_e32 v32, v52, v36
	v_pk_add_f32 v[8:9], v[8:9], v[34:35]
	v_mov_b32_e32 v33, v72
	v_pk_mul_f32 v[30:31], v[70:71], v[36:37]
	v_pk_add_f32 v[6:7], v[6:7], v[60:61]
	v_mov_b32_e32 v39, v59
	v_mul_f32_e32 v46, v46, v42
	v_pk_mul_f32 v[54:55], v[54:55], v[42:43]
	v_pk_add_f32 v[8:9], v[8:9], v[32:33]
	v_mul_f32_e32 v32, v52, v40
	v_pk_add_f32 v[6:7], v[6:7], v[38:39]
	v_mov_b32_e32 v33, v30
	v_mov_b32_e32 v47, v62
	v_mul_f32_e32 v49, v48, v42
	v_mul_f32_e32 v42, v50, v43
	v_pk_add_f32 v[6:7], v[6:7], v[32:33]
	v_pk_mul_f32 v[32:33], v[70:71], v[40:41]
	v_mul_f32_e32 v30, v66, v41
	v_pk_add_f32 v[4:5], v[4:5], v[46:47]
	v_mov_b32_e32 v43, v63
	v_mov_b32_e32 v48, v54
	v_pk_add_f32 v[6:7], v[6:7], v[30:31]
	v_mul_f32_e32 v30, v52, v44
	v_pk_add_f32 v[4:5], v[4:5], v[42:43]
	v_mov_b32_e32 v31, v32
	v_pk_mul_f32 v[34:35], v[70:71], v[44:45]
	v_pk_add_f32 v[2:3], v[2:3], v[48:49]
	v_mov_b32_e32 v50, v55
	v_pk_add_f32 v[4:5], v[4:5], v[30:31]
	v_mul_f32_e32 v31, v64, v44
	v_pk_add_f32 v[2:3], v[2:3], v[50:51]
	v_mov_b32_e32 v30, v34
	v_fmac_f32_e32 v18, v53, v36
	v_fmac_f32_e32 v17, v64, v36
	v_mul_f32_e32 v72, v66, v37
	v_fmac_f32_e32 v16, v53, v40
	v_fmac_f32_e32 v0, v64, v40
	;; [unrolled: 1-line block ×3, first 2 shown]
	v_pk_add_f32 v[2:3], v[2:3], v[30:31]
	v_mul_f32_e32 v32, v66, v45
	v_mul_f32_e32 v31, v68, v45
	v_mov_b32_e32 v30, v35
	v_pk_add_f32 v[8:9], v[8:9], v[72:73]
	v_fmac_f32_e32 v18, v67, v37
	v_fmac_f32_e32 v17, v68, v37
	;; [unrolled: 1-line block ×4, first 2 shown]
	v_pk_add_f32 v[4:5], v[4:5], v[32:33]
	v_fmac_f32_e32 v1, v67, v45
	v_pk_add_f32 v[2:3], v[2:3], v[30:31]
	s_barrier
	s_cbranch_vccnz .LBB34_2
	s_branch .LBB34_4
.LBB34_3:
	v_mov_b32_e32 v21, 0
	v_mov_b32_e32 v20, 0
	;; [unrolled: 1-line block ×16, first 2 shown]
.LBB34_4:
	s_load_dwordx4 s[0:3], s[4:5], 0x78
	s_load_dword s9, s[4:5], 0x18
	s_load_dword s20, s[4:5], 0x50
	s_load_dwordx8 s[12:19], s[4:5], 0x58
	v_mov_b32_e32 v10, s11
	s_waitcnt lgkmcnt(0)
	s_mul_i32 s3, s8, s3
	s_mul_hi_u32 s4, s8, s2
	s_add_i32 s3, s4, s3
	s_mul_i32 s2, s8, s2
	v_add_co_u32_e32 v12, vcc, s10, v23
	s_lshl_b64 s[2:3], s[2:3], 2
	v_addc_co_u32_e32 v15, vcc, 0, v10, vcc
	s_add_u32 s4, s18, s2
	v_mov_b32_e32 v11, s7
	v_add_co_u32_e32 v10, vcc, s6, v22
	s_addc_u32 s5, s19, s3
	v_cmp_neq_f32_e64 s[2:3], s20, 0
	v_addc_co_u32_e32 v11, vcc, 0, v11, vcc
	s_and_b64 vcc, exec, s[2:3]
	v_mul_lo_u32 v13, v15, s0
	v_mul_lo_u32 v14, v12, s1
	v_lshlrev_b64 v[10:11], 2, v[10:11]
	s_cbranch_vccnz .LBB34_8
; %bb.5:
	v_mad_u64_u32 v[22:23], s[2:3], v12, s0, 0
	v_add3_u32 v23, v23, v14, v13
	v_lshlrev_b64 v[22:23], 2, v[22:23]
	v_mov_b32_e32 v24, s5
	v_add_co_u32_e32 v22, vcc, s4, v22
	v_addc_co_u32_e32 v23, vcc, v24, v23, vcc
	v_add_co_u32_e32 v22, vcc, v22, v10
	v_mul_f32_e32 v24, s9, v21
	v_addc_co_u32_e32 v23, vcc, v23, v11, vcc
	global_store_dword v[22:23], v24, off
	v_mul_f32_e32 v24, s9, v20
	global_store_dword v[22:23], v24, off offset:64
	v_mul_f32_e32 v24, s9, v19
	global_store_dword v[22:23], v24, off offset:128
	v_mul_f32_e32 v24, s9, v9
	s_lshl_b64 s[2:3], s[0:1], 6
	global_store_dword v[22:23], v24, off offset:192
	v_mov_b32_e32 v25, s3
	v_add_co_u32_e32 v22, vcc, s2, v22
	v_mul_f32_e32 v24, s9, v8
	v_addc_co_u32_e32 v23, vcc, v23, v25, vcc
	global_store_dword v[22:23], v24, off
	v_mul_f32_e32 v24, s9, v18
	global_store_dword v[22:23], v24, off offset:64
	v_mul_f32_e32 v24, s9, v17
	global_store_dword v[22:23], v24, off offset:128
	v_mul_f32_e32 v24, s9, v7
	global_store_dword v[22:23], v24, off offset:192
	v_add_co_u32_e32 v22, vcc, s2, v22
	v_mul_f32_e32 v24, s9, v6
	v_addc_co_u32_e32 v23, vcc, v23, v25, vcc
	global_store_dword v[22:23], v24, off
	v_mul_f32_e32 v24, s9, v16
	global_store_dword v[22:23], v24, off offset:64
	v_mul_f32_e32 v24, s9, v0
	global_store_dword v[22:23], v24, off offset:128
	v_mul_f32_e32 v24, s9, v5
	global_store_dword v[22:23], v24, off offset:192
	;; [unrolled: 10-line block ×3, first 2 shown]
	s_cbranch_execnz .LBB34_7
.LBB34_6:
	s_mul_i32 s2, s8, s17
	s_mul_hi_u32 s3, s8, s16
	s_add_i32 s3, s3, s2
	s_mul_i32 s2, s8, s16
	s_lshl_b64 s[2:3], s[2:3], 2
	s_add_u32 s6, s12, s2
	s_addc_u32 s7, s13, s3
	v_mul_lo_u32 v15, v15, s14
	v_mul_lo_u32 v24, v12, s15
	v_mad_u64_u32 v[22:23], s[2:3], v12, s14, 0
	v_add3_u32 v23, v23, v24, v15
	v_lshlrev_b64 v[22:23], 2, v[22:23]
	v_mov_b32_e32 v15, s7
	v_add_co_u32_e32 v22, vcc, s6, v22
	v_addc_co_u32_e32 v15, vcc, v15, v23, vcc
	v_add_co_u32_e32 v22, vcc, v22, v10
	v_addc_co_u32_e32 v23, vcc, v15, v11, vcc
	global_load_dword v15, v[22:23], off
	v_mad_u64_u32 v[24:25], s[2:3], v12, s0, 0
	v_add3_u32 v25, v25, v14, v13
	v_lshlrev_b64 v[12:13], 2, v[24:25]
	v_mov_b32_e32 v26, s5
	v_add_co_u32_e32 v12, vcc, s4, v12
	v_addc_co_u32_e32 v13, vcc, v26, v13, vcc
	v_add_co_u32_e32 v10, vcc, v12, v10
	v_addc_co_u32_e32 v11, vcc, v13, v11, vcc
	s_lshl_b64 s[2:3], s[14:15], 6
	s_lshl_b64 s[0:1], s[0:1], 6
	s_waitcnt vmcnt(0)
	v_mul_f32_e32 v12, s20, v15
	v_fmac_f32_e32 v12, s9, v21
	global_store_dword v[10:11], v12, off
	global_load_dword v12, v[22:23], off offset:64
	v_mov_b32_e32 v15, s3
	s_waitcnt vmcnt(0)
	v_mul_f32_e32 v12, s20, v12
	v_fmac_f32_e32 v12, s9, v20
	global_store_dword v[10:11], v12, off offset:64
	global_load_dword v12, v[22:23], off offset:128
	s_waitcnt vmcnt(0)
	v_mul_f32_e32 v12, s20, v12
	v_fmac_f32_e32 v12, s9, v19
	global_store_dword v[10:11], v12, off offset:128
	global_load_dword v14, v[22:23], off offset:192
	v_add_co_u32_e32 v12, vcc, s2, v22
	v_addc_co_u32_e32 v13, vcc, v23, v15, vcc
	s_waitcnt vmcnt(0)
	v_mul_f32_e32 v14, s20, v14
	v_fmac_f32_e32 v14, s9, v9
	global_store_dword v[10:11], v14, off offset:192
	global_load_dword v9, v[12:13], off
	v_mov_b32_e32 v14, s1
	v_add_co_u32_e32 v10, vcc, s0, v10
	v_addc_co_u32_e32 v11, vcc, v11, v14, vcc
	s_waitcnt vmcnt(0)
	v_mul_f32_e32 v9, s20, v9
	v_fmac_f32_e32 v9, s9, v8
	global_store_dword v[10:11], v9, off
	global_load_dword v8, v[12:13], off offset:64
	s_waitcnt vmcnt(0)
	v_mul_f32_e32 v8, s20, v8
	v_fmac_f32_e32 v8, s9, v18
	global_store_dword v[10:11], v8, off offset:64
	global_load_dword v8, v[12:13], off offset:128
	s_waitcnt vmcnt(0)
	v_mul_f32_e32 v8, s20, v8
	v_fmac_f32_e32 v8, s9, v17
	global_store_dword v[10:11], v8, off offset:128
	global_load_dword v17, v[12:13], off offset:192
	v_add_co_u32_e32 v8, vcc, s2, v12
	v_addc_co_u32_e32 v9, vcc, v13, v15, vcc
	s_waitcnt vmcnt(0)
	v_mul_f32_e32 v12, s20, v17
	v_fmac_f32_e32 v12, s9, v7
	global_store_dword v[10:11], v12, off offset:192
	global_load_dword v7, v[8:9], off
	v_add_co_u32_e32 v10, vcc, s0, v10
	v_addc_co_u32_e32 v11, vcc, v11, v14, vcc
	s_waitcnt vmcnt(0)
	v_mul_f32_e32 v7, s20, v7
	v_fmac_f32_e32 v7, s9, v6
	global_store_dword v[10:11], v7, off
	global_load_dword v6, v[8:9], off offset:64
	s_waitcnt vmcnt(0)
	v_mul_f32_e32 v6, s20, v6
	v_fmac_f32_e32 v6, s9, v16
	global_store_dword v[10:11], v6, off offset:64
	global_load_dword v6, v[8:9], off offset:128
	s_waitcnt vmcnt(0)
	v_mul_f32_e32 v6, s20, v6
	v_fmac_f32_e32 v6, s9, v0
	global_store_dword v[10:11], v6, off offset:128
	global_load_dword v0, v[8:9], off offset:192
	v_add_co_u32_e32 v6, vcc, s2, v8
	v_addc_co_u32_e32 v7, vcc, v9, v15, vcc
	s_waitcnt vmcnt(0)
	v_mul_f32_e32 v0, s20, v0
	v_fmac_f32_e32 v0, s9, v5
	global_store_dword v[10:11], v0, off offset:192
	global_load_dword v0, v[6:7], off
	s_waitcnt vmcnt(0)
	v_mul_f32_e32 v0, s20, v0
	v_fmac_f32_e32 v0, s9, v4
	v_add_co_u32_e32 v4, vcc, s0, v10
	v_addc_co_u32_e32 v5, vcc, v11, v14, vcc
	global_store_dword v[4:5], v0, off
	global_load_dword v0, v[6:7], off offset:64
	s_waitcnt vmcnt(0)
	v_mul_f32_e32 v0, s20, v0
	v_fmac_f32_e32 v0, s9, v1
	global_store_dword v[4:5], v0, off offset:64
	global_load_dword v0, v[6:7], off offset:128
	s_waitcnt vmcnt(0)
	v_mul_f32_e32 v0, s20, v0
	v_fmac_f32_e32 v0, s9, v3
	global_store_dword v[4:5], v0, off offset:128
	;; [unrolled: 5-line block ×3, first 2 shown]
.LBB34_7:
	s_endpgm
.LBB34_8:
	s_branch .LBB34_6
	.section	.rodata,"a",@progbits
	.p2align	6, 0x0
	.amdhsa_kernel _ZN12_GLOBAL__N_127rocblas_gemm_batched_kernelIfLi16ELi16ELi64ELi64ELi4ELi64ELi4ELi4ELi64ELc84ELc84EKfS1_fEEvlllT_PT11_llS4_llS2_PT12_llPT13_lli
		.amdhsa_group_segment_fixed_size 2048
		.amdhsa_private_segment_fixed_size 0
		.amdhsa_kernarg_size 140
		.amdhsa_user_sgpr_count 6
		.amdhsa_user_sgpr_private_segment_buffer 1
		.amdhsa_user_sgpr_dispatch_ptr 0
		.amdhsa_user_sgpr_queue_ptr 0
		.amdhsa_user_sgpr_kernarg_segment_ptr 1
		.amdhsa_user_sgpr_dispatch_id 0
		.amdhsa_user_sgpr_flat_scratch_init 0
		.amdhsa_user_sgpr_kernarg_preload_length 0
		.amdhsa_user_sgpr_kernarg_preload_offset 0
		.amdhsa_user_sgpr_private_segment_size 0
		.amdhsa_uses_dynamic_stack 0
		.amdhsa_system_sgpr_private_segment_wavefront_offset 0
		.amdhsa_system_sgpr_workgroup_id_x 1
		.amdhsa_system_sgpr_workgroup_id_y 1
		.amdhsa_system_sgpr_workgroup_id_z 1
		.amdhsa_system_sgpr_workgroup_info 0
		.amdhsa_system_vgpr_workitem_id 1
		.amdhsa_next_free_vgpr 74
		.amdhsa_next_free_sgpr 24
		.amdhsa_accum_offset 76
		.amdhsa_reserve_vcc 1
		.amdhsa_reserve_flat_scratch 0
		.amdhsa_float_round_mode_32 0
		.amdhsa_float_round_mode_16_64 0
		.amdhsa_float_denorm_mode_32 3
		.amdhsa_float_denorm_mode_16_64 3
		.amdhsa_dx10_clamp 1
		.amdhsa_ieee_mode 1
		.amdhsa_fp16_overflow 0
		.amdhsa_tg_split 0
		.amdhsa_exception_fp_ieee_invalid_op 0
		.amdhsa_exception_fp_denorm_src 0
		.amdhsa_exception_fp_ieee_div_zero 0
		.amdhsa_exception_fp_ieee_overflow 0
		.amdhsa_exception_fp_ieee_underflow 0
		.amdhsa_exception_fp_ieee_inexact 0
		.amdhsa_exception_int_div_zero 0
	.end_amdhsa_kernel
	.section	.text._ZN12_GLOBAL__N_127rocblas_gemm_batched_kernelIfLi16ELi16ELi64ELi64ELi4ELi64ELi4ELi4ELi64ELc84ELc84EKfS1_fEEvlllT_PT11_llS4_llS2_PT12_llPT13_lli,"axG",@progbits,_ZN12_GLOBAL__N_127rocblas_gemm_batched_kernelIfLi16ELi16ELi64ELi64ELi4ELi64ELi4ELi4ELi64ELc84ELc84EKfS1_fEEvlllT_PT11_llS4_llS2_PT12_llPT13_lli,comdat
.Lfunc_end34:
	.size	_ZN12_GLOBAL__N_127rocblas_gemm_batched_kernelIfLi16ELi16ELi64ELi64ELi4ELi64ELi4ELi4ELi64ELc84ELc84EKfS1_fEEvlllT_PT11_llS4_llS2_PT12_llPT13_lli, .Lfunc_end34-_ZN12_GLOBAL__N_127rocblas_gemm_batched_kernelIfLi16ELi16ELi64ELi64ELi4ELi64ELi4ELi4ELi64ELc84ELc84EKfS1_fEEvlllT_PT11_llS4_llS2_PT12_llPT13_lli
                                        ; -- End function
	.section	.AMDGPU.csdata,"",@progbits
; Kernel info:
; codeLenInByte = 2212
; NumSgprs: 28
; NumVgprs: 74
; NumAgprs: 0
; TotalNumVgprs: 74
; ScratchSize: 0
; MemoryBound: 0
; FloatMode: 240
; IeeeMode: 1
; LDSByteSize: 2048 bytes/workgroup (compile time only)
; SGPRBlocks: 3
; VGPRBlocks: 9
; NumSGPRsForWavesPerEU: 28
; NumVGPRsForWavesPerEU: 74
; AccumOffset: 76
; Occupancy: 6
; WaveLimiterHint : 0
; COMPUTE_PGM_RSRC2:SCRATCH_EN: 0
; COMPUTE_PGM_RSRC2:USER_SGPR: 6
; COMPUTE_PGM_RSRC2:TRAP_HANDLER: 0
; COMPUTE_PGM_RSRC2:TGID_X_EN: 1
; COMPUTE_PGM_RSRC2:TGID_Y_EN: 1
; COMPUTE_PGM_RSRC2:TGID_Z_EN: 1
; COMPUTE_PGM_RSRC2:TIDIG_COMP_CNT: 1
; COMPUTE_PGM_RSRC3_GFX90A:ACCUM_OFFSET: 18
; COMPUTE_PGM_RSRC3_GFX90A:TG_SPLIT: 0
	.section	.text._ZN12_GLOBAL__N_127rocblas_gemm_batched_kernelIfLi16ELi16ELi64ELi64ELi4ELi64ELi4ELi4ELi64ELc67ELc67EKfS1_fEEvlllT_PT11_llS4_llS2_PT12_llPT13_lli,"axG",@progbits,_ZN12_GLOBAL__N_127rocblas_gemm_batched_kernelIfLi16ELi16ELi64ELi64ELi4ELi64ELi4ELi4ELi64ELc67ELc67EKfS1_fEEvlllT_PT11_llS4_llS2_PT12_llPT13_lli,comdat
	.globl	_ZN12_GLOBAL__N_127rocblas_gemm_batched_kernelIfLi16ELi16ELi64ELi64ELi4ELi64ELi4ELi4ELi64ELc67ELc67EKfS1_fEEvlllT_PT11_llS4_llS2_PT12_llPT13_lli ; -- Begin function _ZN12_GLOBAL__N_127rocblas_gemm_batched_kernelIfLi16ELi16ELi64ELi64ELi4ELi64ELi4ELi4ELi64ELc67ELc67EKfS1_fEEvlllT_PT11_llS4_llS2_PT12_llPT13_lli
	.p2align	8
	.type	_ZN12_GLOBAL__N_127rocblas_gemm_batched_kernelIfLi16ELi16ELi64ELi64ELi4ELi64ELi4ELi4ELi64ELc67ELc67EKfS1_fEEvlllT_PT11_llS4_llS2_PT12_llPT13_lli,@function
_ZN12_GLOBAL__N_127rocblas_gemm_batched_kernelIfLi16ELi16ELi64ELi64ELi4ELi64ELi4ELi4ELi64ELc67ELc67EKfS1_fEEvlllT_PT11_llS4_llS2_PT12_llPT13_lli: ; @_ZN12_GLOBAL__N_127rocblas_gemm_batched_kernelIfLi16ELi16ELi64ELi64ELi4ELi64ELi4ELi4ELi64ELc67ELc67EKfS1_fEEvlllT_PT11_llS4_llS2_PT12_llPT13_lli
; %bb.0:
	s_load_dwordx2 s[20:21], s[4:5], 0x10
	s_mov_b32 s0, s7
	s_ashr_i32 s1, s0, 31
	s_ashr_i32 s7, s6, 31
	s_lshl_b64 s[10:11], s[0:1], 6
	s_waitcnt lgkmcnt(0)
	v_cmp_lt_i64_e64 s[0:1], s[20:21], 1
	v_bfe_u32 v23, v0, 10, 10
	v_and_b32_e32 v22, 0x3ff, v0
	s_lshl_b64 s[6:7], s[6:7], 6
	s_and_b64 vcc, exec, s[0:1]
	s_cbranch_vccnz .LBB35_3
; %bb.1:
	v_lshlrev_b32_e32 v2, 4, v23
	s_load_dwordx8 s[12:19], s[4:5], 0x20
	s_load_dwordx4 s[0:3], s[4:5], 0x40
	v_add_u32_e32 v3, v2, v22
	v_and_b32_e32 v6, 63, v3
	v_lshrrev_b32_e32 v0, 2, v3
	v_and_b32_e32 v4, 3, v22
	v_lshrrev_b32_e32 v7, 6, v3
	v_lshlrev_b32_e32 v3, 2, v6
	v_lshl_or_b32 v24, v7, 8, v3
	v_lshlrev_b32_e32 v3, 2, v4
	v_mov_b32_e32 v1, 0
	v_lshl_or_b32 v3, v0, 4, v3
	v_add_u32_e32 v25, 0x400, v3
	v_add_u32_e32 v27, 0x400, v2
	s_waitcnt lgkmcnt(0)
	v_mad_u64_u32 v[2:3], s[22:23], v4, s0, v[0:1]
	s_mul_i32 s3, s3, s8
	s_mul_hi_u32 s9, s2, s8
	v_mov_b32_e32 v0, v3
	s_add_i32 s3, s9, s3
	s_mul_i32 s2, s2, s8
	v_mad_u64_u32 v[4:5], s[22:23], v4, s1, v[0:1]
	s_lshl_b64 s[2:3], s[2:3], 2
	v_mov_b32_e32 v3, v4
	v_mov_b32_e32 v0, s11
	v_add_co_u32_e32 v2, vcc, s10, v2
	v_addc_co_u32_e32 v3, vcc, v3, v0, vcc
	s_add_u32 s2, s18, s2
	v_lshlrev_b64 v[2:3], 2, v[2:3]
	s_addc_u32 s3, s19, s3
	v_mov_b32_e32 v0, s3
	v_add_co_u32_e32 v10, vcc, s2, v2
	v_addc_co_u32_e32 v11, vcc, v0, v3, vcc
	v_mov_b32_e32 v0, s7
	v_add_co_u32_e32 v2, vcc, s6, v6
	v_addc_co_u32_e32 v0, vcc, 0, v0, vcc
	v_mul_lo_u32 v4, s15, v2
	v_mad_u64_u32 v[2:3], s[2:3], s14, v2, 0
	v_mul_lo_u32 v0, s14, v0
	s_mul_i32 s2, s17, s8
	s_mul_hi_u32 s3, s16, s8
	v_add3_u32 v3, v3, v0, v4
	s_add_i32 s3, s3, s2
	s_mul_i32 s2, s16, s8
	v_lshlrev_b64 v[2:3], 2, v[2:3]
	s_lshl_b64 s[2:3], s[2:3], 2
	v_mov_b32_e32 v0, s3
	v_add_co_u32_e32 v2, vcc, s2, v2
	v_addc_co_u32_e32 v0, vcc, v3, v0, vcc
	v_lshlrev_b32_e32 v3, 2, v7
	v_add_co_u32_e32 v2, vcc, v2, v3
	v_addc_co_u32_e32 v0, vcc, 0, v0, vcc
	s_lshl_b64 s[0:1], s[0:1], 4
	v_mov_b32_e32 v3, s13
	v_add_co_u32_e32 v12, vcc, s12, v2
	v_lshlrev_b32_e32 v26, 2, v22
	v_addc_co_u32_e32 v13, vcc, v3, v0, vcc
	s_mov_b64 s[2:3], 0
	v_mov_b32_e32 v28, s1
	v_pk_mov_b32 v[14:15], s[20:21], s[20:21] op_sel:[0,1]
	v_mov_b32_e32 v0, v1
	v_mov_b32_e32 v16, v1
	;; [unrolled: 1-line block ×15, first 2 shown]
.LBB35_2:                               ; =>This Inner Loop Header: Depth=1
	global_load_dword v29, v[12:13], off
	s_add_u32 s2, s2, 4
	s_addc_u32 s3, s3, 0
	s_waitcnt vmcnt(0)
	ds_write_b32 v24, v29
	global_load_dword v29, v[10:11], off
	v_add_co_u32_e32 v10, vcc, s0, v10
	v_addc_co_u32_e32 v11, vcc, v11, v28, vcc
	v_add_co_u32_e32 v12, vcc, 16, v12
	v_addc_co_u32_e32 v13, vcc, 0, v13, vcc
	v_cmp_lt_i64_e32 vcc, s[2:3], v[14:15]
	s_and_b64 vcc, exec, vcc
	s_waitcnt vmcnt(0)
	ds_write_b32 v25, v29
	s_waitcnt lgkmcnt(0)
	s_barrier
	ds_read2_b32 v[46:47], v26 offset1:16
	ds_read2_b32 v[48:49], v26 offset0:32 offset1:48
	ds_read2_b32 v[50:51], v26 offset0:64 offset1:80
	;; [unrolled: 1-line block ×3, first 2 shown]
	ds_read_b128 v[30:33], v27
	ds_read_b128 v[34:37], v27 offset:256
	ds_read_b128 v[38:41], v27 offset:512
	;; [unrolled: 1-line block ×3, first 2 shown]
	s_waitcnt lgkmcnt(4)
	v_mov_b32_e32 v55, v53
	s_waitcnt lgkmcnt(3)
	v_fmac_f32_e32 v20, v47, v30
	v_fmac_f32_e32 v19, v48, v30
	s_waitcnt lgkmcnt(2)
	v_fmac_f32_e32 v18, v47, v34
	v_fmac_f32_e32 v17, v48, v34
	;; [unrolled: 3-line block ×4, first 2 shown]
	v_fmac_f32_e32 v19, v52, v31
	v_fmac_f32_e32 v18, v51, v35
	;; [unrolled: 1-line block ×6, first 2 shown]
	v_mul_f32_e32 v51, v52, v43
	ds_read2_b32 v[52:53], v26 offset0:128 offset1:144
	ds_read2_b32 v[64:65], v26 offset0:160 offset1:176
	ds_read2_b32 v[66:67], v26 offset0:192 offset1:208
	ds_read2_b32 v[68:69], v26 offset0:224 offset1:240
	v_mov_b32_e32 v54, v49
	v_fmac_f32_e32 v21, v46, v30
	v_pk_mul_f32 v[56:57], v[54:55], v[30:31]
	v_fmac_f32_e32 v21, v50, v31
	v_mul_f32_e32 v30, v46, v34
	v_pk_mul_f32 v[58:59], v[54:55], v[34:35]
	s_waitcnt lgkmcnt(2)
	v_mov_b32_e32 v70, v65
	s_waitcnt lgkmcnt(0)
	v_mov_b32_e32 v71, v69
	v_mov_b32_e32 v31, v56
	v_mul_f32_e32 v34, v50, v35
	v_mul_f32_e32 v60, v46, v38
	v_fmac_f32_e32 v21, v52, v32
	v_fmac_f32_e32 v20, v53, v32
	;; [unrolled: 1-line block ×3, first 2 shown]
	v_pk_mul_f32 v[72:73], v[70:71], v[32:33]
	v_pk_add_f32 v[8:9], v[8:9], v[30:31]
	v_mov_b32_e32 v35, v57
	v_mov_b32_e32 v61, v58
	v_pk_mul_f32 v[62:63], v[54:55], v[38:39]
	v_mul_f32_e32 v38, v50, v39
	v_fmac_f32_e32 v21, v66, v33
	v_fmac_f32_e32 v20, v67, v33
	;; [unrolled: 1-line block ×3, first 2 shown]
	v_mul_f32_e32 v32, v52, v36
	v_pk_add_f32 v[8:9], v[8:9], v[34:35]
	v_mov_b32_e32 v33, v72
	v_pk_mul_f32 v[30:31], v[70:71], v[36:37]
	v_pk_add_f32 v[6:7], v[6:7], v[60:61]
	v_mov_b32_e32 v39, v59
	v_mul_f32_e32 v46, v46, v42
	v_pk_mul_f32 v[54:55], v[54:55], v[42:43]
	v_pk_add_f32 v[8:9], v[8:9], v[32:33]
	v_mul_f32_e32 v32, v52, v40
	v_pk_add_f32 v[6:7], v[6:7], v[38:39]
	v_mov_b32_e32 v33, v30
	v_mov_b32_e32 v47, v62
	v_mul_f32_e32 v49, v48, v42
	v_mul_f32_e32 v42, v50, v43
	v_pk_add_f32 v[6:7], v[6:7], v[32:33]
	v_pk_mul_f32 v[32:33], v[70:71], v[40:41]
	v_mul_f32_e32 v30, v66, v41
	v_pk_add_f32 v[4:5], v[4:5], v[46:47]
	v_mov_b32_e32 v43, v63
	v_mov_b32_e32 v48, v54
	v_pk_add_f32 v[6:7], v[6:7], v[30:31]
	v_mul_f32_e32 v30, v52, v44
	v_pk_add_f32 v[4:5], v[4:5], v[42:43]
	v_mov_b32_e32 v31, v32
	v_pk_mul_f32 v[34:35], v[70:71], v[44:45]
	v_pk_add_f32 v[2:3], v[2:3], v[48:49]
	v_mov_b32_e32 v50, v55
	v_pk_add_f32 v[4:5], v[4:5], v[30:31]
	v_mul_f32_e32 v31, v64, v44
	v_pk_add_f32 v[2:3], v[2:3], v[50:51]
	v_mov_b32_e32 v30, v34
	v_fmac_f32_e32 v18, v53, v36
	v_fmac_f32_e32 v17, v64, v36
	v_mul_f32_e32 v72, v66, v37
	v_fmac_f32_e32 v16, v53, v40
	v_fmac_f32_e32 v0, v64, v40
	;; [unrolled: 1-line block ×3, first 2 shown]
	v_pk_add_f32 v[2:3], v[2:3], v[30:31]
	v_mul_f32_e32 v32, v66, v45
	v_mul_f32_e32 v31, v68, v45
	v_mov_b32_e32 v30, v35
	v_pk_add_f32 v[8:9], v[8:9], v[72:73]
	v_fmac_f32_e32 v18, v67, v37
	v_fmac_f32_e32 v17, v68, v37
	;; [unrolled: 1-line block ×4, first 2 shown]
	v_pk_add_f32 v[4:5], v[4:5], v[32:33]
	v_fmac_f32_e32 v1, v67, v45
	v_pk_add_f32 v[2:3], v[2:3], v[30:31]
	s_barrier
	s_cbranch_vccnz .LBB35_2
	s_branch .LBB35_4
.LBB35_3:
	v_mov_b32_e32 v21, 0
	v_mov_b32_e32 v20, 0
	;; [unrolled: 1-line block ×16, first 2 shown]
.LBB35_4:
	s_load_dwordx4 s[0:3], s[4:5], 0x78
	s_load_dword s9, s[4:5], 0x18
	s_load_dword s20, s[4:5], 0x50
	s_load_dwordx8 s[12:19], s[4:5], 0x58
	v_mov_b32_e32 v10, s11
	s_waitcnt lgkmcnt(0)
	s_mul_i32 s3, s8, s3
	s_mul_hi_u32 s4, s8, s2
	s_add_i32 s3, s4, s3
	s_mul_i32 s2, s8, s2
	v_add_co_u32_e32 v12, vcc, s10, v23
	s_lshl_b64 s[2:3], s[2:3], 2
	v_addc_co_u32_e32 v15, vcc, 0, v10, vcc
	s_add_u32 s4, s18, s2
	v_mov_b32_e32 v11, s7
	v_add_co_u32_e32 v10, vcc, s6, v22
	s_addc_u32 s5, s19, s3
	v_cmp_neq_f32_e64 s[2:3], s20, 0
	v_addc_co_u32_e32 v11, vcc, 0, v11, vcc
	s_and_b64 vcc, exec, s[2:3]
	v_mul_lo_u32 v13, v15, s0
	v_mul_lo_u32 v14, v12, s1
	v_lshlrev_b64 v[10:11], 2, v[10:11]
	s_cbranch_vccnz .LBB35_8
; %bb.5:
	v_mad_u64_u32 v[22:23], s[2:3], v12, s0, 0
	v_add3_u32 v23, v23, v14, v13
	v_lshlrev_b64 v[22:23], 2, v[22:23]
	v_mov_b32_e32 v24, s5
	v_add_co_u32_e32 v22, vcc, s4, v22
	v_addc_co_u32_e32 v23, vcc, v24, v23, vcc
	v_add_co_u32_e32 v22, vcc, v22, v10
	v_mul_f32_e32 v24, s9, v21
	v_addc_co_u32_e32 v23, vcc, v23, v11, vcc
	global_store_dword v[22:23], v24, off
	v_mul_f32_e32 v24, s9, v20
	global_store_dword v[22:23], v24, off offset:64
	v_mul_f32_e32 v24, s9, v19
	global_store_dword v[22:23], v24, off offset:128
	v_mul_f32_e32 v24, s9, v9
	s_lshl_b64 s[2:3], s[0:1], 6
	global_store_dword v[22:23], v24, off offset:192
	v_mov_b32_e32 v25, s3
	v_add_co_u32_e32 v22, vcc, s2, v22
	v_mul_f32_e32 v24, s9, v8
	v_addc_co_u32_e32 v23, vcc, v23, v25, vcc
	global_store_dword v[22:23], v24, off
	v_mul_f32_e32 v24, s9, v18
	global_store_dword v[22:23], v24, off offset:64
	v_mul_f32_e32 v24, s9, v17
	global_store_dword v[22:23], v24, off offset:128
	v_mul_f32_e32 v24, s9, v7
	global_store_dword v[22:23], v24, off offset:192
	v_add_co_u32_e32 v22, vcc, s2, v22
	v_mul_f32_e32 v24, s9, v6
	v_addc_co_u32_e32 v23, vcc, v23, v25, vcc
	global_store_dword v[22:23], v24, off
	v_mul_f32_e32 v24, s9, v16
	global_store_dword v[22:23], v24, off offset:64
	v_mul_f32_e32 v24, s9, v0
	global_store_dword v[22:23], v24, off offset:128
	v_mul_f32_e32 v24, s9, v5
	global_store_dword v[22:23], v24, off offset:192
	;; [unrolled: 10-line block ×3, first 2 shown]
	s_cbranch_execnz .LBB35_7
.LBB35_6:
	s_mul_i32 s2, s8, s17
	s_mul_hi_u32 s3, s8, s16
	s_add_i32 s3, s3, s2
	s_mul_i32 s2, s8, s16
	s_lshl_b64 s[2:3], s[2:3], 2
	s_add_u32 s6, s12, s2
	s_addc_u32 s7, s13, s3
	v_mul_lo_u32 v15, v15, s14
	v_mul_lo_u32 v24, v12, s15
	v_mad_u64_u32 v[22:23], s[2:3], v12, s14, 0
	v_add3_u32 v23, v23, v24, v15
	v_lshlrev_b64 v[22:23], 2, v[22:23]
	v_mov_b32_e32 v15, s7
	v_add_co_u32_e32 v22, vcc, s6, v22
	v_addc_co_u32_e32 v15, vcc, v15, v23, vcc
	v_add_co_u32_e32 v22, vcc, v22, v10
	v_addc_co_u32_e32 v23, vcc, v15, v11, vcc
	global_load_dword v15, v[22:23], off
	v_mad_u64_u32 v[24:25], s[2:3], v12, s0, 0
	v_add3_u32 v25, v25, v14, v13
	v_lshlrev_b64 v[12:13], 2, v[24:25]
	v_mov_b32_e32 v26, s5
	v_add_co_u32_e32 v12, vcc, s4, v12
	v_addc_co_u32_e32 v13, vcc, v26, v13, vcc
	v_add_co_u32_e32 v10, vcc, v12, v10
	v_addc_co_u32_e32 v11, vcc, v13, v11, vcc
	s_lshl_b64 s[2:3], s[14:15], 6
	s_lshl_b64 s[0:1], s[0:1], 6
	s_waitcnt vmcnt(0)
	v_mul_f32_e32 v12, s20, v15
	v_fmac_f32_e32 v12, s9, v21
	global_store_dword v[10:11], v12, off
	global_load_dword v12, v[22:23], off offset:64
	v_mov_b32_e32 v15, s3
	s_waitcnt vmcnt(0)
	v_mul_f32_e32 v12, s20, v12
	v_fmac_f32_e32 v12, s9, v20
	global_store_dword v[10:11], v12, off offset:64
	global_load_dword v12, v[22:23], off offset:128
	s_waitcnt vmcnt(0)
	v_mul_f32_e32 v12, s20, v12
	v_fmac_f32_e32 v12, s9, v19
	global_store_dword v[10:11], v12, off offset:128
	global_load_dword v14, v[22:23], off offset:192
	v_add_co_u32_e32 v12, vcc, s2, v22
	v_addc_co_u32_e32 v13, vcc, v23, v15, vcc
	s_waitcnt vmcnt(0)
	v_mul_f32_e32 v14, s20, v14
	v_fmac_f32_e32 v14, s9, v9
	global_store_dword v[10:11], v14, off offset:192
	global_load_dword v9, v[12:13], off
	v_mov_b32_e32 v14, s1
	v_add_co_u32_e32 v10, vcc, s0, v10
	v_addc_co_u32_e32 v11, vcc, v11, v14, vcc
	s_waitcnt vmcnt(0)
	v_mul_f32_e32 v9, s20, v9
	v_fmac_f32_e32 v9, s9, v8
	global_store_dword v[10:11], v9, off
	global_load_dword v8, v[12:13], off offset:64
	s_waitcnt vmcnt(0)
	v_mul_f32_e32 v8, s20, v8
	v_fmac_f32_e32 v8, s9, v18
	global_store_dword v[10:11], v8, off offset:64
	global_load_dword v8, v[12:13], off offset:128
	s_waitcnt vmcnt(0)
	v_mul_f32_e32 v8, s20, v8
	v_fmac_f32_e32 v8, s9, v17
	global_store_dword v[10:11], v8, off offset:128
	global_load_dword v17, v[12:13], off offset:192
	v_add_co_u32_e32 v8, vcc, s2, v12
	v_addc_co_u32_e32 v9, vcc, v13, v15, vcc
	s_waitcnt vmcnt(0)
	v_mul_f32_e32 v12, s20, v17
	v_fmac_f32_e32 v12, s9, v7
	global_store_dword v[10:11], v12, off offset:192
	global_load_dword v7, v[8:9], off
	v_add_co_u32_e32 v10, vcc, s0, v10
	v_addc_co_u32_e32 v11, vcc, v11, v14, vcc
	s_waitcnt vmcnt(0)
	v_mul_f32_e32 v7, s20, v7
	v_fmac_f32_e32 v7, s9, v6
	global_store_dword v[10:11], v7, off
	global_load_dword v6, v[8:9], off offset:64
	s_waitcnt vmcnt(0)
	v_mul_f32_e32 v6, s20, v6
	v_fmac_f32_e32 v6, s9, v16
	global_store_dword v[10:11], v6, off offset:64
	global_load_dword v6, v[8:9], off offset:128
	s_waitcnt vmcnt(0)
	v_mul_f32_e32 v6, s20, v6
	v_fmac_f32_e32 v6, s9, v0
	global_store_dword v[10:11], v6, off offset:128
	global_load_dword v0, v[8:9], off offset:192
	v_add_co_u32_e32 v6, vcc, s2, v8
	v_addc_co_u32_e32 v7, vcc, v9, v15, vcc
	s_waitcnt vmcnt(0)
	v_mul_f32_e32 v0, s20, v0
	v_fmac_f32_e32 v0, s9, v5
	global_store_dword v[10:11], v0, off offset:192
	global_load_dword v0, v[6:7], off
	s_waitcnt vmcnt(0)
	v_mul_f32_e32 v0, s20, v0
	v_fmac_f32_e32 v0, s9, v4
	v_add_co_u32_e32 v4, vcc, s0, v10
	v_addc_co_u32_e32 v5, vcc, v11, v14, vcc
	global_store_dword v[4:5], v0, off
	global_load_dword v0, v[6:7], off offset:64
	s_waitcnt vmcnt(0)
	v_mul_f32_e32 v0, s20, v0
	v_fmac_f32_e32 v0, s9, v1
	global_store_dword v[4:5], v0, off offset:64
	global_load_dword v0, v[6:7], off offset:128
	s_waitcnt vmcnt(0)
	v_mul_f32_e32 v0, s20, v0
	v_fmac_f32_e32 v0, s9, v3
	global_store_dword v[4:5], v0, off offset:128
	;; [unrolled: 5-line block ×3, first 2 shown]
.LBB35_7:
	s_endpgm
.LBB35_8:
	s_branch .LBB35_6
	.section	.rodata,"a",@progbits
	.p2align	6, 0x0
	.amdhsa_kernel _ZN12_GLOBAL__N_127rocblas_gemm_batched_kernelIfLi16ELi16ELi64ELi64ELi4ELi64ELi4ELi4ELi64ELc67ELc67EKfS1_fEEvlllT_PT11_llS4_llS2_PT12_llPT13_lli
		.amdhsa_group_segment_fixed_size 2048
		.amdhsa_private_segment_fixed_size 0
		.amdhsa_kernarg_size 140
		.amdhsa_user_sgpr_count 6
		.amdhsa_user_sgpr_private_segment_buffer 1
		.amdhsa_user_sgpr_dispatch_ptr 0
		.amdhsa_user_sgpr_queue_ptr 0
		.amdhsa_user_sgpr_kernarg_segment_ptr 1
		.amdhsa_user_sgpr_dispatch_id 0
		.amdhsa_user_sgpr_flat_scratch_init 0
		.amdhsa_user_sgpr_kernarg_preload_length 0
		.amdhsa_user_sgpr_kernarg_preload_offset 0
		.amdhsa_user_sgpr_private_segment_size 0
		.amdhsa_uses_dynamic_stack 0
		.amdhsa_system_sgpr_private_segment_wavefront_offset 0
		.amdhsa_system_sgpr_workgroup_id_x 1
		.amdhsa_system_sgpr_workgroup_id_y 1
		.amdhsa_system_sgpr_workgroup_id_z 1
		.amdhsa_system_sgpr_workgroup_info 0
		.amdhsa_system_vgpr_workitem_id 1
		.amdhsa_next_free_vgpr 74
		.amdhsa_next_free_sgpr 24
		.amdhsa_accum_offset 76
		.amdhsa_reserve_vcc 1
		.amdhsa_reserve_flat_scratch 0
		.amdhsa_float_round_mode_32 0
		.amdhsa_float_round_mode_16_64 0
		.amdhsa_float_denorm_mode_32 3
		.amdhsa_float_denorm_mode_16_64 3
		.amdhsa_dx10_clamp 1
		.amdhsa_ieee_mode 1
		.amdhsa_fp16_overflow 0
		.amdhsa_tg_split 0
		.amdhsa_exception_fp_ieee_invalid_op 0
		.amdhsa_exception_fp_denorm_src 0
		.amdhsa_exception_fp_ieee_div_zero 0
		.amdhsa_exception_fp_ieee_overflow 0
		.amdhsa_exception_fp_ieee_underflow 0
		.amdhsa_exception_fp_ieee_inexact 0
		.amdhsa_exception_int_div_zero 0
	.end_amdhsa_kernel
	.section	.text._ZN12_GLOBAL__N_127rocblas_gemm_batched_kernelIfLi16ELi16ELi64ELi64ELi4ELi64ELi4ELi4ELi64ELc67ELc67EKfS1_fEEvlllT_PT11_llS4_llS2_PT12_llPT13_lli,"axG",@progbits,_ZN12_GLOBAL__N_127rocblas_gemm_batched_kernelIfLi16ELi16ELi64ELi64ELi4ELi64ELi4ELi4ELi64ELc67ELc67EKfS1_fEEvlllT_PT11_llS4_llS2_PT12_llPT13_lli,comdat
.Lfunc_end35:
	.size	_ZN12_GLOBAL__N_127rocblas_gemm_batched_kernelIfLi16ELi16ELi64ELi64ELi4ELi64ELi4ELi4ELi64ELc67ELc67EKfS1_fEEvlllT_PT11_llS4_llS2_PT12_llPT13_lli, .Lfunc_end35-_ZN12_GLOBAL__N_127rocblas_gemm_batched_kernelIfLi16ELi16ELi64ELi64ELi4ELi64ELi4ELi4ELi64ELc67ELc67EKfS1_fEEvlllT_PT11_llS4_llS2_PT12_llPT13_lli
                                        ; -- End function
	.section	.AMDGPU.csdata,"",@progbits
; Kernel info:
; codeLenInByte = 2212
; NumSgprs: 28
; NumVgprs: 74
; NumAgprs: 0
; TotalNumVgprs: 74
; ScratchSize: 0
; MemoryBound: 0
; FloatMode: 240
; IeeeMode: 1
; LDSByteSize: 2048 bytes/workgroup (compile time only)
; SGPRBlocks: 3
; VGPRBlocks: 9
; NumSGPRsForWavesPerEU: 28
; NumVGPRsForWavesPerEU: 74
; AccumOffset: 76
; Occupancy: 6
; WaveLimiterHint : 0
; COMPUTE_PGM_RSRC2:SCRATCH_EN: 0
; COMPUTE_PGM_RSRC2:USER_SGPR: 6
; COMPUTE_PGM_RSRC2:TRAP_HANDLER: 0
; COMPUTE_PGM_RSRC2:TGID_X_EN: 1
; COMPUTE_PGM_RSRC2:TGID_Y_EN: 1
; COMPUTE_PGM_RSRC2:TGID_Z_EN: 1
; COMPUTE_PGM_RSRC2:TIDIG_COMP_CNT: 1
; COMPUTE_PGM_RSRC3_GFX90A:ACCUM_OFFSET: 18
; COMPUTE_PGM_RSRC3_GFX90A:TG_SPLIT: 0
	.section	.text._ZN12_GLOBAL__N_127rocblas_gemm_batched_kernelIfLi16ELi16ELi64ELi64ELi4ELi64ELi4ELi4ELi64ELc67ELc78EKfS1_fEEvlllT_PT11_llS4_llS2_PT12_llPT13_lli,"axG",@progbits,_ZN12_GLOBAL__N_127rocblas_gemm_batched_kernelIfLi16ELi16ELi64ELi64ELi4ELi64ELi4ELi4ELi64ELc67ELc78EKfS1_fEEvlllT_PT11_llS4_llS2_PT12_llPT13_lli,comdat
	.globl	_ZN12_GLOBAL__N_127rocblas_gemm_batched_kernelIfLi16ELi16ELi64ELi64ELi4ELi64ELi4ELi4ELi64ELc67ELc78EKfS1_fEEvlllT_PT11_llS4_llS2_PT12_llPT13_lli ; -- Begin function _ZN12_GLOBAL__N_127rocblas_gemm_batched_kernelIfLi16ELi16ELi64ELi64ELi4ELi64ELi4ELi4ELi64ELc67ELc78EKfS1_fEEvlllT_PT11_llS4_llS2_PT12_llPT13_lli
	.p2align	8
	.type	_ZN12_GLOBAL__N_127rocblas_gemm_batched_kernelIfLi16ELi16ELi64ELi64ELi4ELi64ELi4ELi4ELi64ELc67ELc78EKfS1_fEEvlllT_PT11_llS4_llS2_PT12_llPT13_lli,@function
_ZN12_GLOBAL__N_127rocblas_gemm_batched_kernelIfLi16ELi16ELi64ELi64ELi4ELi64ELi4ELi4ELi64ELc67ELc78EKfS1_fEEvlllT_PT11_llS4_llS2_PT12_llPT13_lli: ; @_ZN12_GLOBAL__N_127rocblas_gemm_batched_kernelIfLi16ELi16ELi64ELi64ELi4ELi64ELi4ELi4ELi64ELc67ELc78EKfS1_fEEvlllT_PT11_llS4_llS2_PT12_llPT13_lli
; %bb.0:
	s_load_dwordx2 s[2:3], s[4:5], 0x10
	s_mov_b32 s0, s7
	s_ashr_i32 s1, s0, 31
	s_ashr_i32 s7, s6, 31
	s_lshl_b64 s[10:11], s[0:1], 6
	s_waitcnt lgkmcnt(0)
	v_cmp_lt_i64_e64 s[0:1], s[2:3], 1
	v_bfe_u32 v23, v0, 10, 10
	v_and_b32_e32 v22, 0x3ff, v0
	s_lshl_b64 s[6:7], s[6:7], 6
	s_and_b64 vcc, exec, s[0:1]
	s_cbranch_vccnz .LBB36_3
; %bb.1:
	s_load_dwordx8 s[12:19], s[4:5], 0x20
	s_load_dwordx4 s[20:23], s[4:5], 0x40
	v_lshlrev_b32_e32 v0, 4, v23
	v_add_u32_e32 v1, v0, v22
	v_and_b32_e32 v5, 3, v22
	v_and_b32_e32 v6, 63, v1
	v_lshrrev_b32_e32 v2, 2, v1
	v_lshrrev_b32_e32 v7, 6, v1
	v_lshlrev_b32_e32 v1, 2, v6
	v_lshlrev_b32_e32 v5, 2, v5
	v_mov_b32_e32 v3, s11
	v_add_co_u32_e32 v4, vcc, s10, v2
	v_lshl_or_b32 v24, v7, 8, v1
	v_lshl_or_b32 v1, v2, 4, v5
	v_addc_co_u32_e32 v3, vcc, 0, v3, vcc
	v_add_u32_e32 v25, 0x400, v1
	v_add_u32_e32 v27, 0x400, v0
	s_waitcnt lgkmcnt(0)
	v_mad_u64_u32 v[0:1], s[0:1], s20, v4, 0
	v_mul_lo_u32 v2, s21, v4
	v_mul_lo_u32 v3, s20, v3
	s_mul_i32 s0, s23, s8
	s_mul_hi_u32 s1, s22, s8
	v_add3_u32 v1, v1, v3, v2
	s_add_i32 s1, s1, s0
	s_mul_i32 s0, s22, s8
	v_lshlrev_b64 v[0:1], 2, v[0:1]
	s_lshl_b64 s[0:1], s[0:1], 2
	v_mov_b32_e32 v2, s1
	v_add_co_u32_e32 v0, vcc, s0, v0
	v_addc_co_u32_e32 v1, vcc, v1, v2, vcc
	v_add_co_u32_e32 v0, vcc, v0, v5
	v_addc_co_u32_e32 v1, vcc, 0, v1, vcc
	v_mov_b32_e32 v2, s19
	v_add_co_u32_e32 v8, vcc, s18, v0
	v_addc_co_u32_e32 v9, vcc, v2, v1, vcc
	v_mov_b32_e32 v0, s7
	v_add_co_u32_e32 v1, vcc, s6, v6
	v_addc_co_u32_e32 v0, vcc, 0, v0, vcc
	v_mul_lo_u32 v2, s15, v1
	v_mul_lo_u32 v3, s14, v0
	v_mad_u64_u32 v[0:1], s[0:1], s14, v1, 0
	s_mul_i32 s0, s17, s8
	s_mul_hi_u32 s1, s16, s8
	v_add3_u32 v1, v1, v3, v2
	s_add_i32 s1, s1, s0
	s_mul_i32 s0, s16, s8
	v_lshlrev_b64 v[0:1], 2, v[0:1]
	s_lshl_b64 s[0:1], s[0:1], 2
	v_mov_b32_e32 v2, s1
	v_add_co_u32_e32 v0, vcc, s0, v0
	v_addc_co_u32_e32 v1, vcc, v1, v2, vcc
	v_lshlrev_b32_e32 v2, 2, v7
	v_add_co_u32_e32 v0, vcc, v0, v2
	v_addc_co_u32_e32 v1, vcc, 0, v1, vcc
	v_mov_b32_e32 v2, s13
	v_add_co_u32_e32 v10, vcc, s12, v0
	v_mov_b32_e32 v14, 0
	v_lshlrev_b32_e32 v26, 2, v22
	v_addc_co_u32_e32 v11, vcc, v2, v1, vcc
	s_mov_b64 s[0:1], 0
	v_pk_mov_b32 v[12:13], s[2:3], s[2:3] op_sel:[0,1]
	v_mov_b32_e32 v15, 0
	v_mov_b32_e32 v16, 0
	;; [unrolled: 1-line block ×15, first 2 shown]
.LBB36_2:                               ; =>This Inner Loop Header: Depth=1
	global_load_dword v28, v[10:11], off
	s_add_u32 s0, s0, 4
	s_addc_u32 s1, s1, 0
	s_waitcnt vmcnt(0)
	ds_write_b32 v24, v28
	global_load_dword v28, v[8:9], off
	v_add_co_u32_e32 v8, vcc, 16, v8
	v_addc_co_u32_e32 v9, vcc, 0, v9, vcc
	v_add_co_u32_e32 v10, vcc, 16, v10
	v_addc_co_u32_e32 v11, vcc, 0, v11, vcc
	v_cmp_lt_i64_e32 vcc, s[0:1], v[12:13]
	s_and_b64 vcc, exec, vcc
	s_waitcnt vmcnt(0)
	ds_write_b32 v25, v28
	s_waitcnt lgkmcnt(0)
	s_barrier
	ds_read2_b32 v[44:45], v26 offset1:16
	ds_read2_b32 v[46:47], v26 offset0:32 offset1:48
	ds_read2_b32 v[48:49], v26 offset0:64 offset1:80
	;; [unrolled: 1-line block ×3, first 2 shown]
	ds_read_b128 v[28:31], v27
	ds_read_b128 v[32:35], v27 offset:256
	ds_read_b128 v[36:39], v27 offset:512
	;; [unrolled: 1-line block ×3, first 2 shown]
	s_waitcnt lgkmcnt(4)
	v_mov_b32_e32 v53, v51
	s_waitcnt lgkmcnt(3)
	v_fmac_f32_e32 v20, v45, v28
	v_fmac_f32_e32 v19, v46, v28
	s_waitcnt lgkmcnt(2)
	v_fmac_f32_e32 v18, v45, v32
	v_fmac_f32_e32 v17, v46, v32
	;; [unrolled: 3-line block ×4, first 2 shown]
	v_fmac_f32_e32 v19, v50, v29
	v_fmac_f32_e32 v18, v49, v33
	;; [unrolled: 1-line block ×6, first 2 shown]
	v_mul_f32_e32 v49, v50, v41
	ds_read2_b32 v[50:51], v26 offset0:128 offset1:144
	ds_read2_b32 v[62:63], v26 offset0:160 offset1:176
	;; [unrolled: 1-line block ×4, first 2 shown]
	v_mov_b32_e32 v52, v47
	v_fmac_f32_e32 v21, v44, v28
	v_pk_mul_f32 v[54:55], v[52:53], v[28:29]
	v_fmac_f32_e32 v21, v48, v29
	v_mul_f32_e32 v28, v44, v32
	v_pk_mul_f32 v[56:57], v[52:53], v[32:33]
	s_waitcnt lgkmcnt(2)
	v_mov_b32_e32 v68, v63
	s_waitcnt lgkmcnt(0)
	v_mov_b32_e32 v69, v67
	v_mov_b32_e32 v29, v54
	v_mul_f32_e32 v32, v48, v33
	v_mul_f32_e32 v58, v44, v36
	v_fmac_f32_e32 v21, v50, v30
	v_fmac_f32_e32 v20, v51, v30
	;; [unrolled: 1-line block ×3, first 2 shown]
	v_pk_mul_f32 v[70:71], v[68:69], v[30:31]
	v_pk_add_f32 v[6:7], v[6:7], v[28:29]
	v_mov_b32_e32 v33, v55
	v_mov_b32_e32 v59, v56
	v_pk_mul_f32 v[60:61], v[52:53], v[36:37]
	v_mul_f32_e32 v36, v48, v37
	v_fmac_f32_e32 v21, v64, v31
	v_fmac_f32_e32 v20, v65, v31
	;; [unrolled: 1-line block ×3, first 2 shown]
	v_mul_f32_e32 v30, v50, v34
	v_pk_add_f32 v[6:7], v[6:7], v[32:33]
	v_mov_b32_e32 v31, v70
	v_pk_mul_f32 v[28:29], v[68:69], v[34:35]
	v_pk_add_f32 v[4:5], v[4:5], v[58:59]
	v_mov_b32_e32 v37, v57
	v_mul_f32_e32 v44, v44, v40
	v_pk_mul_f32 v[52:53], v[52:53], v[40:41]
	v_pk_add_f32 v[6:7], v[6:7], v[30:31]
	v_mul_f32_e32 v30, v50, v38
	v_pk_add_f32 v[4:5], v[4:5], v[36:37]
	v_mov_b32_e32 v31, v28
	v_mov_b32_e32 v45, v60
	v_mul_f32_e32 v47, v46, v40
	v_mul_f32_e32 v40, v48, v41
	v_pk_add_f32 v[4:5], v[4:5], v[30:31]
	v_pk_mul_f32 v[30:31], v[68:69], v[38:39]
	v_mul_f32_e32 v28, v64, v39
	v_pk_add_f32 v[2:3], v[2:3], v[44:45]
	v_mov_b32_e32 v41, v61
	v_mov_b32_e32 v46, v52
	v_pk_add_f32 v[4:5], v[4:5], v[28:29]
	v_mul_f32_e32 v28, v50, v42
	v_pk_add_f32 v[2:3], v[2:3], v[40:41]
	v_mov_b32_e32 v29, v30
	v_pk_mul_f32 v[32:33], v[68:69], v[42:43]
	v_pk_add_f32 v[0:1], v[0:1], v[46:47]
	v_mov_b32_e32 v48, v53
	v_pk_add_f32 v[2:3], v[2:3], v[28:29]
	v_mul_f32_e32 v29, v62, v42
	v_pk_add_f32 v[0:1], v[0:1], v[48:49]
	v_mov_b32_e32 v28, v32
	v_fmac_f32_e32 v18, v51, v34
	v_fmac_f32_e32 v17, v62, v34
	v_mul_f32_e32 v70, v64, v35
	v_fmac_f32_e32 v16, v51, v38
	v_fmac_f32_e32 v15, v62, v38
	;; [unrolled: 1-line block ×3, first 2 shown]
	v_pk_add_f32 v[0:1], v[0:1], v[28:29]
	v_mul_f32_e32 v30, v64, v43
	v_mul_f32_e32 v29, v66, v43
	v_mov_b32_e32 v28, v33
	v_pk_add_f32 v[6:7], v[6:7], v[70:71]
	v_fmac_f32_e32 v18, v65, v35
	v_fmac_f32_e32 v17, v66, v35
	;; [unrolled: 1-line block ×4, first 2 shown]
	v_pk_add_f32 v[2:3], v[2:3], v[30:31]
	v_fmac_f32_e32 v14, v65, v43
	v_pk_add_f32 v[0:1], v[0:1], v[28:29]
	s_barrier
	s_cbranch_vccnz .LBB36_2
	s_branch .LBB36_4
.LBB36_3:
	v_mov_b32_e32 v21, 0
	v_mov_b32_e32 v20, 0
	;; [unrolled: 1-line block ×16, first 2 shown]
.LBB36_4:
	s_load_dwordx4 s[0:3], s[4:5], 0x78
	s_load_dword s9, s[4:5], 0x18
	s_load_dword s20, s[4:5], 0x50
	s_load_dwordx8 s[12:19], s[4:5], 0x58
	v_mov_b32_e32 v8, s11
	s_waitcnt lgkmcnt(0)
	s_mul_i32 s3, s8, s3
	s_mul_hi_u32 s4, s8, s2
	s_add_i32 s3, s4, s3
	s_mul_i32 s2, s8, s2
	v_add_co_u32_e32 v10, vcc, s10, v23
	s_lshl_b64 s[2:3], s[2:3], 2
	v_addc_co_u32_e32 v13, vcc, 0, v8, vcc
	s_add_u32 s4, s18, s2
	v_mov_b32_e32 v9, s7
	v_add_co_u32_e32 v8, vcc, s6, v22
	s_addc_u32 s5, s19, s3
	v_cmp_neq_f32_e64 s[2:3], s20, 0
	v_addc_co_u32_e32 v9, vcc, 0, v9, vcc
	s_and_b64 vcc, exec, s[2:3]
	v_mul_lo_u32 v11, v13, s0
	v_mul_lo_u32 v12, v10, s1
	v_lshlrev_b64 v[8:9], 2, v[8:9]
	s_cbranch_vccnz .LBB36_8
; %bb.5:
	v_mad_u64_u32 v[22:23], s[2:3], v10, s0, 0
	v_add3_u32 v23, v23, v12, v11
	v_lshlrev_b64 v[22:23], 2, v[22:23]
	v_mov_b32_e32 v24, s5
	v_add_co_u32_e32 v22, vcc, s4, v22
	v_addc_co_u32_e32 v23, vcc, v24, v23, vcc
	v_add_co_u32_e32 v22, vcc, v22, v8
	v_mul_f32_e32 v24, s9, v21
	v_addc_co_u32_e32 v23, vcc, v23, v9, vcc
	global_store_dword v[22:23], v24, off
	v_mul_f32_e32 v24, s9, v20
	global_store_dword v[22:23], v24, off offset:64
	v_mul_f32_e32 v24, s9, v19
	global_store_dword v[22:23], v24, off offset:128
	v_mul_f32_e32 v24, s9, v7
	s_lshl_b64 s[2:3], s[0:1], 6
	global_store_dword v[22:23], v24, off offset:192
	v_mov_b32_e32 v25, s3
	v_add_co_u32_e32 v22, vcc, s2, v22
	v_mul_f32_e32 v24, s9, v6
	v_addc_co_u32_e32 v23, vcc, v23, v25, vcc
	global_store_dword v[22:23], v24, off
	v_mul_f32_e32 v24, s9, v18
	global_store_dword v[22:23], v24, off offset:64
	v_mul_f32_e32 v24, s9, v17
	global_store_dword v[22:23], v24, off offset:128
	v_mul_f32_e32 v24, s9, v5
	global_store_dword v[22:23], v24, off offset:192
	v_add_co_u32_e32 v22, vcc, s2, v22
	v_mul_f32_e32 v24, s9, v4
	v_addc_co_u32_e32 v23, vcc, v23, v25, vcc
	global_store_dword v[22:23], v24, off
	v_mul_f32_e32 v24, s9, v16
	global_store_dword v[22:23], v24, off offset:64
	v_mul_f32_e32 v24, s9, v15
	global_store_dword v[22:23], v24, off offset:128
	v_mul_f32_e32 v24, s9, v3
	global_store_dword v[22:23], v24, off offset:192
	;; [unrolled: 10-line block ×3, first 2 shown]
	s_cbranch_execnz .LBB36_7
.LBB36_6:
	s_mul_i32 s2, s8, s17
	s_mul_hi_u32 s3, s8, s16
	s_add_i32 s3, s3, s2
	s_mul_i32 s2, s8, s16
	s_lshl_b64 s[2:3], s[2:3], 2
	s_add_u32 s6, s12, s2
	s_addc_u32 s7, s13, s3
	v_mul_lo_u32 v13, v13, s14
	v_mul_lo_u32 v24, v10, s15
	v_mad_u64_u32 v[22:23], s[2:3], v10, s14, 0
	v_add3_u32 v23, v23, v24, v13
	v_lshlrev_b64 v[22:23], 2, v[22:23]
	v_mov_b32_e32 v13, s7
	v_add_co_u32_e32 v22, vcc, s6, v22
	v_addc_co_u32_e32 v13, vcc, v13, v23, vcc
	v_add_co_u32_e32 v22, vcc, v22, v8
	v_addc_co_u32_e32 v23, vcc, v13, v9, vcc
	global_load_dword v13, v[22:23], off
	v_mad_u64_u32 v[24:25], s[2:3], v10, s0, 0
	v_add3_u32 v25, v25, v12, v11
	v_lshlrev_b64 v[10:11], 2, v[24:25]
	v_mov_b32_e32 v26, s5
	v_add_co_u32_e32 v10, vcc, s4, v10
	v_addc_co_u32_e32 v11, vcc, v26, v11, vcc
	v_add_co_u32_e32 v8, vcc, v10, v8
	v_addc_co_u32_e32 v9, vcc, v11, v9, vcc
	s_lshl_b64 s[2:3], s[14:15], 6
	s_lshl_b64 s[0:1], s[0:1], 6
	s_waitcnt vmcnt(0)
	v_mul_f32_e32 v10, s20, v13
	v_fmac_f32_e32 v10, s9, v21
	global_store_dword v[8:9], v10, off
	global_load_dword v10, v[22:23], off offset:64
	v_mov_b32_e32 v13, s3
	s_waitcnt vmcnt(0)
	v_mul_f32_e32 v10, s20, v10
	v_fmac_f32_e32 v10, s9, v20
	global_store_dword v[8:9], v10, off offset:64
	global_load_dword v10, v[22:23], off offset:128
	s_waitcnt vmcnt(0)
	v_mul_f32_e32 v10, s20, v10
	v_fmac_f32_e32 v10, s9, v19
	global_store_dword v[8:9], v10, off offset:128
	global_load_dword v12, v[22:23], off offset:192
	v_add_co_u32_e32 v10, vcc, s2, v22
	v_addc_co_u32_e32 v11, vcc, v23, v13, vcc
	s_waitcnt vmcnt(0)
	v_mul_f32_e32 v12, s20, v12
	v_fmac_f32_e32 v12, s9, v7
	global_store_dword v[8:9], v12, off offset:192
	global_load_dword v7, v[10:11], off
	v_mov_b32_e32 v12, s1
	v_add_co_u32_e32 v8, vcc, s0, v8
	v_addc_co_u32_e32 v9, vcc, v9, v12, vcc
	s_waitcnt vmcnt(0)
	v_mul_f32_e32 v7, s20, v7
	v_fmac_f32_e32 v7, s9, v6
	global_store_dword v[8:9], v7, off
	global_load_dword v6, v[10:11], off offset:64
	s_waitcnt vmcnt(0)
	v_mul_f32_e32 v6, s20, v6
	v_fmac_f32_e32 v6, s9, v18
	global_store_dword v[8:9], v6, off offset:64
	global_load_dword v6, v[10:11], off offset:128
	s_waitcnt vmcnt(0)
	v_mul_f32_e32 v6, s20, v6
	v_fmac_f32_e32 v6, s9, v17
	global_store_dword v[8:9], v6, off offset:128
	global_load_dword v17, v[10:11], off offset:192
	v_add_co_u32_e32 v6, vcc, s2, v10
	v_addc_co_u32_e32 v7, vcc, v11, v13, vcc
	s_waitcnt vmcnt(0)
	v_mul_f32_e32 v10, s20, v17
	v_fmac_f32_e32 v10, s9, v5
	global_store_dword v[8:9], v10, off offset:192
	global_load_dword v5, v[6:7], off
	v_add_co_u32_e32 v8, vcc, s0, v8
	v_addc_co_u32_e32 v9, vcc, v9, v12, vcc
	s_waitcnt vmcnt(0)
	v_mul_f32_e32 v5, s20, v5
	v_fmac_f32_e32 v5, s9, v4
	global_store_dword v[8:9], v5, off
	global_load_dword v4, v[6:7], off offset:64
	s_waitcnt vmcnt(0)
	v_mul_f32_e32 v4, s20, v4
	v_fmac_f32_e32 v4, s9, v16
	global_store_dword v[8:9], v4, off offset:64
	global_load_dword v4, v[6:7], off offset:128
	s_waitcnt vmcnt(0)
	v_mul_f32_e32 v4, s20, v4
	v_fmac_f32_e32 v4, s9, v15
	global_store_dword v[8:9], v4, off offset:128
	global_load_dword v10, v[6:7], off offset:192
	v_add_co_u32_e32 v4, vcc, s2, v6
	v_addc_co_u32_e32 v5, vcc, v7, v13, vcc
	s_waitcnt vmcnt(0)
	v_mul_f32_e32 v6, s20, v10
	v_fmac_f32_e32 v6, s9, v3
	global_store_dword v[8:9], v6, off offset:192
	global_load_dword v3, v[4:5], off
	s_waitcnt vmcnt(0)
	v_mul_f32_e32 v6, s20, v3
	v_fmac_f32_e32 v6, s9, v2
	v_add_co_u32_e32 v2, vcc, s0, v8
	v_addc_co_u32_e32 v3, vcc, v9, v12, vcc
	global_store_dword v[2:3], v6, off
	global_load_dword v6, v[4:5], off offset:64
	s_waitcnt vmcnt(0)
	v_mul_f32_e32 v6, s20, v6
	v_fmac_f32_e32 v6, s9, v14
	global_store_dword v[2:3], v6, off offset:64
	global_load_dword v6, v[4:5], off offset:128
	s_waitcnt vmcnt(0)
	v_mul_f32_e32 v6, s20, v6
	v_fmac_f32_e32 v6, s9, v1
	global_store_dword v[2:3], v6, off offset:128
	;; [unrolled: 5-line block ×3, first 2 shown]
.LBB36_7:
	s_endpgm
.LBB36_8:
	s_branch .LBB36_6
	.section	.rodata,"a",@progbits
	.p2align	6, 0x0
	.amdhsa_kernel _ZN12_GLOBAL__N_127rocblas_gemm_batched_kernelIfLi16ELi16ELi64ELi64ELi4ELi64ELi4ELi4ELi64ELc67ELc78EKfS1_fEEvlllT_PT11_llS4_llS2_PT12_llPT13_lli
		.amdhsa_group_segment_fixed_size 2048
		.amdhsa_private_segment_fixed_size 0
		.amdhsa_kernarg_size 140
		.amdhsa_user_sgpr_count 6
		.amdhsa_user_sgpr_private_segment_buffer 1
		.amdhsa_user_sgpr_dispatch_ptr 0
		.amdhsa_user_sgpr_queue_ptr 0
		.amdhsa_user_sgpr_kernarg_segment_ptr 1
		.amdhsa_user_sgpr_dispatch_id 0
		.amdhsa_user_sgpr_flat_scratch_init 0
		.amdhsa_user_sgpr_kernarg_preload_length 0
		.amdhsa_user_sgpr_kernarg_preload_offset 0
		.amdhsa_user_sgpr_private_segment_size 0
		.amdhsa_uses_dynamic_stack 0
		.amdhsa_system_sgpr_private_segment_wavefront_offset 0
		.amdhsa_system_sgpr_workgroup_id_x 1
		.amdhsa_system_sgpr_workgroup_id_y 1
		.amdhsa_system_sgpr_workgroup_id_z 1
		.amdhsa_system_sgpr_workgroup_info 0
		.amdhsa_system_vgpr_workitem_id 1
		.amdhsa_next_free_vgpr 72
		.amdhsa_next_free_sgpr 24
		.amdhsa_accum_offset 72
		.amdhsa_reserve_vcc 1
		.amdhsa_reserve_flat_scratch 0
		.amdhsa_float_round_mode_32 0
		.amdhsa_float_round_mode_16_64 0
		.amdhsa_float_denorm_mode_32 3
		.amdhsa_float_denorm_mode_16_64 3
		.amdhsa_dx10_clamp 1
		.amdhsa_ieee_mode 1
		.amdhsa_fp16_overflow 0
		.amdhsa_tg_split 0
		.amdhsa_exception_fp_ieee_invalid_op 0
		.amdhsa_exception_fp_denorm_src 0
		.amdhsa_exception_fp_ieee_div_zero 0
		.amdhsa_exception_fp_ieee_overflow 0
		.amdhsa_exception_fp_ieee_underflow 0
		.amdhsa_exception_fp_ieee_inexact 0
		.amdhsa_exception_int_div_zero 0
	.end_amdhsa_kernel
	.section	.text._ZN12_GLOBAL__N_127rocblas_gemm_batched_kernelIfLi16ELi16ELi64ELi64ELi4ELi64ELi4ELi4ELi64ELc67ELc78EKfS1_fEEvlllT_PT11_llS4_llS2_PT12_llPT13_lli,"axG",@progbits,_ZN12_GLOBAL__N_127rocblas_gemm_batched_kernelIfLi16ELi16ELi64ELi64ELi4ELi64ELi4ELi4ELi64ELc67ELc78EKfS1_fEEvlllT_PT11_llS4_llS2_PT12_llPT13_lli,comdat
.Lfunc_end36:
	.size	_ZN12_GLOBAL__N_127rocblas_gemm_batched_kernelIfLi16ELi16ELi64ELi64ELi4ELi64ELi4ELi4ELi64ELc67ELc78EKfS1_fEEvlllT_PT11_llS4_llS2_PT12_llPT13_lli, .Lfunc_end36-_ZN12_GLOBAL__N_127rocblas_gemm_batched_kernelIfLi16ELi16ELi64ELi64ELi4ELi64ELi4ELi4ELi64ELc67ELc78EKfS1_fEEvlllT_PT11_llS4_llS2_PT12_llPT13_lli
                                        ; -- End function
	.section	.AMDGPU.csdata,"",@progbits
; Kernel info:
; codeLenInByte = 2224
; NumSgprs: 28
; NumVgprs: 72
; NumAgprs: 0
; TotalNumVgprs: 72
; ScratchSize: 0
; MemoryBound: 0
; FloatMode: 240
; IeeeMode: 1
; LDSByteSize: 2048 bytes/workgroup (compile time only)
; SGPRBlocks: 3
; VGPRBlocks: 8
; NumSGPRsForWavesPerEU: 28
; NumVGPRsForWavesPerEU: 72
; AccumOffset: 72
; Occupancy: 7
; WaveLimiterHint : 0
; COMPUTE_PGM_RSRC2:SCRATCH_EN: 0
; COMPUTE_PGM_RSRC2:USER_SGPR: 6
; COMPUTE_PGM_RSRC2:TRAP_HANDLER: 0
; COMPUTE_PGM_RSRC2:TGID_X_EN: 1
; COMPUTE_PGM_RSRC2:TGID_Y_EN: 1
; COMPUTE_PGM_RSRC2:TGID_Z_EN: 1
; COMPUTE_PGM_RSRC2:TIDIG_COMP_CNT: 1
; COMPUTE_PGM_RSRC3_GFX90A:ACCUM_OFFSET: 17
; COMPUTE_PGM_RSRC3_GFX90A:TG_SPLIT: 0
	.section	.text._ZN12_GLOBAL__N_127rocblas_gemm_batched_kernelIfLi16ELi16ELi64ELi64ELi4ELi64ELi4ELi4ELi64ELc67ELc84EKfS1_fEEvlllT_PT11_llS4_llS2_PT12_llPT13_lli,"axG",@progbits,_ZN12_GLOBAL__N_127rocblas_gemm_batched_kernelIfLi16ELi16ELi64ELi64ELi4ELi64ELi4ELi4ELi64ELc67ELc84EKfS1_fEEvlllT_PT11_llS4_llS2_PT12_llPT13_lli,comdat
	.globl	_ZN12_GLOBAL__N_127rocblas_gemm_batched_kernelIfLi16ELi16ELi64ELi64ELi4ELi64ELi4ELi4ELi64ELc67ELc84EKfS1_fEEvlllT_PT11_llS4_llS2_PT12_llPT13_lli ; -- Begin function _ZN12_GLOBAL__N_127rocblas_gemm_batched_kernelIfLi16ELi16ELi64ELi64ELi4ELi64ELi4ELi4ELi64ELc67ELc84EKfS1_fEEvlllT_PT11_llS4_llS2_PT12_llPT13_lli
	.p2align	8
	.type	_ZN12_GLOBAL__N_127rocblas_gemm_batched_kernelIfLi16ELi16ELi64ELi64ELi4ELi64ELi4ELi4ELi64ELc67ELc84EKfS1_fEEvlllT_PT11_llS4_llS2_PT12_llPT13_lli,@function
_ZN12_GLOBAL__N_127rocblas_gemm_batched_kernelIfLi16ELi16ELi64ELi64ELi4ELi64ELi4ELi4ELi64ELc67ELc84EKfS1_fEEvlllT_PT11_llS4_llS2_PT12_llPT13_lli: ; @_ZN12_GLOBAL__N_127rocblas_gemm_batched_kernelIfLi16ELi16ELi64ELi64ELi4ELi64ELi4ELi4ELi64ELc67ELc84EKfS1_fEEvlllT_PT11_llS4_llS2_PT12_llPT13_lli
; %bb.0:
	s_load_dwordx2 s[20:21], s[4:5], 0x10
	s_mov_b32 s0, s7
	s_ashr_i32 s1, s0, 31
	s_ashr_i32 s7, s6, 31
	s_lshl_b64 s[10:11], s[0:1], 6
	s_waitcnt lgkmcnt(0)
	v_cmp_lt_i64_e64 s[0:1], s[20:21], 1
	v_bfe_u32 v23, v0, 10, 10
	v_and_b32_e32 v22, 0x3ff, v0
	s_lshl_b64 s[6:7], s[6:7], 6
	s_and_b64 vcc, exec, s[0:1]
	s_cbranch_vccnz .LBB37_3
; %bb.1:
	v_lshlrev_b32_e32 v2, 4, v23
	s_load_dwordx8 s[12:19], s[4:5], 0x20
	s_load_dwordx4 s[0:3], s[4:5], 0x40
	v_add_u32_e32 v3, v2, v22
	v_and_b32_e32 v6, 63, v3
	v_lshrrev_b32_e32 v0, 2, v3
	v_and_b32_e32 v4, 3, v22
	v_lshrrev_b32_e32 v7, 6, v3
	v_lshlrev_b32_e32 v3, 2, v6
	v_lshl_or_b32 v24, v7, 8, v3
	v_lshlrev_b32_e32 v3, 2, v4
	v_mov_b32_e32 v1, 0
	v_lshl_or_b32 v3, v0, 4, v3
	v_add_u32_e32 v25, 0x400, v3
	v_add_u32_e32 v27, 0x400, v2
	s_waitcnt lgkmcnt(0)
	v_mad_u64_u32 v[2:3], s[22:23], v4, s0, v[0:1]
	s_mul_i32 s3, s3, s8
	s_mul_hi_u32 s9, s2, s8
	v_mov_b32_e32 v0, v3
	s_add_i32 s3, s9, s3
	s_mul_i32 s2, s2, s8
	v_mad_u64_u32 v[4:5], s[22:23], v4, s1, v[0:1]
	s_lshl_b64 s[2:3], s[2:3], 2
	v_mov_b32_e32 v3, v4
	v_mov_b32_e32 v0, s11
	v_add_co_u32_e32 v2, vcc, s10, v2
	v_addc_co_u32_e32 v3, vcc, v3, v0, vcc
	s_add_u32 s2, s18, s2
	v_lshlrev_b64 v[2:3], 2, v[2:3]
	s_addc_u32 s3, s19, s3
	v_mov_b32_e32 v0, s3
	v_add_co_u32_e32 v10, vcc, s2, v2
	v_addc_co_u32_e32 v11, vcc, v0, v3, vcc
	v_mov_b32_e32 v0, s7
	v_add_co_u32_e32 v2, vcc, s6, v6
	v_addc_co_u32_e32 v0, vcc, 0, v0, vcc
	v_mul_lo_u32 v4, s15, v2
	v_mad_u64_u32 v[2:3], s[2:3], s14, v2, 0
	v_mul_lo_u32 v0, s14, v0
	s_mul_i32 s2, s17, s8
	s_mul_hi_u32 s3, s16, s8
	v_add3_u32 v3, v3, v0, v4
	s_add_i32 s3, s3, s2
	s_mul_i32 s2, s16, s8
	v_lshlrev_b64 v[2:3], 2, v[2:3]
	s_lshl_b64 s[2:3], s[2:3], 2
	v_mov_b32_e32 v0, s3
	v_add_co_u32_e32 v2, vcc, s2, v2
	v_addc_co_u32_e32 v0, vcc, v3, v0, vcc
	v_lshlrev_b32_e32 v3, 2, v7
	v_add_co_u32_e32 v2, vcc, v2, v3
	v_addc_co_u32_e32 v0, vcc, 0, v0, vcc
	s_lshl_b64 s[0:1], s[0:1], 4
	v_mov_b32_e32 v3, s13
	v_add_co_u32_e32 v12, vcc, s12, v2
	v_lshlrev_b32_e32 v26, 2, v22
	v_addc_co_u32_e32 v13, vcc, v3, v0, vcc
	s_mov_b64 s[2:3], 0
	v_mov_b32_e32 v28, s1
	v_pk_mov_b32 v[14:15], s[20:21], s[20:21] op_sel:[0,1]
	v_mov_b32_e32 v0, v1
	v_mov_b32_e32 v16, v1
	;; [unrolled: 1-line block ×15, first 2 shown]
.LBB37_2:                               ; =>This Inner Loop Header: Depth=1
	global_load_dword v29, v[12:13], off
	s_add_u32 s2, s2, 4
	s_addc_u32 s3, s3, 0
	s_waitcnt vmcnt(0)
	ds_write_b32 v24, v29
	global_load_dword v29, v[10:11], off
	v_add_co_u32_e32 v10, vcc, s0, v10
	v_addc_co_u32_e32 v11, vcc, v11, v28, vcc
	v_add_co_u32_e32 v12, vcc, 16, v12
	v_addc_co_u32_e32 v13, vcc, 0, v13, vcc
	v_cmp_lt_i64_e32 vcc, s[2:3], v[14:15]
	s_and_b64 vcc, exec, vcc
	s_waitcnt vmcnt(0)
	ds_write_b32 v25, v29
	s_waitcnt lgkmcnt(0)
	s_barrier
	ds_read2_b32 v[46:47], v26 offset1:16
	ds_read2_b32 v[48:49], v26 offset0:32 offset1:48
	ds_read2_b32 v[50:51], v26 offset0:64 offset1:80
	;; [unrolled: 1-line block ×3, first 2 shown]
	ds_read_b128 v[30:33], v27
	ds_read_b128 v[34:37], v27 offset:256
	ds_read_b128 v[38:41], v27 offset:512
	;; [unrolled: 1-line block ×3, first 2 shown]
	s_waitcnt lgkmcnt(4)
	v_mov_b32_e32 v55, v53
	s_waitcnt lgkmcnt(3)
	v_fmac_f32_e32 v20, v47, v30
	v_fmac_f32_e32 v19, v48, v30
	s_waitcnt lgkmcnt(2)
	v_fmac_f32_e32 v18, v47, v34
	v_fmac_f32_e32 v17, v48, v34
	;; [unrolled: 3-line block ×4, first 2 shown]
	v_fmac_f32_e32 v19, v52, v31
	v_fmac_f32_e32 v18, v51, v35
	;; [unrolled: 1-line block ×6, first 2 shown]
	v_mul_f32_e32 v51, v52, v43
	ds_read2_b32 v[52:53], v26 offset0:128 offset1:144
	ds_read2_b32 v[64:65], v26 offset0:160 offset1:176
	;; [unrolled: 1-line block ×4, first 2 shown]
	v_mov_b32_e32 v54, v49
	v_fmac_f32_e32 v21, v46, v30
	v_pk_mul_f32 v[56:57], v[54:55], v[30:31]
	v_fmac_f32_e32 v21, v50, v31
	v_mul_f32_e32 v30, v46, v34
	v_pk_mul_f32 v[58:59], v[54:55], v[34:35]
	s_waitcnt lgkmcnt(2)
	v_mov_b32_e32 v70, v65
	s_waitcnt lgkmcnt(0)
	v_mov_b32_e32 v71, v69
	v_mov_b32_e32 v31, v56
	v_mul_f32_e32 v34, v50, v35
	v_mul_f32_e32 v60, v46, v38
	v_fmac_f32_e32 v21, v52, v32
	v_fmac_f32_e32 v20, v53, v32
	;; [unrolled: 1-line block ×3, first 2 shown]
	v_pk_mul_f32 v[72:73], v[70:71], v[32:33]
	v_pk_add_f32 v[8:9], v[8:9], v[30:31]
	v_mov_b32_e32 v35, v57
	v_mov_b32_e32 v61, v58
	v_pk_mul_f32 v[62:63], v[54:55], v[38:39]
	v_mul_f32_e32 v38, v50, v39
	v_fmac_f32_e32 v21, v66, v33
	v_fmac_f32_e32 v20, v67, v33
	;; [unrolled: 1-line block ×3, first 2 shown]
	v_mul_f32_e32 v32, v52, v36
	v_pk_add_f32 v[8:9], v[8:9], v[34:35]
	v_mov_b32_e32 v33, v72
	v_pk_mul_f32 v[30:31], v[70:71], v[36:37]
	v_pk_add_f32 v[6:7], v[6:7], v[60:61]
	v_mov_b32_e32 v39, v59
	v_mul_f32_e32 v46, v46, v42
	v_pk_mul_f32 v[54:55], v[54:55], v[42:43]
	v_pk_add_f32 v[8:9], v[8:9], v[32:33]
	v_mul_f32_e32 v32, v52, v40
	v_pk_add_f32 v[6:7], v[6:7], v[38:39]
	v_mov_b32_e32 v33, v30
	v_mov_b32_e32 v47, v62
	v_mul_f32_e32 v49, v48, v42
	v_mul_f32_e32 v42, v50, v43
	v_pk_add_f32 v[6:7], v[6:7], v[32:33]
	v_pk_mul_f32 v[32:33], v[70:71], v[40:41]
	v_mul_f32_e32 v30, v66, v41
	v_pk_add_f32 v[4:5], v[4:5], v[46:47]
	v_mov_b32_e32 v43, v63
	v_mov_b32_e32 v48, v54
	v_pk_add_f32 v[6:7], v[6:7], v[30:31]
	v_mul_f32_e32 v30, v52, v44
	v_pk_add_f32 v[4:5], v[4:5], v[42:43]
	v_mov_b32_e32 v31, v32
	v_pk_mul_f32 v[34:35], v[70:71], v[44:45]
	v_pk_add_f32 v[2:3], v[2:3], v[48:49]
	v_mov_b32_e32 v50, v55
	v_pk_add_f32 v[4:5], v[4:5], v[30:31]
	v_mul_f32_e32 v31, v64, v44
	v_pk_add_f32 v[2:3], v[2:3], v[50:51]
	v_mov_b32_e32 v30, v34
	v_fmac_f32_e32 v18, v53, v36
	v_fmac_f32_e32 v17, v64, v36
	v_mul_f32_e32 v72, v66, v37
	v_fmac_f32_e32 v16, v53, v40
	v_fmac_f32_e32 v0, v64, v40
	;; [unrolled: 1-line block ×3, first 2 shown]
	v_pk_add_f32 v[2:3], v[2:3], v[30:31]
	v_mul_f32_e32 v32, v66, v45
	v_mul_f32_e32 v31, v68, v45
	v_mov_b32_e32 v30, v35
	v_pk_add_f32 v[8:9], v[8:9], v[72:73]
	v_fmac_f32_e32 v18, v67, v37
	v_fmac_f32_e32 v17, v68, v37
	;; [unrolled: 1-line block ×4, first 2 shown]
	v_pk_add_f32 v[4:5], v[4:5], v[32:33]
	v_fmac_f32_e32 v1, v67, v45
	v_pk_add_f32 v[2:3], v[2:3], v[30:31]
	s_barrier
	s_cbranch_vccnz .LBB37_2
	s_branch .LBB37_4
.LBB37_3:
	v_mov_b32_e32 v21, 0
	v_mov_b32_e32 v20, 0
	;; [unrolled: 1-line block ×16, first 2 shown]
.LBB37_4:
	s_load_dwordx4 s[0:3], s[4:5], 0x78
	s_load_dword s9, s[4:5], 0x18
	s_load_dword s20, s[4:5], 0x50
	s_load_dwordx8 s[12:19], s[4:5], 0x58
	v_mov_b32_e32 v10, s11
	s_waitcnt lgkmcnt(0)
	s_mul_i32 s3, s8, s3
	s_mul_hi_u32 s4, s8, s2
	s_add_i32 s3, s4, s3
	s_mul_i32 s2, s8, s2
	v_add_co_u32_e32 v12, vcc, s10, v23
	s_lshl_b64 s[2:3], s[2:3], 2
	v_addc_co_u32_e32 v15, vcc, 0, v10, vcc
	s_add_u32 s4, s18, s2
	v_mov_b32_e32 v11, s7
	v_add_co_u32_e32 v10, vcc, s6, v22
	s_addc_u32 s5, s19, s3
	v_cmp_neq_f32_e64 s[2:3], s20, 0
	v_addc_co_u32_e32 v11, vcc, 0, v11, vcc
	s_and_b64 vcc, exec, s[2:3]
	v_mul_lo_u32 v13, v15, s0
	v_mul_lo_u32 v14, v12, s1
	v_lshlrev_b64 v[10:11], 2, v[10:11]
	s_cbranch_vccnz .LBB37_8
; %bb.5:
	v_mad_u64_u32 v[22:23], s[2:3], v12, s0, 0
	v_add3_u32 v23, v23, v14, v13
	v_lshlrev_b64 v[22:23], 2, v[22:23]
	v_mov_b32_e32 v24, s5
	v_add_co_u32_e32 v22, vcc, s4, v22
	v_addc_co_u32_e32 v23, vcc, v24, v23, vcc
	v_add_co_u32_e32 v22, vcc, v22, v10
	v_mul_f32_e32 v24, s9, v21
	v_addc_co_u32_e32 v23, vcc, v23, v11, vcc
	global_store_dword v[22:23], v24, off
	v_mul_f32_e32 v24, s9, v20
	global_store_dword v[22:23], v24, off offset:64
	v_mul_f32_e32 v24, s9, v19
	global_store_dword v[22:23], v24, off offset:128
	v_mul_f32_e32 v24, s9, v9
	s_lshl_b64 s[2:3], s[0:1], 6
	global_store_dword v[22:23], v24, off offset:192
	v_mov_b32_e32 v25, s3
	v_add_co_u32_e32 v22, vcc, s2, v22
	v_mul_f32_e32 v24, s9, v8
	v_addc_co_u32_e32 v23, vcc, v23, v25, vcc
	global_store_dword v[22:23], v24, off
	v_mul_f32_e32 v24, s9, v18
	global_store_dword v[22:23], v24, off offset:64
	v_mul_f32_e32 v24, s9, v17
	global_store_dword v[22:23], v24, off offset:128
	v_mul_f32_e32 v24, s9, v7
	global_store_dword v[22:23], v24, off offset:192
	v_add_co_u32_e32 v22, vcc, s2, v22
	v_mul_f32_e32 v24, s9, v6
	v_addc_co_u32_e32 v23, vcc, v23, v25, vcc
	global_store_dword v[22:23], v24, off
	v_mul_f32_e32 v24, s9, v16
	global_store_dword v[22:23], v24, off offset:64
	v_mul_f32_e32 v24, s9, v0
	global_store_dword v[22:23], v24, off offset:128
	v_mul_f32_e32 v24, s9, v5
	global_store_dword v[22:23], v24, off offset:192
	;; [unrolled: 10-line block ×3, first 2 shown]
	s_cbranch_execnz .LBB37_7
.LBB37_6:
	s_mul_i32 s2, s8, s17
	s_mul_hi_u32 s3, s8, s16
	s_add_i32 s3, s3, s2
	s_mul_i32 s2, s8, s16
	s_lshl_b64 s[2:3], s[2:3], 2
	s_add_u32 s6, s12, s2
	s_addc_u32 s7, s13, s3
	v_mul_lo_u32 v15, v15, s14
	v_mul_lo_u32 v24, v12, s15
	v_mad_u64_u32 v[22:23], s[2:3], v12, s14, 0
	v_add3_u32 v23, v23, v24, v15
	v_lshlrev_b64 v[22:23], 2, v[22:23]
	v_mov_b32_e32 v15, s7
	v_add_co_u32_e32 v22, vcc, s6, v22
	v_addc_co_u32_e32 v15, vcc, v15, v23, vcc
	v_add_co_u32_e32 v22, vcc, v22, v10
	v_addc_co_u32_e32 v23, vcc, v15, v11, vcc
	global_load_dword v15, v[22:23], off
	v_mad_u64_u32 v[24:25], s[2:3], v12, s0, 0
	v_add3_u32 v25, v25, v14, v13
	v_lshlrev_b64 v[12:13], 2, v[24:25]
	v_mov_b32_e32 v26, s5
	v_add_co_u32_e32 v12, vcc, s4, v12
	v_addc_co_u32_e32 v13, vcc, v26, v13, vcc
	v_add_co_u32_e32 v10, vcc, v12, v10
	v_addc_co_u32_e32 v11, vcc, v13, v11, vcc
	s_lshl_b64 s[2:3], s[14:15], 6
	s_lshl_b64 s[0:1], s[0:1], 6
	s_waitcnt vmcnt(0)
	v_mul_f32_e32 v12, s20, v15
	v_fmac_f32_e32 v12, s9, v21
	global_store_dword v[10:11], v12, off
	global_load_dword v12, v[22:23], off offset:64
	v_mov_b32_e32 v15, s3
	s_waitcnt vmcnt(0)
	v_mul_f32_e32 v12, s20, v12
	v_fmac_f32_e32 v12, s9, v20
	global_store_dword v[10:11], v12, off offset:64
	global_load_dword v12, v[22:23], off offset:128
	s_waitcnt vmcnt(0)
	v_mul_f32_e32 v12, s20, v12
	v_fmac_f32_e32 v12, s9, v19
	global_store_dword v[10:11], v12, off offset:128
	global_load_dword v14, v[22:23], off offset:192
	v_add_co_u32_e32 v12, vcc, s2, v22
	v_addc_co_u32_e32 v13, vcc, v23, v15, vcc
	s_waitcnt vmcnt(0)
	v_mul_f32_e32 v14, s20, v14
	v_fmac_f32_e32 v14, s9, v9
	global_store_dword v[10:11], v14, off offset:192
	global_load_dword v9, v[12:13], off
	v_mov_b32_e32 v14, s1
	v_add_co_u32_e32 v10, vcc, s0, v10
	v_addc_co_u32_e32 v11, vcc, v11, v14, vcc
	s_waitcnt vmcnt(0)
	v_mul_f32_e32 v9, s20, v9
	v_fmac_f32_e32 v9, s9, v8
	global_store_dword v[10:11], v9, off
	global_load_dword v8, v[12:13], off offset:64
	s_waitcnt vmcnt(0)
	v_mul_f32_e32 v8, s20, v8
	v_fmac_f32_e32 v8, s9, v18
	global_store_dword v[10:11], v8, off offset:64
	global_load_dword v8, v[12:13], off offset:128
	s_waitcnt vmcnt(0)
	v_mul_f32_e32 v8, s20, v8
	v_fmac_f32_e32 v8, s9, v17
	global_store_dword v[10:11], v8, off offset:128
	global_load_dword v17, v[12:13], off offset:192
	v_add_co_u32_e32 v8, vcc, s2, v12
	v_addc_co_u32_e32 v9, vcc, v13, v15, vcc
	s_waitcnt vmcnt(0)
	v_mul_f32_e32 v12, s20, v17
	v_fmac_f32_e32 v12, s9, v7
	global_store_dword v[10:11], v12, off offset:192
	global_load_dword v7, v[8:9], off
	v_add_co_u32_e32 v10, vcc, s0, v10
	v_addc_co_u32_e32 v11, vcc, v11, v14, vcc
	s_waitcnt vmcnt(0)
	v_mul_f32_e32 v7, s20, v7
	v_fmac_f32_e32 v7, s9, v6
	global_store_dword v[10:11], v7, off
	global_load_dword v6, v[8:9], off offset:64
	s_waitcnt vmcnt(0)
	v_mul_f32_e32 v6, s20, v6
	v_fmac_f32_e32 v6, s9, v16
	global_store_dword v[10:11], v6, off offset:64
	global_load_dword v6, v[8:9], off offset:128
	s_waitcnt vmcnt(0)
	v_mul_f32_e32 v6, s20, v6
	v_fmac_f32_e32 v6, s9, v0
	global_store_dword v[10:11], v6, off offset:128
	global_load_dword v0, v[8:9], off offset:192
	v_add_co_u32_e32 v6, vcc, s2, v8
	v_addc_co_u32_e32 v7, vcc, v9, v15, vcc
	s_waitcnt vmcnt(0)
	v_mul_f32_e32 v0, s20, v0
	v_fmac_f32_e32 v0, s9, v5
	global_store_dword v[10:11], v0, off offset:192
	global_load_dword v0, v[6:7], off
	s_waitcnt vmcnt(0)
	v_mul_f32_e32 v0, s20, v0
	v_fmac_f32_e32 v0, s9, v4
	v_add_co_u32_e32 v4, vcc, s0, v10
	v_addc_co_u32_e32 v5, vcc, v11, v14, vcc
	global_store_dword v[4:5], v0, off
	global_load_dword v0, v[6:7], off offset:64
	s_waitcnt vmcnt(0)
	v_mul_f32_e32 v0, s20, v0
	v_fmac_f32_e32 v0, s9, v1
	global_store_dword v[4:5], v0, off offset:64
	global_load_dword v0, v[6:7], off offset:128
	s_waitcnt vmcnt(0)
	v_mul_f32_e32 v0, s20, v0
	v_fmac_f32_e32 v0, s9, v3
	global_store_dword v[4:5], v0, off offset:128
	;; [unrolled: 5-line block ×3, first 2 shown]
.LBB37_7:
	s_endpgm
.LBB37_8:
	s_branch .LBB37_6
	.section	.rodata,"a",@progbits
	.p2align	6, 0x0
	.amdhsa_kernel _ZN12_GLOBAL__N_127rocblas_gemm_batched_kernelIfLi16ELi16ELi64ELi64ELi4ELi64ELi4ELi4ELi64ELc67ELc84EKfS1_fEEvlllT_PT11_llS4_llS2_PT12_llPT13_lli
		.amdhsa_group_segment_fixed_size 2048
		.amdhsa_private_segment_fixed_size 0
		.amdhsa_kernarg_size 140
		.amdhsa_user_sgpr_count 6
		.amdhsa_user_sgpr_private_segment_buffer 1
		.amdhsa_user_sgpr_dispatch_ptr 0
		.amdhsa_user_sgpr_queue_ptr 0
		.amdhsa_user_sgpr_kernarg_segment_ptr 1
		.amdhsa_user_sgpr_dispatch_id 0
		.amdhsa_user_sgpr_flat_scratch_init 0
		.amdhsa_user_sgpr_kernarg_preload_length 0
		.amdhsa_user_sgpr_kernarg_preload_offset 0
		.amdhsa_user_sgpr_private_segment_size 0
		.amdhsa_uses_dynamic_stack 0
		.amdhsa_system_sgpr_private_segment_wavefront_offset 0
		.amdhsa_system_sgpr_workgroup_id_x 1
		.amdhsa_system_sgpr_workgroup_id_y 1
		.amdhsa_system_sgpr_workgroup_id_z 1
		.amdhsa_system_sgpr_workgroup_info 0
		.amdhsa_system_vgpr_workitem_id 1
		.amdhsa_next_free_vgpr 74
		.amdhsa_next_free_sgpr 24
		.amdhsa_accum_offset 76
		.amdhsa_reserve_vcc 1
		.amdhsa_reserve_flat_scratch 0
		.amdhsa_float_round_mode_32 0
		.amdhsa_float_round_mode_16_64 0
		.amdhsa_float_denorm_mode_32 3
		.amdhsa_float_denorm_mode_16_64 3
		.amdhsa_dx10_clamp 1
		.amdhsa_ieee_mode 1
		.amdhsa_fp16_overflow 0
		.amdhsa_tg_split 0
		.amdhsa_exception_fp_ieee_invalid_op 0
		.amdhsa_exception_fp_denorm_src 0
		.amdhsa_exception_fp_ieee_div_zero 0
		.amdhsa_exception_fp_ieee_overflow 0
		.amdhsa_exception_fp_ieee_underflow 0
		.amdhsa_exception_fp_ieee_inexact 0
		.amdhsa_exception_int_div_zero 0
	.end_amdhsa_kernel
	.section	.text._ZN12_GLOBAL__N_127rocblas_gemm_batched_kernelIfLi16ELi16ELi64ELi64ELi4ELi64ELi4ELi4ELi64ELc67ELc84EKfS1_fEEvlllT_PT11_llS4_llS2_PT12_llPT13_lli,"axG",@progbits,_ZN12_GLOBAL__N_127rocblas_gemm_batched_kernelIfLi16ELi16ELi64ELi64ELi4ELi64ELi4ELi4ELi64ELc67ELc84EKfS1_fEEvlllT_PT11_llS4_llS2_PT12_llPT13_lli,comdat
.Lfunc_end37:
	.size	_ZN12_GLOBAL__N_127rocblas_gemm_batched_kernelIfLi16ELi16ELi64ELi64ELi4ELi64ELi4ELi4ELi64ELc67ELc84EKfS1_fEEvlllT_PT11_llS4_llS2_PT12_llPT13_lli, .Lfunc_end37-_ZN12_GLOBAL__N_127rocblas_gemm_batched_kernelIfLi16ELi16ELi64ELi64ELi4ELi64ELi4ELi4ELi64ELc67ELc84EKfS1_fEEvlllT_PT11_llS4_llS2_PT12_llPT13_lli
                                        ; -- End function
	.section	.AMDGPU.csdata,"",@progbits
; Kernel info:
; codeLenInByte = 2212
; NumSgprs: 28
; NumVgprs: 74
; NumAgprs: 0
; TotalNumVgprs: 74
; ScratchSize: 0
; MemoryBound: 0
; FloatMode: 240
; IeeeMode: 1
; LDSByteSize: 2048 bytes/workgroup (compile time only)
; SGPRBlocks: 3
; VGPRBlocks: 9
; NumSGPRsForWavesPerEU: 28
; NumVGPRsForWavesPerEU: 74
; AccumOffset: 76
; Occupancy: 6
; WaveLimiterHint : 0
; COMPUTE_PGM_RSRC2:SCRATCH_EN: 0
; COMPUTE_PGM_RSRC2:USER_SGPR: 6
; COMPUTE_PGM_RSRC2:TRAP_HANDLER: 0
; COMPUTE_PGM_RSRC2:TGID_X_EN: 1
; COMPUTE_PGM_RSRC2:TGID_Y_EN: 1
; COMPUTE_PGM_RSRC2:TGID_Z_EN: 1
; COMPUTE_PGM_RSRC2:TIDIG_COMP_CNT: 1
; COMPUTE_PGM_RSRC3_GFX90A:ACCUM_OFFSET: 18
; COMPUTE_PGM_RSRC3_GFX90A:TG_SPLIT: 0
	.section	.text._ZN12_GLOBAL__N_127rocblas_gemm_batched_kernelIfLi16ELi16ELi64ELi64ELi4ELi64ELi4ELi4ELi64ELc78ELc67EKfS1_fEEvlllT_PT11_llS4_llS2_PT12_llPT13_lli,"axG",@progbits,_ZN12_GLOBAL__N_127rocblas_gemm_batched_kernelIfLi16ELi16ELi64ELi64ELi4ELi64ELi4ELi4ELi64ELc78ELc67EKfS1_fEEvlllT_PT11_llS4_llS2_PT12_llPT13_lli,comdat
	.globl	_ZN12_GLOBAL__N_127rocblas_gemm_batched_kernelIfLi16ELi16ELi64ELi64ELi4ELi64ELi4ELi4ELi64ELc78ELc67EKfS1_fEEvlllT_PT11_llS4_llS2_PT12_llPT13_lli ; -- Begin function _ZN12_GLOBAL__N_127rocblas_gemm_batched_kernelIfLi16ELi16ELi64ELi64ELi4ELi64ELi4ELi4ELi64ELc78ELc67EKfS1_fEEvlllT_PT11_llS4_llS2_PT12_llPT13_lli
	.p2align	8
	.type	_ZN12_GLOBAL__N_127rocblas_gemm_batched_kernelIfLi16ELi16ELi64ELi64ELi4ELi64ELi4ELi4ELi64ELc78ELc67EKfS1_fEEvlllT_PT11_llS4_llS2_PT12_llPT13_lli,@function
_ZN12_GLOBAL__N_127rocblas_gemm_batched_kernelIfLi16ELi16ELi64ELi64ELi4ELi64ELi4ELi4ELi64ELc78ELc67EKfS1_fEEvlllT_PT11_llS4_llS2_PT12_llPT13_lli: ; @_ZN12_GLOBAL__N_127rocblas_gemm_batched_kernelIfLi16ELi16ELi64ELi64ELi4ELi64ELi4ELi4ELi64ELc78ELc67EKfS1_fEEvlllT_PT11_llS4_llS2_PT12_llPT13_lli
; %bb.0:
	s_load_dwordx2 s[20:21], s[4:5], 0x10
	s_mov_b32 s0, s7
	s_ashr_i32 s1, s0, 31
	s_ashr_i32 s7, s6, 31
	s_lshl_b64 s[10:11], s[0:1], 6
	s_waitcnt lgkmcnt(0)
	v_cmp_lt_i64_e64 s[0:1], s[20:21], 1
	v_bfe_u32 v35, v0, 10, 10
	v_and_b32_e32 v34, 0x3ff, v0
	s_lshl_b64 s[6:7], s[6:7], 6
	s_and_b64 vcc, exec, s[0:1]
	s_cbranch_vccnz .LBB38_3
; %bb.1:
	v_lshlrev_b32_e32 v2, 4, v35
	s_load_dwordx8 s[12:19], s[4:5], 0x20
	s_load_dwordx4 s[0:3], s[4:5], 0x40
	v_add_u32_e32 v3, v2, v34
	v_and_b32_e32 v6, 63, v3
	v_lshrrev_b32_e32 v0, 2, v3
	v_and_b32_e32 v4, 3, v34
	v_lshrrev_b32_e32 v7, 6, v3
	v_lshlrev_b32_e32 v3, 2, v6
	v_lshl_or_b32 v36, v7, 8, v3
	v_lshlrev_b32_e32 v3, 2, v4
	v_mov_b32_e32 v1, 0
	v_lshl_or_b32 v3, v0, 4, v3
	v_add_u32_e32 v37, 0x400, v3
	v_add_u32_e32 v39, 0x400, v2
	s_waitcnt lgkmcnt(0)
	v_mad_u64_u32 v[2:3], s[22:23], v4, s0, v[0:1]
	s_mul_i32 s3, s3, s8
	s_mul_hi_u32 s9, s2, s8
	v_mov_b32_e32 v0, v3
	s_add_i32 s3, s9, s3
	s_mul_i32 s2, s2, s8
	v_mad_u64_u32 v[4:5], s[22:23], v4, s1, v[0:1]
	s_lshl_b64 s[2:3], s[2:3], 2
	v_mov_b32_e32 v3, v4
	v_mov_b32_e32 v0, s11
	v_add_co_u32_e32 v2, vcc, s10, v2
	v_addc_co_u32_e32 v3, vcc, v3, v0, vcc
	s_add_u32 s2, s18, s2
	v_lshlrev_b64 v[2:3], 2, v[2:3]
	s_addc_u32 s3, s19, s3
	v_mov_b32_e32 v0, s3
	v_add_co_u32_e32 v10, vcc, s2, v2
	v_addc_co_u32_e32 v11, vcc, v0, v3, vcc
	s_mul_i32 s2, s17, s8
	s_mul_hi_u32 s3, s16, s8
	v_pk_mov_b32 v[2:3], s[6:7], s[6:7] op_sel:[0,1]
	s_add_i32 s3, s3, s2
	s_mul_i32 s2, s16, s8
	v_mad_u64_u32 v[2:3], s[16:17], v7, s14, v[2:3]
	v_mov_b32_e32 v0, v3
	v_mad_u64_u32 v[4:5], s[16:17], v7, s15, v[0:1]
	s_lshl_b64 s[0:1], s[0:1], 4
	s_lshl_b64 s[2:3], s[2:3], 2
	v_mov_b32_e32 v3, v4
	v_add_co_u32_e32 v2, vcc, v2, v6
	v_addc_co_u32_e32 v3, vcc, 0, v3, vcc
	s_add_u32 s2, s12, s2
	v_lshlrev_b64 v[2:3], 2, v[2:3]
	s_addc_u32 s3, s13, s3
	v_mov_b32_e32 v0, s3
	v_add_co_u32_e32 v12, vcc, s2, v2
	s_lshl_b64 s[2:3], s[14:15], 4
	v_lshlrev_b32_e32 v38, 2, v34
	v_addc_co_u32_e32 v13, vcc, v0, v3, vcc
	s_mov_b64 s[12:13], 0
	v_mov_b32_e32 v40, s1
	v_mov_b32_e32 v41, s3
	v_pk_mov_b32 v[14:15], s[20:21], s[20:21] op_sel:[0,1]
	v_mov_b32_e32 v0, v1
	v_mov_b32_e32 v28, v1
	v_mov_b32_e32 v29, v1
	v_mov_b32_e32 v30, v1
	v_mov_b32_e32 v31, v1
	v_mov_b32_e32 v32, v1
	v_mov_b32_e32 v33, v1
	v_mov_b32_e32 v2, v1
	v_mov_b32_e32 v3, v1
	v_mov_b32_e32 v4, v1
	v_mov_b32_e32 v5, v1
	v_mov_b32_e32 v6, v1
	v_mov_b32_e32 v7, v1
	v_mov_b32_e32 v8, v1
	v_mov_b32_e32 v9, v1
.LBB38_2:                               ; =>This Inner Loop Header: Depth=1
	global_load_dword v16, v[12:13], off
	global_load_dword v17, v[10:11], off
	v_add_co_u32_e32 v10, vcc, s0, v10
	v_addc_co_u32_e32 v11, vcc, v11, v40, vcc
	s_add_u32 s12, s12, 4
	v_add_co_u32_e32 v12, vcc, s2, v12
	v_addc_co_u32_e32 v13, vcc, v13, v41, vcc
	s_addc_u32 s13, s13, 0
	v_cmp_lt_i64_e32 vcc, s[12:13], v[14:15]
	s_and_b64 vcc, exec, vcc
	s_waitcnt vmcnt(1)
	ds_write_b32 v36, v16
	s_waitcnt vmcnt(0)
	ds_write_b32 v37, v17
	s_waitcnt lgkmcnt(0)
	s_barrier
	ds_read2_b32 v[20:21], v38 offset1:16
	ds_read2_b32 v[16:17], v38 offset0:32 offset1:48
	ds_read2_b32 v[22:23], v38 offset0:64 offset1:80
	;; [unrolled: 1-line block ×4, first 2 shown]
	ds_read_b128 v[42:45], v39
	ds_read2_b32 v[50:51], v38 offset0:160 offset1:176
	ds_read2_b32 v[26:27], v38 offset0:192 offset1:208
	;; [unrolled: 1-line block ×3, first 2 shown]
	ds_read_b128 v[46:49], v39 offset:256
	s_waitcnt lgkmcnt(4)
	v_fmac_f32_e32 v33, v20, v42
	v_fmac_f32_e32 v32, v21, v42
	;; [unrolled: 1-line block ×3, first 2 shown]
	s_waitcnt lgkmcnt(3)
	v_mov_b32_e32 v56, v51
	s_waitcnt lgkmcnt(0)
	v_fmac_f32_e32 v30, v21, v46
	v_fmac_f32_e32 v29, v16, v46
	v_mov_b32_e32 v57, v53
	v_fmac_f32_e32 v33, v22, v43
	v_fmac_f32_e32 v32, v23, v43
	;; [unrolled: 1-line block ×5, first 2 shown]
	v_mov_b32_e32 v54, v17
	v_mov_b32_e32 v55, v19
	v_pk_mul_f32 v[66:67], v[56:57], v[44:45]
	v_fmac_f32_e32 v33, v24, v44
	v_fmac_f32_e32 v32, v25, v44
	;; [unrolled: 1-line block ×5, first 2 shown]
	v_mul_f32_e32 v58, v24, v48
	v_mul_f32_e32 v60, v20, v46
	;; [unrolled: 1-line block ×3, first 2 shown]
	v_pk_mul_f32 v[64:65], v[54:55], v[42:43]
	v_fmac_f32_e32 v33, v26, v45
	v_fmac_f32_e32 v32, v27, v45
	;; [unrolled: 1-line block ×3, first 2 shown]
	v_pk_mul_f32 v[68:69], v[54:55], v[46:47]
	v_pk_mul_f32 v[70:71], v[56:57], v[48:49]
	v_mov_b32_e32 v59, v66
	v_mul_f32_e32 v66, v26, v49
	v_fmac_f32_e32 v30, v27, v49
	v_fmac_f32_e32 v29, v52, v49
	ds_read_b128 v[42:45], v39 offset:512
	ds_read_b128 v[46:49], v39 offset:768
	v_mov_b32_e32 v61, v64
	v_mov_b32_e32 v75, v68
	;; [unrolled: 1-line block ×3, first 2 shown]
	s_waitcnt lgkmcnt(1)
	v_fmac_f32_e32 v28, v21, v42
	v_fmac_f32_e32 v0, v16, v42
	;; [unrolled: 1-line block ×4, first 2 shown]
	v_mul_f32_e32 v74, v20, v42
	v_mul_f32_e32 v76, v22, v43
	v_pk_mul_f32 v[42:43], v[54:55], v[42:43]
	s_waitcnt lgkmcnt(0)
	v_fmac_f32_e32 v1, v21, v46
	v_fmac_f32_e32 v1, v23, v47
	v_mov_b32_e32 v21, v42
	v_mov_b32_e32 v23, v43
	v_pk_mul_f32 v[42:43], v[54:55], v[46:47]
	v_fmac_f32_e32 v28, v25, v44
	v_fmac_f32_e32 v0, v50, v44
	v_mul_f32_e32 v20, v20, v46
	v_mul_f32_e32 v17, v16, v46
	v_mov_b32_e32 v16, v42
	v_mul_f32_e32 v72, v24, v44
	v_mul_f32_e32 v70, v26, v45
	v_fmac_f32_e32 v28, v27, v45
	v_fmac_f32_e32 v0, v52, v45
	v_pk_mul_f32 v[44:45], v[56:57], v[44:45]
	v_mov_b32_e32 v63, v65
	v_mov_b32_e32 v77, v69
	v_mul_f32_e32 v22, v22, v47
	v_mul_f32_e32 v19, v18, v47
	v_mov_b32_e32 v18, v43
	v_mul_f32_e32 v43, v50, v48
	v_pk_mul_f32 v[50:51], v[56:57], v[48:49]
	v_pk_add_f32 v[8:9], v[8:9], v[60:61]
	v_pk_add_f32 v[6:7], v[6:7], v[74:75]
	;; [unrolled: 1-line block ×4, first 2 shown]
	v_mov_b32_e32 v42, v50
	v_fmac_f32_e32 v1, v25, v48
	v_mul_f32_e32 v24, v24, v48
	v_mov_b32_e32 v25, v44
	v_pk_add_f32 v[8:9], v[8:9], v[62:63]
	v_pk_add_f32 v[6:7], v[6:7], v[76:77]
	;; [unrolled: 1-line block ×4, first 2 shown]
	v_mul_f32_e32 v47, v52, v49
	v_mov_b32_e32 v46, v51
	v_mul_f32_e32 v44, v26, v49
	v_pk_add_f32 v[8:9], v[8:9], v[58:59]
	v_pk_add_f32 v[6:7], v[6:7], v[72:73]
	;; [unrolled: 1-line block ×4, first 2 shown]
	v_fmac_f32_e32 v1, v27, v49
	v_pk_add_f32 v[8:9], v[8:9], v[66:67]
	v_pk_add_f32 v[6:7], v[6:7], v[70:71]
	;; [unrolled: 1-line block ×4, first 2 shown]
	s_barrier
	s_cbranch_vccnz .LBB38_2
	s_branch .LBB38_4
.LBB38_3:
	v_mov_b32_e32 v33, 0
	v_mov_b32_e32 v32, 0
	;; [unrolled: 1-line block ×16, first 2 shown]
.LBB38_4:
	s_load_dwordx4 s[0:3], s[4:5], 0x78
	s_load_dword s9, s[4:5], 0x18
	s_load_dword s20, s[4:5], 0x50
	s_load_dwordx8 s[12:19], s[4:5], 0x58
	v_mov_b32_e32 v10, s11
	s_waitcnt lgkmcnt(0)
	s_mul_i32 s3, s8, s3
	s_mul_hi_u32 s4, s8, s2
	s_add_i32 s3, s4, s3
	s_mul_i32 s2, s8, s2
	v_add_co_u32_e32 v12, vcc, s10, v35
	s_lshl_b64 s[2:3], s[2:3], 2
	v_addc_co_u32_e32 v15, vcc, 0, v10, vcc
	s_add_u32 s4, s18, s2
	v_mov_b32_e32 v11, s7
	v_add_co_u32_e32 v10, vcc, s6, v34
	s_addc_u32 s5, s19, s3
	v_cmp_neq_f32_e64 s[2:3], s20, 0
	v_addc_co_u32_e32 v11, vcc, 0, v11, vcc
	s_and_b64 vcc, exec, s[2:3]
	v_mul_lo_u32 v13, v15, s0
	v_mul_lo_u32 v14, v12, s1
	v_lshlrev_b64 v[10:11], 2, v[10:11]
	s_cbranch_vccnz .LBB38_8
; %bb.5:
	v_mad_u64_u32 v[16:17], s[2:3], v12, s0, 0
	v_add3_u32 v17, v17, v14, v13
	v_lshlrev_b64 v[16:17], 2, v[16:17]
	v_mov_b32_e32 v18, s5
	v_add_co_u32_e32 v16, vcc, s4, v16
	v_addc_co_u32_e32 v17, vcc, v18, v17, vcc
	v_add_co_u32_e32 v16, vcc, v16, v10
	v_mul_f32_e32 v18, s9, v33
	v_addc_co_u32_e32 v17, vcc, v17, v11, vcc
	global_store_dword v[16:17], v18, off
	v_mul_f32_e32 v18, s9, v32
	global_store_dword v[16:17], v18, off offset:64
	v_mul_f32_e32 v18, s9, v31
	global_store_dword v[16:17], v18, off offset:128
	v_mul_f32_e32 v18, s9, v9
	s_lshl_b64 s[2:3], s[0:1], 6
	global_store_dword v[16:17], v18, off offset:192
	v_mov_b32_e32 v19, s3
	v_add_co_u32_e32 v16, vcc, s2, v16
	v_mul_f32_e32 v18, s9, v8
	v_addc_co_u32_e32 v17, vcc, v17, v19, vcc
	global_store_dword v[16:17], v18, off
	v_mul_f32_e32 v18, s9, v30
	global_store_dword v[16:17], v18, off offset:64
	v_mul_f32_e32 v18, s9, v29
	global_store_dword v[16:17], v18, off offset:128
	v_mul_f32_e32 v18, s9, v7
	global_store_dword v[16:17], v18, off offset:192
	v_add_co_u32_e32 v16, vcc, s2, v16
	v_mul_f32_e32 v18, s9, v6
	v_addc_co_u32_e32 v17, vcc, v17, v19, vcc
	global_store_dword v[16:17], v18, off
	v_mul_f32_e32 v18, s9, v28
	global_store_dword v[16:17], v18, off offset:64
	v_mul_f32_e32 v18, s9, v0
	global_store_dword v[16:17], v18, off offset:128
	v_mul_f32_e32 v18, s9, v5
	global_store_dword v[16:17], v18, off offset:192
	;; [unrolled: 10-line block ×3, first 2 shown]
	s_cbranch_execnz .LBB38_7
.LBB38_6:
	s_mul_i32 s2, s8, s17
	s_mul_hi_u32 s3, s8, s16
	s_add_i32 s3, s3, s2
	s_mul_i32 s2, s8, s16
	s_lshl_b64 s[2:3], s[2:3], 2
	s_add_u32 s6, s12, s2
	s_addc_u32 s7, s13, s3
	v_mul_lo_u32 v15, v15, s14
	v_mul_lo_u32 v18, v12, s15
	v_mad_u64_u32 v[16:17], s[2:3], v12, s14, 0
	v_add3_u32 v17, v17, v18, v15
	v_lshlrev_b64 v[16:17], 2, v[16:17]
	v_mov_b32_e32 v15, s7
	v_add_co_u32_e32 v16, vcc, s6, v16
	v_addc_co_u32_e32 v15, vcc, v15, v17, vcc
	v_add_co_u32_e32 v16, vcc, v16, v10
	v_addc_co_u32_e32 v17, vcc, v15, v11, vcc
	global_load_dword v15, v[16:17], off
	v_mad_u64_u32 v[18:19], s[2:3], v12, s0, 0
	v_add3_u32 v19, v19, v14, v13
	v_lshlrev_b64 v[12:13], 2, v[18:19]
	v_mov_b32_e32 v20, s5
	v_add_co_u32_e32 v12, vcc, s4, v12
	v_addc_co_u32_e32 v13, vcc, v20, v13, vcc
	v_add_co_u32_e32 v10, vcc, v12, v10
	v_addc_co_u32_e32 v11, vcc, v13, v11, vcc
	s_lshl_b64 s[2:3], s[14:15], 6
	s_lshl_b64 s[0:1], s[0:1], 6
	s_waitcnt vmcnt(0)
	v_mul_f32_e32 v12, s20, v15
	v_fmac_f32_e32 v12, s9, v33
	global_store_dword v[10:11], v12, off
	global_load_dword v12, v[16:17], off offset:64
	v_mov_b32_e32 v15, s3
	s_waitcnt vmcnt(0)
	v_mul_f32_e32 v12, s20, v12
	v_fmac_f32_e32 v12, s9, v32
	global_store_dword v[10:11], v12, off offset:64
	global_load_dword v12, v[16:17], off offset:128
	s_waitcnt vmcnt(0)
	v_mul_f32_e32 v12, s20, v12
	v_fmac_f32_e32 v12, s9, v31
	global_store_dword v[10:11], v12, off offset:128
	global_load_dword v14, v[16:17], off offset:192
	v_add_co_u32_e32 v12, vcc, s2, v16
	v_addc_co_u32_e32 v13, vcc, v17, v15, vcc
	s_waitcnt vmcnt(0)
	v_mul_f32_e32 v14, s20, v14
	v_fmac_f32_e32 v14, s9, v9
	global_store_dword v[10:11], v14, off offset:192
	global_load_dword v9, v[12:13], off
	v_mov_b32_e32 v14, s1
	v_add_co_u32_e32 v10, vcc, s0, v10
	v_addc_co_u32_e32 v11, vcc, v11, v14, vcc
	s_waitcnt vmcnt(0)
	v_mul_f32_e32 v9, s20, v9
	v_fmac_f32_e32 v9, s9, v8
	global_store_dword v[10:11], v9, off
	global_load_dword v8, v[12:13], off offset:64
	s_waitcnt vmcnt(0)
	v_mul_f32_e32 v8, s20, v8
	v_fmac_f32_e32 v8, s9, v30
	global_store_dword v[10:11], v8, off offset:64
	global_load_dword v8, v[12:13], off offset:128
	s_waitcnt vmcnt(0)
	v_mul_f32_e32 v8, s20, v8
	v_fmac_f32_e32 v8, s9, v29
	global_store_dword v[10:11], v8, off offset:128
	global_load_dword v16, v[12:13], off offset:192
	v_add_co_u32_e32 v8, vcc, s2, v12
	v_addc_co_u32_e32 v9, vcc, v13, v15, vcc
	s_waitcnt vmcnt(0)
	v_mul_f32_e32 v12, s20, v16
	v_fmac_f32_e32 v12, s9, v7
	global_store_dword v[10:11], v12, off offset:192
	global_load_dword v7, v[8:9], off
	v_add_co_u32_e32 v10, vcc, s0, v10
	v_addc_co_u32_e32 v11, vcc, v11, v14, vcc
	s_waitcnt vmcnt(0)
	v_mul_f32_e32 v7, s20, v7
	v_fmac_f32_e32 v7, s9, v6
	global_store_dword v[10:11], v7, off
	global_load_dword v6, v[8:9], off offset:64
	s_waitcnt vmcnt(0)
	v_mul_f32_e32 v6, s20, v6
	v_fmac_f32_e32 v6, s9, v28
	global_store_dword v[10:11], v6, off offset:64
	global_load_dword v6, v[8:9], off offset:128
	s_waitcnt vmcnt(0)
	v_mul_f32_e32 v6, s20, v6
	v_fmac_f32_e32 v6, s9, v0
	global_store_dword v[10:11], v6, off offset:128
	global_load_dword v0, v[8:9], off offset:192
	v_add_co_u32_e32 v6, vcc, s2, v8
	v_addc_co_u32_e32 v7, vcc, v9, v15, vcc
	s_waitcnt vmcnt(0)
	v_mul_f32_e32 v0, s20, v0
	v_fmac_f32_e32 v0, s9, v5
	global_store_dword v[10:11], v0, off offset:192
	global_load_dword v0, v[6:7], off
	s_waitcnt vmcnt(0)
	v_mul_f32_e32 v0, s20, v0
	v_fmac_f32_e32 v0, s9, v4
	v_add_co_u32_e32 v4, vcc, s0, v10
	v_addc_co_u32_e32 v5, vcc, v11, v14, vcc
	global_store_dword v[4:5], v0, off
	global_load_dword v0, v[6:7], off offset:64
	s_waitcnt vmcnt(0)
	v_mul_f32_e32 v0, s20, v0
	v_fmac_f32_e32 v0, s9, v1
	global_store_dword v[4:5], v0, off offset:64
	global_load_dword v0, v[6:7], off offset:128
	s_waitcnt vmcnt(0)
	v_mul_f32_e32 v0, s20, v0
	v_fmac_f32_e32 v0, s9, v3
	global_store_dword v[4:5], v0, off offset:128
	;; [unrolled: 5-line block ×3, first 2 shown]
.LBB38_7:
	s_endpgm
.LBB38_8:
	s_branch .LBB38_6
	.section	.rodata,"a",@progbits
	.p2align	6, 0x0
	.amdhsa_kernel _ZN12_GLOBAL__N_127rocblas_gemm_batched_kernelIfLi16ELi16ELi64ELi64ELi4ELi64ELi4ELi4ELi64ELc78ELc67EKfS1_fEEvlllT_PT11_llS4_llS2_PT12_llPT13_lli
		.amdhsa_group_segment_fixed_size 2048
		.amdhsa_private_segment_fixed_size 0
		.amdhsa_kernarg_size 140
		.amdhsa_user_sgpr_count 6
		.amdhsa_user_sgpr_private_segment_buffer 1
		.amdhsa_user_sgpr_dispatch_ptr 0
		.amdhsa_user_sgpr_queue_ptr 0
		.amdhsa_user_sgpr_kernarg_segment_ptr 1
		.amdhsa_user_sgpr_dispatch_id 0
		.amdhsa_user_sgpr_flat_scratch_init 0
		.amdhsa_user_sgpr_kernarg_preload_length 0
		.amdhsa_user_sgpr_kernarg_preload_offset 0
		.amdhsa_user_sgpr_private_segment_size 0
		.amdhsa_uses_dynamic_stack 0
		.amdhsa_system_sgpr_private_segment_wavefront_offset 0
		.amdhsa_system_sgpr_workgroup_id_x 1
		.amdhsa_system_sgpr_workgroup_id_y 1
		.amdhsa_system_sgpr_workgroup_id_z 1
		.amdhsa_system_sgpr_workgroup_info 0
		.amdhsa_system_vgpr_workitem_id 1
		.amdhsa_next_free_vgpr 78
		.amdhsa_next_free_sgpr 24
		.amdhsa_accum_offset 80
		.amdhsa_reserve_vcc 1
		.amdhsa_reserve_flat_scratch 0
		.amdhsa_float_round_mode_32 0
		.amdhsa_float_round_mode_16_64 0
		.amdhsa_float_denorm_mode_32 3
		.amdhsa_float_denorm_mode_16_64 3
		.amdhsa_dx10_clamp 1
		.amdhsa_ieee_mode 1
		.amdhsa_fp16_overflow 0
		.amdhsa_tg_split 0
		.amdhsa_exception_fp_ieee_invalid_op 0
		.amdhsa_exception_fp_denorm_src 0
		.amdhsa_exception_fp_ieee_div_zero 0
		.amdhsa_exception_fp_ieee_overflow 0
		.amdhsa_exception_fp_ieee_underflow 0
		.amdhsa_exception_fp_ieee_inexact 0
		.amdhsa_exception_int_div_zero 0
	.end_amdhsa_kernel
	.section	.text._ZN12_GLOBAL__N_127rocblas_gemm_batched_kernelIfLi16ELi16ELi64ELi64ELi4ELi64ELi4ELi4ELi64ELc78ELc67EKfS1_fEEvlllT_PT11_llS4_llS2_PT12_llPT13_lli,"axG",@progbits,_ZN12_GLOBAL__N_127rocblas_gemm_batched_kernelIfLi16ELi16ELi64ELi64ELi4ELi64ELi4ELi4ELi64ELc78ELc67EKfS1_fEEvlllT_PT11_llS4_llS2_PT12_llPT13_lli,comdat
.Lfunc_end38:
	.size	_ZN12_GLOBAL__N_127rocblas_gemm_batched_kernelIfLi16ELi16ELi64ELi64ELi4ELi64ELi4ELi4ELi64ELc78ELc67EKfS1_fEEvlllT_PT11_llS4_llS2_PT12_llPT13_lli, .Lfunc_end38-_ZN12_GLOBAL__N_127rocblas_gemm_batched_kernelIfLi16ELi16ELi64ELi64ELi4ELi64ELi4ELi4ELi64ELc78ELc67EKfS1_fEEvlllT_PT11_llS4_llS2_PT12_llPT13_lli
                                        ; -- End function
	.section	.AMDGPU.csdata,"",@progbits
; Kernel info:
; codeLenInByte = 2192
; NumSgprs: 28
; NumVgprs: 78
; NumAgprs: 0
; TotalNumVgprs: 78
; ScratchSize: 0
; MemoryBound: 0
; FloatMode: 240
; IeeeMode: 1
; LDSByteSize: 2048 bytes/workgroup (compile time only)
; SGPRBlocks: 3
; VGPRBlocks: 9
; NumSGPRsForWavesPerEU: 28
; NumVGPRsForWavesPerEU: 78
; AccumOffset: 80
; Occupancy: 6
; WaveLimiterHint : 0
; COMPUTE_PGM_RSRC2:SCRATCH_EN: 0
; COMPUTE_PGM_RSRC2:USER_SGPR: 6
; COMPUTE_PGM_RSRC2:TRAP_HANDLER: 0
; COMPUTE_PGM_RSRC2:TGID_X_EN: 1
; COMPUTE_PGM_RSRC2:TGID_Y_EN: 1
; COMPUTE_PGM_RSRC2:TGID_Z_EN: 1
; COMPUTE_PGM_RSRC2:TIDIG_COMP_CNT: 1
; COMPUTE_PGM_RSRC3_GFX90A:ACCUM_OFFSET: 19
; COMPUTE_PGM_RSRC3_GFX90A:TG_SPLIT: 0
	.section	.text._ZN12_GLOBAL__N_127rocblas_gemm_batched_kernelIfLi16ELi16ELi64ELi64ELi4ELi64ELi4ELi4ELi64ELc84ELc67EKfS1_fEEvlllT_PT11_llS4_llS2_PT12_llPT13_lli,"axG",@progbits,_ZN12_GLOBAL__N_127rocblas_gemm_batched_kernelIfLi16ELi16ELi64ELi64ELi4ELi64ELi4ELi4ELi64ELc84ELc67EKfS1_fEEvlllT_PT11_llS4_llS2_PT12_llPT13_lli,comdat
	.globl	_ZN12_GLOBAL__N_127rocblas_gemm_batched_kernelIfLi16ELi16ELi64ELi64ELi4ELi64ELi4ELi4ELi64ELc84ELc67EKfS1_fEEvlllT_PT11_llS4_llS2_PT12_llPT13_lli ; -- Begin function _ZN12_GLOBAL__N_127rocblas_gemm_batched_kernelIfLi16ELi16ELi64ELi64ELi4ELi64ELi4ELi4ELi64ELc84ELc67EKfS1_fEEvlllT_PT11_llS4_llS2_PT12_llPT13_lli
	.p2align	8
	.type	_ZN12_GLOBAL__N_127rocblas_gemm_batched_kernelIfLi16ELi16ELi64ELi64ELi4ELi64ELi4ELi4ELi64ELc84ELc67EKfS1_fEEvlllT_PT11_llS4_llS2_PT12_llPT13_lli,@function
_ZN12_GLOBAL__N_127rocblas_gemm_batched_kernelIfLi16ELi16ELi64ELi64ELi4ELi64ELi4ELi4ELi64ELc84ELc67EKfS1_fEEvlllT_PT11_llS4_llS2_PT12_llPT13_lli: ; @_ZN12_GLOBAL__N_127rocblas_gemm_batched_kernelIfLi16ELi16ELi64ELi64ELi4ELi64ELi4ELi4ELi64ELc84ELc67EKfS1_fEEvlllT_PT11_llS4_llS2_PT12_llPT13_lli
; %bb.0:
	s_load_dwordx2 s[20:21], s[4:5], 0x10
	s_mov_b32 s0, s7
	s_ashr_i32 s1, s0, 31
	s_ashr_i32 s7, s6, 31
	s_lshl_b64 s[10:11], s[0:1], 6
	s_waitcnt lgkmcnt(0)
	v_cmp_lt_i64_e64 s[0:1], s[20:21], 1
	v_bfe_u32 v23, v0, 10, 10
	v_and_b32_e32 v22, 0x3ff, v0
	s_lshl_b64 s[6:7], s[6:7], 6
	s_and_b64 vcc, exec, s[0:1]
	s_cbranch_vccnz .LBB39_3
; %bb.1:
	v_lshlrev_b32_e32 v2, 4, v23
	s_load_dwordx8 s[12:19], s[4:5], 0x20
	s_load_dwordx4 s[0:3], s[4:5], 0x40
	v_add_u32_e32 v3, v2, v22
	v_and_b32_e32 v6, 63, v3
	v_lshrrev_b32_e32 v0, 2, v3
	v_and_b32_e32 v4, 3, v22
	v_lshrrev_b32_e32 v7, 6, v3
	v_lshlrev_b32_e32 v3, 2, v6
	v_lshl_or_b32 v24, v7, 8, v3
	v_lshlrev_b32_e32 v3, 2, v4
	v_mov_b32_e32 v1, 0
	v_lshl_or_b32 v3, v0, 4, v3
	v_add_u32_e32 v25, 0x400, v3
	v_add_u32_e32 v27, 0x400, v2
	s_waitcnt lgkmcnt(0)
	v_mad_u64_u32 v[2:3], s[22:23], v4, s0, v[0:1]
	s_mul_i32 s3, s3, s8
	s_mul_hi_u32 s9, s2, s8
	v_mov_b32_e32 v0, v3
	s_add_i32 s3, s9, s3
	s_mul_i32 s2, s2, s8
	v_mad_u64_u32 v[4:5], s[22:23], v4, s1, v[0:1]
	s_lshl_b64 s[2:3], s[2:3], 2
	v_mov_b32_e32 v3, v4
	v_mov_b32_e32 v0, s11
	v_add_co_u32_e32 v2, vcc, s10, v2
	v_addc_co_u32_e32 v3, vcc, v3, v0, vcc
	s_add_u32 s2, s18, s2
	v_lshlrev_b64 v[2:3], 2, v[2:3]
	s_addc_u32 s3, s19, s3
	v_mov_b32_e32 v0, s3
	v_add_co_u32_e32 v10, vcc, s2, v2
	v_addc_co_u32_e32 v11, vcc, v0, v3, vcc
	v_mov_b32_e32 v0, s7
	v_add_co_u32_e32 v2, vcc, s6, v6
	v_addc_co_u32_e32 v0, vcc, 0, v0, vcc
	v_mul_lo_u32 v4, s15, v2
	v_mad_u64_u32 v[2:3], s[2:3], s14, v2, 0
	v_mul_lo_u32 v0, s14, v0
	s_mul_i32 s2, s17, s8
	s_mul_hi_u32 s3, s16, s8
	v_add3_u32 v3, v3, v0, v4
	s_add_i32 s3, s3, s2
	s_mul_i32 s2, s16, s8
	v_lshlrev_b64 v[2:3], 2, v[2:3]
	s_lshl_b64 s[2:3], s[2:3], 2
	v_mov_b32_e32 v0, s3
	v_add_co_u32_e32 v2, vcc, s2, v2
	v_addc_co_u32_e32 v0, vcc, v3, v0, vcc
	v_lshlrev_b32_e32 v3, 2, v7
	v_add_co_u32_e32 v2, vcc, v2, v3
	v_addc_co_u32_e32 v0, vcc, 0, v0, vcc
	s_lshl_b64 s[0:1], s[0:1], 4
	v_mov_b32_e32 v3, s13
	v_add_co_u32_e32 v12, vcc, s12, v2
	v_lshlrev_b32_e32 v26, 2, v22
	v_addc_co_u32_e32 v13, vcc, v3, v0, vcc
	s_mov_b64 s[2:3], 0
	v_mov_b32_e32 v28, s1
	v_pk_mov_b32 v[14:15], s[20:21], s[20:21] op_sel:[0,1]
	v_mov_b32_e32 v0, v1
	v_mov_b32_e32 v16, v1
	;; [unrolled: 1-line block ×15, first 2 shown]
.LBB39_2:                               ; =>This Inner Loop Header: Depth=1
	global_load_dword v29, v[12:13], off
	s_add_u32 s2, s2, 4
	s_addc_u32 s3, s3, 0
	s_waitcnt vmcnt(0)
	ds_write_b32 v24, v29
	global_load_dword v29, v[10:11], off
	v_add_co_u32_e32 v10, vcc, s0, v10
	v_addc_co_u32_e32 v11, vcc, v11, v28, vcc
	v_add_co_u32_e32 v12, vcc, 16, v12
	v_addc_co_u32_e32 v13, vcc, 0, v13, vcc
	v_cmp_lt_i64_e32 vcc, s[2:3], v[14:15]
	s_and_b64 vcc, exec, vcc
	s_waitcnt vmcnt(0)
	ds_write_b32 v25, v29
	s_waitcnt lgkmcnt(0)
	s_barrier
	ds_read2_b32 v[46:47], v26 offset1:16
	ds_read2_b32 v[48:49], v26 offset0:32 offset1:48
	ds_read2_b32 v[50:51], v26 offset0:64 offset1:80
	;; [unrolled: 1-line block ×3, first 2 shown]
	ds_read_b128 v[30:33], v27
	ds_read_b128 v[34:37], v27 offset:256
	ds_read_b128 v[38:41], v27 offset:512
	;; [unrolled: 1-line block ×3, first 2 shown]
	s_waitcnt lgkmcnt(4)
	v_mov_b32_e32 v55, v53
	s_waitcnt lgkmcnt(3)
	v_fmac_f32_e32 v20, v47, v30
	v_fmac_f32_e32 v19, v48, v30
	s_waitcnt lgkmcnt(2)
	v_fmac_f32_e32 v18, v47, v34
	v_fmac_f32_e32 v17, v48, v34
	;; [unrolled: 3-line block ×4, first 2 shown]
	v_fmac_f32_e32 v19, v52, v31
	v_fmac_f32_e32 v18, v51, v35
	;; [unrolled: 1-line block ×6, first 2 shown]
	v_mul_f32_e32 v51, v52, v43
	ds_read2_b32 v[52:53], v26 offset0:128 offset1:144
	ds_read2_b32 v[64:65], v26 offset0:160 offset1:176
	;; [unrolled: 1-line block ×4, first 2 shown]
	v_mov_b32_e32 v54, v49
	v_fmac_f32_e32 v21, v46, v30
	v_pk_mul_f32 v[56:57], v[54:55], v[30:31]
	v_fmac_f32_e32 v21, v50, v31
	v_mul_f32_e32 v30, v46, v34
	v_pk_mul_f32 v[58:59], v[54:55], v[34:35]
	s_waitcnt lgkmcnt(2)
	v_mov_b32_e32 v70, v65
	s_waitcnt lgkmcnt(0)
	v_mov_b32_e32 v71, v69
	v_mov_b32_e32 v31, v56
	v_mul_f32_e32 v34, v50, v35
	v_mul_f32_e32 v60, v46, v38
	v_fmac_f32_e32 v21, v52, v32
	v_fmac_f32_e32 v20, v53, v32
	v_fmac_f32_e32 v19, v64, v32
	v_pk_mul_f32 v[72:73], v[70:71], v[32:33]
	v_pk_add_f32 v[8:9], v[8:9], v[30:31]
	v_mov_b32_e32 v35, v57
	v_mov_b32_e32 v61, v58
	v_pk_mul_f32 v[62:63], v[54:55], v[38:39]
	v_mul_f32_e32 v38, v50, v39
	v_fmac_f32_e32 v21, v66, v33
	v_fmac_f32_e32 v20, v67, v33
	;; [unrolled: 1-line block ×3, first 2 shown]
	v_mul_f32_e32 v32, v52, v36
	v_pk_add_f32 v[8:9], v[8:9], v[34:35]
	v_mov_b32_e32 v33, v72
	v_pk_mul_f32 v[30:31], v[70:71], v[36:37]
	v_pk_add_f32 v[6:7], v[6:7], v[60:61]
	v_mov_b32_e32 v39, v59
	v_mul_f32_e32 v46, v46, v42
	v_pk_mul_f32 v[54:55], v[54:55], v[42:43]
	v_pk_add_f32 v[8:9], v[8:9], v[32:33]
	v_mul_f32_e32 v32, v52, v40
	v_pk_add_f32 v[6:7], v[6:7], v[38:39]
	v_mov_b32_e32 v33, v30
	v_mov_b32_e32 v47, v62
	v_mul_f32_e32 v49, v48, v42
	v_mul_f32_e32 v42, v50, v43
	v_pk_add_f32 v[6:7], v[6:7], v[32:33]
	v_pk_mul_f32 v[32:33], v[70:71], v[40:41]
	v_mul_f32_e32 v30, v66, v41
	v_pk_add_f32 v[4:5], v[4:5], v[46:47]
	v_mov_b32_e32 v43, v63
	v_mov_b32_e32 v48, v54
	v_pk_add_f32 v[6:7], v[6:7], v[30:31]
	v_mul_f32_e32 v30, v52, v44
	v_pk_add_f32 v[4:5], v[4:5], v[42:43]
	v_mov_b32_e32 v31, v32
	v_pk_mul_f32 v[34:35], v[70:71], v[44:45]
	v_pk_add_f32 v[2:3], v[2:3], v[48:49]
	v_mov_b32_e32 v50, v55
	v_pk_add_f32 v[4:5], v[4:5], v[30:31]
	v_mul_f32_e32 v31, v64, v44
	v_pk_add_f32 v[2:3], v[2:3], v[50:51]
	v_mov_b32_e32 v30, v34
	v_fmac_f32_e32 v18, v53, v36
	v_fmac_f32_e32 v17, v64, v36
	v_mul_f32_e32 v72, v66, v37
	v_fmac_f32_e32 v16, v53, v40
	v_fmac_f32_e32 v0, v64, v40
	;; [unrolled: 1-line block ×3, first 2 shown]
	v_pk_add_f32 v[2:3], v[2:3], v[30:31]
	v_mul_f32_e32 v32, v66, v45
	v_mul_f32_e32 v31, v68, v45
	v_mov_b32_e32 v30, v35
	v_pk_add_f32 v[8:9], v[8:9], v[72:73]
	v_fmac_f32_e32 v18, v67, v37
	v_fmac_f32_e32 v17, v68, v37
	;; [unrolled: 1-line block ×4, first 2 shown]
	v_pk_add_f32 v[4:5], v[4:5], v[32:33]
	v_fmac_f32_e32 v1, v67, v45
	v_pk_add_f32 v[2:3], v[2:3], v[30:31]
	s_barrier
	s_cbranch_vccnz .LBB39_2
	s_branch .LBB39_4
.LBB39_3:
	v_mov_b32_e32 v21, 0
	v_mov_b32_e32 v20, 0
	;; [unrolled: 1-line block ×16, first 2 shown]
.LBB39_4:
	s_load_dwordx4 s[0:3], s[4:5], 0x78
	s_load_dword s9, s[4:5], 0x18
	s_load_dword s20, s[4:5], 0x50
	s_load_dwordx8 s[12:19], s[4:5], 0x58
	v_mov_b32_e32 v10, s11
	s_waitcnt lgkmcnt(0)
	s_mul_i32 s3, s8, s3
	s_mul_hi_u32 s4, s8, s2
	s_add_i32 s3, s4, s3
	s_mul_i32 s2, s8, s2
	v_add_co_u32_e32 v12, vcc, s10, v23
	s_lshl_b64 s[2:3], s[2:3], 2
	v_addc_co_u32_e32 v15, vcc, 0, v10, vcc
	s_add_u32 s4, s18, s2
	v_mov_b32_e32 v11, s7
	v_add_co_u32_e32 v10, vcc, s6, v22
	s_addc_u32 s5, s19, s3
	v_cmp_neq_f32_e64 s[2:3], s20, 0
	v_addc_co_u32_e32 v11, vcc, 0, v11, vcc
	s_and_b64 vcc, exec, s[2:3]
	v_mul_lo_u32 v13, v15, s0
	v_mul_lo_u32 v14, v12, s1
	v_lshlrev_b64 v[10:11], 2, v[10:11]
	s_cbranch_vccnz .LBB39_8
; %bb.5:
	v_mad_u64_u32 v[22:23], s[2:3], v12, s0, 0
	v_add3_u32 v23, v23, v14, v13
	v_lshlrev_b64 v[22:23], 2, v[22:23]
	v_mov_b32_e32 v24, s5
	v_add_co_u32_e32 v22, vcc, s4, v22
	v_addc_co_u32_e32 v23, vcc, v24, v23, vcc
	v_add_co_u32_e32 v22, vcc, v22, v10
	v_mul_f32_e32 v24, s9, v21
	v_addc_co_u32_e32 v23, vcc, v23, v11, vcc
	global_store_dword v[22:23], v24, off
	v_mul_f32_e32 v24, s9, v20
	global_store_dword v[22:23], v24, off offset:64
	v_mul_f32_e32 v24, s9, v19
	global_store_dword v[22:23], v24, off offset:128
	v_mul_f32_e32 v24, s9, v9
	s_lshl_b64 s[2:3], s[0:1], 6
	global_store_dword v[22:23], v24, off offset:192
	v_mov_b32_e32 v25, s3
	v_add_co_u32_e32 v22, vcc, s2, v22
	v_mul_f32_e32 v24, s9, v8
	v_addc_co_u32_e32 v23, vcc, v23, v25, vcc
	global_store_dword v[22:23], v24, off
	v_mul_f32_e32 v24, s9, v18
	global_store_dword v[22:23], v24, off offset:64
	v_mul_f32_e32 v24, s9, v17
	global_store_dword v[22:23], v24, off offset:128
	v_mul_f32_e32 v24, s9, v7
	global_store_dword v[22:23], v24, off offset:192
	v_add_co_u32_e32 v22, vcc, s2, v22
	v_mul_f32_e32 v24, s9, v6
	v_addc_co_u32_e32 v23, vcc, v23, v25, vcc
	global_store_dword v[22:23], v24, off
	v_mul_f32_e32 v24, s9, v16
	global_store_dword v[22:23], v24, off offset:64
	v_mul_f32_e32 v24, s9, v0
	global_store_dword v[22:23], v24, off offset:128
	v_mul_f32_e32 v24, s9, v5
	global_store_dword v[22:23], v24, off offset:192
	;; [unrolled: 10-line block ×3, first 2 shown]
	s_cbranch_execnz .LBB39_7
.LBB39_6:
	s_mul_i32 s2, s8, s17
	s_mul_hi_u32 s3, s8, s16
	s_add_i32 s3, s3, s2
	s_mul_i32 s2, s8, s16
	s_lshl_b64 s[2:3], s[2:3], 2
	s_add_u32 s6, s12, s2
	s_addc_u32 s7, s13, s3
	v_mul_lo_u32 v15, v15, s14
	v_mul_lo_u32 v24, v12, s15
	v_mad_u64_u32 v[22:23], s[2:3], v12, s14, 0
	v_add3_u32 v23, v23, v24, v15
	v_lshlrev_b64 v[22:23], 2, v[22:23]
	v_mov_b32_e32 v15, s7
	v_add_co_u32_e32 v22, vcc, s6, v22
	v_addc_co_u32_e32 v15, vcc, v15, v23, vcc
	v_add_co_u32_e32 v22, vcc, v22, v10
	v_addc_co_u32_e32 v23, vcc, v15, v11, vcc
	global_load_dword v15, v[22:23], off
	v_mad_u64_u32 v[24:25], s[2:3], v12, s0, 0
	v_add3_u32 v25, v25, v14, v13
	v_lshlrev_b64 v[12:13], 2, v[24:25]
	v_mov_b32_e32 v26, s5
	v_add_co_u32_e32 v12, vcc, s4, v12
	v_addc_co_u32_e32 v13, vcc, v26, v13, vcc
	v_add_co_u32_e32 v10, vcc, v12, v10
	v_addc_co_u32_e32 v11, vcc, v13, v11, vcc
	s_lshl_b64 s[2:3], s[14:15], 6
	s_lshl_b64 s[0:1], s[0:1], 6
	s_waitcnt vmcnt(0)
	v_mul_f32_e32 v12, s20, v15
	v_fmac_f32_e32 v12, s9, v21
	global_store_dword v[10:11], v12, off
	global_load_dword v12, v[22:23], off offset:64
	v_mov_b32_e32 v15, s3
	s_waitcnt vmcnt(0)
	v_mul_f32_e32 v12, s20, v12
	v_fmac_f32_e32 v12, s9, v20
	global_store_dword v[10:11], v12, off offset:64
	global_load_dword v12, v[22:23], off offset:128
	s_waitcnt vmcnt(0)
	v_mul_f32_e32 v12, s20, v12
	v_fmac_f32_e32 v12, s9, v19
	global_store_dword v[10:11], v12, off offset:128
	global_load_dword v14, v[22:23], off offset:192
	v_add_co_u32_e32 v12, vcc, s2, v22
	v_addc_co_u32_e32 v13, vcc, v23, v15, vcc
	s_waitcnt vmcnt(0)
	v_mul_f32_e32 v14, s20, v14
	v_fmac_f32_e32 v14, s9, v9
	global_store_dword v[10:11], v14, off offset:192
	global_load_dword v9, v[12:13], off
	v_mov_b32_e32 v14, s1
	v_add_co_u32_e32 v10, vcc, s0, v10
	v_addc_co_u32_e32 v11, vcc, v11, v14, vcc
	s_waitcnt vmcnt(0)
	v_mul_f32_e32 v9, s20, v9
	v_fmac_f32_e32 v9, s9, v8
	global_store_dword v[10:11], v9, off
	global_load_dword v8, v[12:13], off offset:64
	s_waitcnt vmcnt(0)
	v_mul_f32_e32 v8, s20, v8
	v_fmac_f32_e32 v8, s9, v18
	global_store_dword v[10:11], v8, off offset:64
	global_load_dword v8, v[12:13], off offset:128
	s_waitcnt vmcnt(0)
	v_mul_f32_e32 v8, s20, v8
	v_fmac_f32_e32 v8, s9, v17
	global_store_dword v[10:11], v8, off offset:128
	global_load_dword v17, v[12:13], off offset:192
	v_add_co_u32_e32 v8, vcc, s2, v12
	v_addc_co_u32_e32 v9, vcc, v13, v15, vcc
	s_waitcnt vmcnt(0)
	v_mul_f32_e32 v12, s20, v17
	v_fmac_f32_e32 v12, s9, v7
	global_store_dword v[10:11], v12, off offset:192
	global_load_dword v7, v[8:9], off
	v_add_co_u32_e32 v10, vcc, s0, v10
	v_addc_co_u32_e32 v11, vcc, v11, v14, vcc
	s_waitcnt vmcnt(0)
	v_mul_f32_e32 v7, s20, v7
	v_fmac_f32_e32 v7, s9, v6
	global_store_dword v[10:11], v7, off
	global_load_dword v6, v[8:9], off offset:64
	s_waitcnt vmcnt(0)
	v_mul_f32_e32 v6, s20, v6
	v_fmac_f32_e32 v6, s9, v16
	global_store_dword v[10:11], v6, off offset:64
	global_load_dword v6, v[8:9], off offset:128
	s_waitcnt vmcnt(0)
	v_mul_f32_e32 v6, s20, v6
	v_fmac_f32_e32 v6, s9, v0
	global_store_dword v[10:11], v6, off offset:128
	global_load_dword v0, v[8:9], off offset:192
	v_add_co_u32_e32 v6, vcc, s2, v8
	v_addc_co_u32_e32 v7, vcc, v9, v15, vcc
	s_waitcnt vmcnt(0)
	v_mul_f32_e32 v0, s20, v0
	v_fmac_f32_e32 v0, s9, v5
	global_store_dword v[10:11], v0, off offset:192
	global_load_dword v0, v[6:7], off
	s_waitcnt vmcnt(0)
	v_mul_f32_e32 v0, s20, v0
	v_fmac_f32_e32 v0, s9, v4
	v_add_co_u32_e32 v4, vcc, s0, v10
	v_addc_co_u32_e32 v5, vcc, v11, v14, vcc
	global_store_dword v[4:5], v0, off
	global_load_dword v0, v[6:7], off offset:64
	s_waitcnt vmcnt(0)
	v_mul_f32_e32 v0, s20, v0
	v_fmac_f32_e32 v0, s9, v1
	global_store_dword v[4:5], v0, off offset:64
	global_load_dword v0, v[6:7], off offset:128
	s_waitcnt vmcnt(0)
	v_mul_f32_e32 v0, s20, v0
	v_fmac_f32_e32 v0, s9, v3
	global_store_dword v[4:5], v0, off offset:128
	;; [unrolled: 5-line block ×3, first 2 shown]
.LBB39_7:
	s_endpgm
.LBB39_8:
	s_branch .LBB39_6
	.section	.rodata,"a",@progbits
	.p2align	6, 0x0
	.amdhsa_kernel _ZN12_GLOBAL__N_127rocblas_gemm_batched_kernelIfLi16ELi16ELi64ELi64ELi4ELi64ELi4ELi4ELi64ELc84ELc67EKfS1_fEEvlllT_PT11_llS4_llS2_PT12_llPT13_lli
		.amdhsa_group_segment_fixed_size 2048
		.amdhsa_private_segment_fixed_size 0
		.amdhsa_kernarg_size 140
		.amdhsa_user_sgpr_count 6
		.amdhsa_user_sgpr_private_segment_buffer 1
		.amdhsa_user_sgpr_dispatch_ptr 0
		.amdhsa_user_sgpr_queue_ptr 0
		.amdhsa_user_sgpr_kernarg_segment_ptr 1
		.amdhsa_user_sgpr_dispatch_id 0
		.amdhsa_user_sgpr_flat_scratch_init 0
		.amdhsa_user_sgpr_kernarg_preload_length 0
		.amdhsa_user_sgpr_kernarg_preload_offset 0
		.amdhsa_user_sgpr_private_segment_size 0
		.amdhsa_uses_dynamic_stack 0
		.amdhsa_system_sgpr_private_segment_wavefront_offset 0
		.amdhsa_system_sgpr_workgroup_id_x 1
		.amdhsa_system_sgpr_workgroup_id_y 1
		.amdhsa_system_sgpr_workgroup_id_z 1
		.amdhsa_system_sgpr_workgroup_info 0
		.amdhsa_system_vgpr_workitem_id 1
		.amdhsa_next_free_vgpr 74
		.amdhsa_next_free_sgpr 24
		.amdhsa_accum_offset 76
		.amdhsa_reserve_vcc 1
		.amdhsa_reserve_flat_scratch 0
		.amdhsa_float_round_mode_32 0
		.amdhsa_float_round_mode_16_64 0
		.amdhsa_float_denorm_mode_32 3
		.amdhsa_float_denorm_mode_16_64 3
		.amdhsa_dx10_clamp 1
		.amdhsa_ieee_mode 1
		.amdhsa_fp16_overflow 0
		.amdhsa_tg_split 0
		.amdhsa_exception_fp_ieee_invalid_op 0
		.amdhsa_exception_fp_denorm_src 0
		.amdhsa_exception_fp_ieee_div_zero 0
		.amdhsa_exception_fp_ieee_overflow 0
		.amdhsa_exception_fp_ieee_underflow 0
		.amdhsa_exception_fp_ieee_inexact 0
		.amdhsa_exception_int_div_zero 0
	.end_amdhsa_kernel
	.section	.text._ZN12_GLOBAL__N_127rocblas_gemm_batched_kernelIfLi16ELi16ELi64ELi64ELi4ELi64ELi4ELi4ELi64ELc84ELc67EKfS1_fEEvlllT_PT11_llS4_llS2_PT12_llPT13_lli,"axG",@progbits,_ZN12_GLOBAL__N_127rocblas_gemm_batched_kernelIfLi16ELi16ELi64ELi64ELi4ELi64ELi4ELi4ELi64ELc84ELc67EKfS1_fEEvlllT_PT11_llS4_llS2_PT12_llPT13_lli,comdat
.Lfunc_end39:
	.size	_ZN12_GLOBAL__N_127rocblas_gemm_batched_kernelIfLi16ELi16ELi64ELi64ELi4ELi64ELi4ELi4ELi64ELc84ELc67EKfS1_fEEvlllT_PT11_llS4_llS2_PT12_llPT13_lli, .Lfunc_end39-_ZN12_GLOBAL__N_127rocblas_gemm_batched_kernelIfLi16ELi16ELi64ELi64ELi4ELi64ELi4ELi4ELi64ELc84ELc67EKfS1_fEEvlllT_PT11_llS4_llS2_PT12_llPT13_lli
                                        ; -- End function
	.section	.AMDGPU.csdata,"",@progbits
; Kernel info:
; codeLenInByte = 2212
; NumSgprs: 28
; NumVgprs: 74
; NumAgprs: 0
; TotalNumVgprs: 74
; ScratchSize: 0
; MemoryBound: 0
; FloatMode: 240
; IeeeMode: 1
; LDSByteSize: 2048 bytes/workgroup (compile time only)
; SGPRBlocks: 3
; VGPRBlocks: 9
; NumSGPRsForWavesPerEU: 28
; NumVGPRsForWavesPerEU: 74
; AccumOffset: 76
; Occupancy: 6
; WaveLimiterHint : 0
; COMPUTE_PGM_RSRC2:SCRATCH_EN: 0
; COMPUTE_PGM_RSRC2:USER_SGPR: 6
; COMPUTE_PGM_RSRC2:TRAP_HANDLER: 0
; COMPUTE_PGM_RSRC2:TGID_X_EN: 1
; COMPUTE_PGM_RSRC2:TGID_Y_EN: 1
; COMPUTE_PGM_RSRC2:TGID_Z_EN: 1
; COMPUTE_PGM_RSRC2:TIDIG_COMP_CNT: 1
; COMPUTE_PGM_RSRC3_GFX90A:ACCUM_OFFSET: 18
; COMPUTE_PGM_RSRC3_GFX90A:TG_SPLIT: 0
	.section	.text._ZN12_GLOBAL__N_127rocblas_gemm_batched_kernelIfLi16ELi16ELi32ELi32ELi8ELi32ELi8ELi8ELi32ELc78ELc78EKfS1_fEEvlllT_PT11_llS4_llS2_PT12_llPT13_lli,"axG",@progbits,_ZN12_GLOBAL__N_127rocblas_gemm_batched_kernelIfLi16ELi16ELi32ELi32ELi8ELi32ELi8ELi8ELi32ELc78ELc78EKfS1_fEEvlllT_PT11_llS4_llS2_PT12_llPT13_lli,comdat
	.globl	_ZN12_GLOBAL__N_127rocblas_gemm_batched_kernelIfLi16ELi16ELi32ELi32ELi8ELi32ELi8ELi8ELi32ELc78ELc78EKfS1_fEEvlllT_PT11_llS4_llS2_PT12_llPT13_lli ; -- Begin function _ZN12_GLOBAL__N_127rocblas_gemm_batched_kernelIfLi16ELi16ELi32ELi32ELi8ELi32ELi8ELi8ELi32ELc78ELc78EKfS1_fEEvlllT_PT11_llS4_llS2_PT12_llPT13_lli
	.p2align	8
	.type	_ZN12_GLOBAL__N_127rocblas_gemm_batched_kernelIfLi16ELi16ELi32ELi32ELi8ELi32ELi8ELi8ELi32ELc78ELc78EKfS1_fEEvlllT_PT11_llS4_llS2_PT12_llPT13_lli,@function
_ZN12_GLOBAL__N_127rocblas_gemm_batched_kernelIfLi16ELi16ELi32ELi32ELi8ELi32ELi8ELi8ELi32ELc78ELc78EKfS1_fEEvlllT_PT11_llS4_llS2_PT12_llPT13_lli: ; @_ZN12_GLOBAL__N_127rocblas_gemm_batched_kernelIfLi16ELi16ELi32ELi32ELi8ELi32ELi8ELi8ELi32ELc78ELc78EKfS1_fEEvlllT_PT11_llS4_llS2_PT12_llPT13_lli
; %bb.0:
	s_load_dwordx2 s[20:21], s[4:5], 0x10
	s_mov_b32 s0, s7
	s_ashr_i32 s1, s0, 31
	s_ashr_i32 s7, s6, 31
	s_lshl_b64 s[10:11], s[0:1], 5
	s_waitcnt lgkmcnt(0)
	v_cmp_lt_i64_e64 s[0:1], s[20:21], 1
	v_bfe_u32 v11, v0, 10, 10
	v_and_b32_e32 v10, 0x3ff, v0
	s_lshl_b64 s[6:7], s[6:7], 5
	s_and_b64 vcc, exec, s[0:1]
	s_cbranch_vccnz .LBB40_3
; %bb.1:
	s_load_dwordx8 s[12:19], s[4:5], 0x20
	s_load_dwordx4 s[0:3], s[4:5], 0x40
	v_lshl_add_u32 v0, v11, 4, v10
	v_and_b32_e32 v4, 7, v10
	v_and_b32_e32 v6, 31, v0
	v_lshrrev_b32_e32 v1, 3, v0
	v_lshrrev_b32_e32 v7, 5, v0
	v_lshlrev_b32_e32 v0, 2, v6
	v_lshlrev_b32_e32 v4, 2, v4
	v_mov_b32_e32 v2, s11
	v_add_co_u32_e32 v3, vcc, s10, v1
	v_lshl_or_b32 v12, v7, 7, v0
	v_lshl_or_b32 v0, v1, 5, v4
	v_addc_co_u32_e32 v2, vcc, 0, v2, vcc
	v_add_u32_e32 v13, 0x400, v0
	v_mov_b32_e32 v0, 0x400
	v_lshl_add_u32 v15, v11, 5, v0
	s_waitcnt lgkmcnt(0)
	v_mul_lo_u32 v5, s1, v3
	v_mul_lo_u32 v2, s0, v2
	v_mad_u64_u32 v[0:1], s[0:1], s0, v3, 0
	s_mul_i32 s0, s3, s8
	s_mul_hi_u32 s1, s2, s8
	v_add3_u32 v1, v1, v2, v5
	s_add_i32 s1, s1, s0
	s_mul_i32 s0, s2, s8
	v_lshlrev_b64 v[0:1], 2, v[0:1]
	s_lshl_b64 s[0:1], s[0:1], 2
	v_mov_b32_e32 v2, s1
	v_add_co_u32_e32 v0, vcc, s0, v0
	v_addc_co_u32_e32 v1, vcc, v1, v2, vcc
	v_add_co_u32_e32 v0, vcc, v0, v4
	v_addc_co_u32_e32 v1, vcc, 0, v1, vcc
	v_mov_b32_e32 v2, s19
	v_add_co_u32_e32 v4, vcc, s18, v0
	v_addc_co_u32_e32 v5, vcc, v2, v1, vcc
	v_pk_mov_b32 v[0:1], s[6:7], s[6:7] op_sel:[0,1]
	v_mad_u64_u32 v[0:1], s[2:3], v7, s14, v[0:1]
	s_mul_i32 s0, s17, s8
	s_mul_hi_u32 s1, s16, s8
	v_mov_b32_e32 v2, v1
	s_add_i32 s1, s1, s0
	s_mul_i32 s0, s16, s8
	v_mad_u64_u32 v[2:3], s[2:3], v7, s15, v[2:3]
	s_lshl_b64 s[0:1], s[0:1], 2
	v_mov_b32_e32 v1, v2
	v_add_co_u32_e32 v0, vcc, v0, v6
	v_addc_co_u32_e32 v1, vcc, 0, v1, vcc
	s_add_u32 s0, s12, s0
	v_lshlrev_b64 v[0:1], 2, v[0:1]
	s_addc_u32 s1, s13, s1
	v_mov_b32_e32 v2, s1
	v_add_co_u32_e32 v6, vcc, s0, v0
	s_lshl_b64 s[0:1], s[14:15], 5
	v_mov_b32_e32 v0, 0
	v_lshlrev_b32_e32 v14, 2, v10
	v_addc_co_u32_e32 v7, vcc, v2, v1, vcc
	s_mov_b64 s[2:3], 0
	v_mov_b32_e32 v16, s1
	v_pk_mov_b32 v[8:9], s[20:21], s[20:21] op_sel:[0,1]
	v_mov_b32_e32 v1, v0
	v_mov_b32_e32 v2, v0
	;; [unrolled: 1-line block ×3, first 2 shown]
.LBB40_2:                               ; =>This Inner Loop Header: Depth=1
	global_load_dword v17, v[6:7], off
	global_load_dword v18, v[4:5], off
	v_add_co_u32_e32 v4, vcc, 32, v4
	v_addc_co_u32_e32 v5, vcc, 0, v5, vcc
	s_add_u32 s2, s2, 8
	v_add_co_u32_e32 v6, vcc, s0, v6
	v_addc_co_u32_e32 v7, vcc, v7, v16, vcc
	s_addc_u32 s3, s3, 0
	v_cmp_lt_i64_e32 vcc, s[2:3], v[8:9]
	s_and_b64 vcc, exec, vcc
	s_waitcnt vmcnt(1)
	ds_write_b32 v12, v17
	s_waitcnt vmcnt(0)
	ds_write_b32 v13, v18
	s_waitcnt lgkmcnt(0)
	s_barrier
	ds_read2_b32 v[34:35], v14 offset1:16
	ds_read2_b32 v[36:37], v14 offset0:32 offset1:48
	ds_read_b128 v[18:21], v15
	ds_read_b128 v[22:25], v15 offset:16
	ds_read2_b32 v[38:39], v14 offset0:64 offset1:80
	ds_read2_b32 v[40:41], v14 offset0:96 offset1:112
	;; [unrolled: 1-line block ×4, first 2 shown]
	ds_read_b128 v[26:29], v15 offset:512
	ds_read_b128 v[30:33], v15 offset:528
	ds_read2_b32 v[46:47], v14 offset0:192 offset1:208
	s_waitcnt lgkmcnt(10)
	v_mov_b32_e32 v50, v35
	s_waitcnt lgkmcnt(9)
	v_mov_b32_e32 v51, v37
	s_waitcnt lgkmcnt(8)
	v_mul_f32_e32 v49, v34, v18
	v_mul_f32_e32 v35, v36, v19
	s_waitcnt lgkmcnt(5)
	v_mov_b32_e32 v53, v41
	v_pk_mul_f32 v[18:19], v[50:51], v[18:19]
	ds_read2_b32 v[54:55], v14 offset0:224 offset1:240
	s_waitcnt lgkmcnt(3)
	v_mul_f32_e32 v41, v34, v26
	v_mul_f32_e32 v57, v36, v27
	v_pk_mul_f32 v[26:27], v[50:51], v[26:27]
	v_mov_b32_e32 v52, v39
	v_mul_f32_e32 v39, v40, v21
	v_mul_f32_e32 v61, v40, v29
	v_mov_b32_e32 v48, v18
	v_mov_b32_e32 v40, v26
	v_mul_f32_e32 v37, v38, v20
	v_pk_mul_f32 v[20:21], v[52:53], v[20:21]
	v_mul_f32_e32 v59, v38, v28
	v_pk_mul_f32 v[28:29], v[52:53], v[28:29]
	v_mov_b32_e32 v34, v19
	v_mov_b32_e32 v56, v27
	v_pk_add_f32 v[2:3], v[2:3], v[48:49]
	v_pk_add_f32 v[0:1], v[0:1], v[40:41]
	v_mov_b32_e32 v50, v43
	v_mov_b32_e32 v51, v45
	;; [unrolled: 1-line block ×4, first 2 shown]
	v_pk_add_f32 v[2:3], v[2:3], v[34:35]
	v_pk_add_f32 v[0:1], v[0:1], v[56:57]
	v_mul_f32_e32 v43, v42, v22
	v_mul_f32_e32 v45, v44, v23
	v_pk_mul_f32 v[22:23], v[50:51], v[22:23]
	s_waitcnt lgkmcnt(2)
	v_mul_f32_e32 v63, v42, v30
	v_mul_f32_e32 v65, v44, v31
	v_pk_mul_f32 v[30:31], v[50:51], v[30:31]
	v_mov_b32_e32 v38, v21
	v_mov_b32_e32 v60, v29
	v_pk_add_f32 v[2:3], v[2:3], v[36:37]
	v_pk_add_f32 v[0:1], v[0:1], v[58:59]
	s_waitcnt lgkmcnt(1)
	v_mov_b32_e32 v52, v47
	s_waitcnt lgkmcnt(0)
	v_mov_b32_e32 v53, v55
	v_mov_b32_e32 v42, v22
	;; [unrolled: 1-line block ×3, first 2 shown]
	v_pk_add_f32 v[2:3], v[2:3], v[38:39]
	v_pk_add_f32 v[0:1], v[0:1], v[60:61]
	v_mul_f32_e32 v47, v46, v24
	v_mul_f32_e32 v55, v54, v25
	v_pk_mul_f32 v[24:25], v[52:53], v[24:25]
	v_mul_f32_e32 v67, v46, v32
	v_mul_f32_e32 v69, v54, v33
	v_pk_mul_f32 v[32:33], v[52:53], v[32:33]
	v_mov_b32_e32 v44, v23
	v_mov_b32_e32 v64, v31
	v_pk_add_f32 v[2:3], v[2:3], v[42:43]
	v_pk_add_f32 v[0:1], v[0:1], v[62:63]
	v_mov_b32_e32 v46, v24
	v_mov_b32_e32 v66, v32
	v_pk_add_f32 v[2:3], v[2:3], v[44:45]
	v_pk_add_f32 v[0:1], v[0:1], v[64:65]
	;; [unrolled: 4-line block ×3, first 2 shown]
	v_pk_add_f32 v[2:3], v[2:3], v[54:55]
	v_pk_add_f32 v[0:1], v[0:1], v[68:69]
	s_barrier
	s_cbranch_vccnz .LBB40_2
	s_branch .LBB40_4
.LBB40_3:
	v_mov_b32_e32 v3, 0
	v_mov_b32_e32 v2, v3
	;; [unrolled: 1-line block ×4, first 2 shown]
.LBB40_4:
	s_load_dwordx4 s[0:3], s[4:5], 0x78
	s_load_dword s9, s[4:5], 0x18
	s_load_dword s20, s[4:5], 0x50
	s_load_dwordx8 s[12:19], s[4:5], 0x58
	v_mov_b32_e32 v4, s11
	s_waitcnt lgkmcnt(0)
	s_mul_i32 s3, s8, s3
	s_mul_hi_u32 s4, s8, s2
	s_add_i32 s3, s4, s3
	s_mul_i32 s2, s8, s2
	v_add_co_u32_e32 v6, vcc, s10, v11
	s_lshl_b64 s[2:3], s[2:3], 2
	v_addc_co_u32_e32 v9, vcc, 0, v4, vcc
	s_add_u32 s4, s18, s2
	v_mov_b32_e32 v5, s7
	v_add_co_u32_e32 v4, vcc, s6, v10
	s_addc_u32 s5, s19, s3
	v_cmp_neq_f32_e64 s[2:3], s20, 0
	v_addc_co_u32_e32 v5, vcc, 0, v5, vcc
	s_and_b64 vcc, exec, s[2:3]
	v_mul_lo_u32 v7, v9, s0
	v_mul_lo_u32 v8, v6, s1
	v_lshlrev_b64 v[4:5], 2, v[4:5]
	s_cbranch_vccnz .LBB40_8
; %bb.5:
	v_mad_u64_u32 v[10:11], s[2:3], v6, s0, 0
	v_add3_u32 v11, v11, v8, v7
	v_lshlrev_b64 v[10:11], 2, v[10:11]
	v_mov_b32_e32 v12, s5
	v_add_co_u32_e32 v10, vcc, s4, v10
	v_addc_co_u32_e32 v11, vcc, v12, v11, vcc
	v_add_co_u32_e32 v10, vcc, v10, v4
	v_mul_f32_e32 v12, s9, v3
	v_addc_co_u32_e32 v11, vcc, v11, v5, vcc
	global_store_dword v[10:11], v12, off
	v_mul_f32_e32 v12, s9, v2
	s_lshl_b64 s[2:3], s[0:1], 6
	global_store_dword v[10:11], v12, off offset:64
	v_mov_b32_e32 v13, s3
	v_add_co_u32_e32 v10, vcc, s2, v10
	v_mul_f32_e32 v12, s9, v1
	v_addc_co_u32_e32 v11, vcc, v11, v13, vcc
	global_store_dword v[10:11], v12, off
	v_mul_f32_e32 v12, s9, v0
	global_store_dword v[10:11], v12, off offset:64
	s_cbranch_execnz .LBB40_7
.LBB40_6:
	s_mul_i32 s2, s8, s17
	s_mul_hi_u32 s3, s8, s16
	s_add_i32 s3, s3, s2
	s_mul_i32 s2, s8, s16
	s_lshl_b64 s[2:3], s[2:3], 2
	s_add_u32 s6, s12, s2
	s_addc_u32 s7, s13, s3
	v_mul_lo_u32 v9, v9, s14
	v_mul_lo_u32 v12, v6, s15
	v_mad_u64_u32 v[10:11], s[2:3], v6, s14, 0
	v_add3_u32 v11, v11, v12, v9
	v_lshlrev_b64 v[10:11], 2, v[10:11]
	v_mov_b32_e32 v9, s7
	v_add_co_u32_e32 v10, vcc, s6, v10
	v_addc_co_u32_e32 v9, vcc, v9, v11, vcc
	v_add_co_u32_e32 v10, vcc, v10, v4
	v_addc_co_u32_e32 v11, vcc, v9, v5, vcc
	global_load_dword v9, v[10:11], off
	v_mad_u64_u32 v[12:13], s[2:3], v6, s0, 0
	v_add3_u32 v13, v13, v8, v7
	v_lshlrev_b64 v[6:7], 2, v[12:13]
	v_mov_b32_e32 v14, s5
	v_add_co_u32_e32 v6, vcc, s4, v6
	v_addc_co_u32_e32 v7, vcc, v14, v7, vcc
	v_add_co_u32_e32 v4, vcc, v6, v4
	v_addc_co_u32_e32 v5, vcc, v7, v5, vcc
	s_lshl_b64 s[2:3], s[14:15], 6
	v_mov_b32_e32 v7, s3
	s_lshl_b64 s[0:1], s[0:1], 6
	s_waitcnt vmcnt(0)
	v_mul_f32_e32 v6, s20, v9
	v_fmac_f32_e32 v6, s9, v3
	global_store_dword v[4:5], v6, off
	global_load_dword v3, v[10:11], off offset:64
	v_add_co_u32_e32 v6, vcc, s2, v10
	v_addc_co_u32_e32 v7, vcc, v11, v7, vcc
	s_waitcnt vmcnt(0)
	v_mul_f32_e32 v3, s20, v3
	v_fmac_f32_e32 v3, s9, v2
	global_store_dword v[4:5], v3, off offset:64
	global_load_dword v2, v[6:7], off
	v_mov_b32_e32 v3, s1
	s_waitcnt vmcnt(0)
	v_mul_f32_e32 v8, s20, v2
	v_add_co_u32_e32 v2, vcc, s0, v4
	v_fmac_f32_e32 v8, s9, v1
	v_addc_co_u32_e32 v3, vcc, v5, v3, vcc
	global_store_dword v[2:3], v8, off
	global_load_dword v1, v[6:7], off offset:64
	s_waitcnt vmcnt(0)
	v_mul_f32_e32 v1, s20, v1
	v_fmac_f32_e32 v1, s9, v0
	global_store_dword v[2:3], v1, off offset:64
.LBB40_7:
	s_endpgm
.LBB40_8:
	s_branch .LBB40_6
	.section	.rodata,"a",@progbits
	.p2align	6, 0x0
	.amdhsa_kernel _ZN12_GLOBAL__N_127rocblas_gemm_batched_kernelIfLi16ELi16ELi32ELi32ELi8ELi32ELi8ELi8ELi32ELc78ELc78EKfS1_fEEvlllT_PT11_llS4_llS2_PT12_llPT13_lli
		.amdhsa_group_segment_fixed_size 2048
		.amdhsa_private_segment_fixed_size 0
		.amdhsa_kernarg_size 140
		.amdhsa_user_sgpr_count 6
		.amdhsa_user_sgpr_private_segment_buffer 1
		.amdhsa_user_sgpr_dispatch_ptr 0
		.amdhsa_user_sgpr_queue_ptr 0
		.amdhsa_user_sgpr_kernarg_segment_ptr 1
		.amdhsa_user_sgpr_dispatch_id 0
		.amdhsa_user_sgpr_flat_scratch_init 0
		.amdhsa_user_sgpr_kernarg_preload_length 0
		.amdhsa_user_sgpr_kernarg_preload_offset 0
		.amdhsa_user_sgpr_private_segment_size 0
		.amdhsa_uses_dynamic_stack 0
		.amdhsa_system_sgpr_private_segment_wavefront_offset 0
		.amdhsa_system_sgpr_workgroup_id_x 1
		.amdhsa_system_sgpr_workgroup_id_y 1
		.amdhsa_system_sgpr_workgroup_id_z 1
		.amdhsa_system_sgpr_workgroup_info 0
		.amdhsa_system_vgpr_workitem_id 1
		.amdhsa_next_free_vgpr 70
		.amdhsa_next_free_sgpr 22
		.amdhsa_accum_offset 72
		.amdhsa_reserve_vcc 1
		.amdhsa_reserve_flat_scratch 0
		.amdhsa_float_round_mode_32 0
		.amdhsa_float_round_mode_16_64 0
		.amdhsa_float_denorm_mode_32 3
		.amdhsa_float_denorm_mode_16_64 3
		.amdhsa_dx10_clamp 1
		.amdhsa_ieee_mode 1
		.amdhsa_fp16_overflow 0
		.amdhsa_tg_split 0
		.amdhsa_exception_fp_ieee_invalid_op 0
		.amdhsa_exception_fp_denorm_src 0
		.amdhsa_exception_fp_ieee_div_zero 0
		.amdhsa_exception_fp_ieee_overflow 0
		.amdhsa_exception_fp_ieee_underflow 0
		.amdhsa_exception_fp_ieee_inexact 0
		.amdhsa_exception_int_div_zero 0
	.end_amdhsa_kernel
	.section	.text._ZN12_GLOBAL__N_127rocblas_gemm_batched_kernelIfLi16ELi16ELi32ELi32ELi8ELi32ELi8ELi8ELi32ELc78ELc78EKfS1_fEEvlllT_PT11_llS4_llS2_PT12_llPT13_lli,"axG",@progbits,_ZN12_GLOBAL__N_127rocblas_gemm_batched_kernelIfLi16ELi16ELi32ELi32ELi8ELi32ELi8ELi8ELi32ELc78ELc78EKfS1_fEEvlllT_PT11_llS4_llS2_PT12_llPT13_lli,comdat
.Lfunc_end40:
	.size	_ZN12_GLOBAL__N_127rocblas_gemm_batched_kernelIfLi16ELi16ELi32ELi32ELi8ELi32ELi8ELi8ELi32ELc78ELc78EKfS1_fEEvlllT_PT11_llS4_llS2_PT12_llPT13_lli, .Lfunc_end40-_ZN12_GLOBAL__N_127rocblas_gemm_batched_kernelIfLi16ELi16ELi32ELi32ELi8ELi32ELi8ELi8ELi32ELc78ELc78EKfS1_fEEvlllT_PT11_llS4_llS2_PT12_llPT13_lli
                                        ; -- End function
	.section	.AMDGPU.csdata,"",@progbits
; Kernel info:
; codeLenInByte = 1500
; NumSgprs: 26
; NumVgprs: 70
; NumAgprs: 0
; TotalNumVgprs: 70
; ScratchSize: 0
; MemoryBound: 0
; FloatMode: 240
; IeeeMode: 1
; LDSByteSize: 2048 bytes/workgroup (compile time only)
; SGPRBlocks: 3
; VGPRBlocks: 8
; NumSGPRsForWavesPerEU: 26
; NumVGPRsForWavesPerEU: 70
; AccumOffset: 72
; Occupancy: 7
; WaveLimiterHint : 0
; COMPUTE_PGM_RSRC2:SCRATCH_EN: 0
; COMPUTE_PGM_RSRC2:USER_SGPR: 6
; COMPUTE_PGM_RSRC2:TRAP_HANDLER: 0
; COMPUTE_PGM_RSRC2:TGID_X_EN: 1
; COMPUTE_PGM_RSRC2:TGID_Y_EN: 1
; COMPUTE_PGM_RSRC2:TGID_Z_EN: 1
; COMPUTE_PGM_RSRC2:TIDIG_COMP_CNT: 1
; COMPUTE_PGM_RSRC3_GFX90A:ACCUM_OFFSET: 17
; COMPUTE_PGM_RSRC3_GFX90A:TG_SPLIT: 0
	.section	.text._ZN12_GLOBAL__N_127rocblas_gemm_batched_kernelIfLi16ELi16ELi32ELi32ELi8ELi32ELi8ELi8ELi32ELc84ELc78EKfS1_fEEvlllT_PT11_llS4_llS2_PT12_llPT13_lli,"axG",@progbits,_ZN12_GLOBAL__N_127rocblas_gemm_batched_kernelIfLi16ELi16ELi32ELi32ELi8ELi32ELi8ELi8ELi32ELc84ELc78EKfS1_fEEvlllT_PT11_llS4_llS2_PT12_llPT13_lli,comdat
	.globl	_ZN12_GLOBAL__N_127rocblas_gemm_batched_kernelIfLi16ELi16ELi32ELi32ELi8ELi32ELi8ELi8ELi32ELc84ELc78EKfS1_fEEvlllT_PT11_llS4_llS2_PT12_llPT13_lli ; -- Begin function _ZN12_GLOBAL__N_127rocblas_gemm_batched_kernelIfLi16ELi16ELi32ELi32ELi8ELi32ELi8ELi8ELi32ELc84ELc78EKfS1_fEEvlllT_PT11_llS4_llS2_PT12_llPT13_lli
	.p2align	8
	.type	_ZN12_GLOBAL__N_127rocblas_gemm_batched_kernelIfLi16ELi16ELi32ELi32ELi8ELi32ELi8ELi8ELi32ELc84ELc78EKfS1_fEEvlllT_PT11_llS4_llS2_PT12_llPT13_lli,@function
_ZN12_GLOBAL__N_127rocblas_gemm_batched_kernelIfLi16ELi16ELi32ELi32ELi8ELi32ELi8ELi8ELi32ELc84ELc78EKfS1_fEEvlllT_PT11_llS4_llS2_PT12_llPT13_lli: ; @_ZN12_GLOBAL__N_127rocblas_gemm_batched_kernelIfLi16ELi16ELi32ELi32ELi8ELi32ELi8ELi8ELi32ELc84ELc78EKfS1_fEEvlllT_PT11_llS4_llS2_PT12_llPT13_lli
; %bb.0:
	s_load_dwordx2 s[2:3], s[4:5], 0x10
	s_mov_b32 s0, s7
	s_ashr_i32 s1, s0, 31
	s_ashr_i32 s7, s6, 31
	s_lshl_b64 s[10:11], s[0:1], 5
	s_waitcnt lgkmcnt(0)
	v_cmp_lt_i64_e64 s[0:1], s[2:3], 1
	v_bfe_u32 v11, v0, 10, 10
	v_and_b32_e32 v10, 0x3ff, v0
	s_lshl_b64 s[6:7], s[6:7], 5
	s_and_b64 vcc, exec, s[0:1]
	s_cbranch_vccnz .LBB41_3
; %bb.1:
	s_load_dwordx8 s[12:19], s[4:5], 0x20
	s_load_dwordx4 s[20:23], s[4:5], 0x40
	v_lshl_add_u32 v0, v11, 4, v10
	v_and_b32_e32 v4, 7, v10
	v_and_b32_e32 v6, 31, v0
	v_lshrrev_b32_e32 v1, 3, v0
	v_lshrrev_b32_e32 v7, 5, v0
	v_lshlrev_b32_e32 v0, 2, v6
	v_lshlrev_b32_e32 v4, 2, v4
	v_lshl_or_b32 v12, v7, 7, v0
	v_lshl_or_b32 v0, v1, 5, v4
	v_mov_b32_e32 v2, s11
	v_add_co_u32_e32 v3, vcc, s10, v1
	v_add_u32_e32 v13, 0x400, v0
	v_mov_b32_e32 v0, 0x400
	v_addc_co_u32_e32 v2, vcc, 0, v2, vcc
	v_lshl_add_u32 v15, v11, 5, v0
	s_waitcnt lgkmcnt(0)
	v_mad_u64_u32 v[0:1], s[0:1], s20, v3, 0
	v_mul_lo_u32 v5, s21, v3
	v_mul_lo_u32 v2, s20, v2
	s_mul_i32 s0, s23, s8
	s_mul_hi_u32 s1, s22, s8
	v_add3_u32 v1, v1, v2, v5
	s_add_i32 s1, s1, s0
	s_mul_i32 s0, s22, s8
	v_lshlrev_b64 v[0:1], 2, v[0:1]
	s_lshl_b64 s[0:1], s[0:1], 2
	v_mov_b32_e32 v2, s1
	v_add_co_u32_e32 v0, vcc, s0, v0
	v_addc_co_u32_e32 v1, vcc, v1, v2, vcc
	v_add_co_u32_e32 v0, vcc, v0, v4
	v_addc_co_u32_e32 v1, vcc, 0, v1, vcc
	v_mov_b32_e32 v2, s19
	v_add_co_u32_e32 v4, vcc, s18, v0
	v_addc_co_u32_e32 v5, vcc, v2, v1, vcc
	v_mov_b32_e32 v0, s7
	v_add_co_u32_e32 v1, vcc, s6, v6
	v_addc_co_u32_e32 v0, vcc, 0, v0, vcc
	v_mul_lo_u32 v2, s15, v1
	v_mul_lo_u32 v3, s14, v0
	v_mad_u64_u32 v[0:1], s[0:1], s14, v1, 0
	s_mul_i32 s0, s17, s8
	s_mul_hi_u32 s1, s16, s8
	v_add3_u32 v1, v1, v3, v2
	s_add_i32 s1, s1, s0
	s_mul_i32 s0, s16, s8
	v_lshlrev_b64 v[0:1], 2, v[0:1]
	s_lshl_b64 s[0:1], s[0:1], 2
	v_mov_b32_e32 v2, s1
	v_add_co_u32_e32 v0, vcc, s0, v0
	v_addc_co_u32_e32 v1, vcc, v1, v2, vcc
	v_lshlrev_b32_e32 v2, 2, v7
	v_add_co_u32_e32 v0, vcc, v0, v2
	v_addc_co_u32_e32 v1, vcc, 0, v1, vcc
	v_mov_b32_e32 v2, s13
	v_add_co_u32_e32 v6, vcc, s12, v0
	v_mov_b32_e32 v0, 0
	v_lshlrev_b32_e32 v14, 2, v10
	v_addc_co_u32_e32 v7, vcc, v2, v1, vcc
	s_mov_b64 s[0:1], 0
	v_pk_mov_b32 v[8:9], s[2:3], s[2:3] op_sel:[0,1]
	v_mov_b32_e32 v1, v0
	v_mov_b32_e32 v2, v0
	;; [unrolled: 1-line block ×3, first 2 shown]
.LBB41_2:                               ; =>This Inner Loop Header: Depth=1
	global_load_dword v16, v[6:7], off
	global_load_dword v17, v[4:5], off
	v_add_co_u32_e32 v4, vcc, 32, v4
	v_addc_co_u32_e32 v5, vcc, 0, v5, vcc
	s_add_u32 s0, s0, 8
	v_add_co_u32_e32 v6, vcc, 32, v6
	v_addc_co_u32_e32 v7, vcc, 0, v7, vcc
	s_addc_u32 s1, s1, 0
	v_cmp_lt_i64_e32 vcc, s[0:1], v[8:9]
	s_and_b64 vcc, exec, vcc
	s_waitcnt vmcnt(1)
	ds_write_b32 v12, v16
	s_waitcnt vmcnt(0)
	ds_write_b32 v13, v17
	s_waitcnt lgkmcnt(0)
	s_barrier
	ds_read2_b32 v[32:33], v14 offset1:16
	ds_read2_b32 v[34:35], v14 offset0:32 offset1:48
	ds_read_b128 v[16:19], v15
	ds_read_b128 v[20:23], v15 offset:16
	ds_read2_b32 v[36:37], v14 offset0:64 offset1:80
	ds_read2_b32 v[38:39], v14 offset0:96 offset1:112
	;; [unrolled: 1-line block ×4, first 2 shown]
	ds_read_b128 v[24:27], v15 offset:512
	ds_read_b128 v[28:31], v15 offset:528
	ds_read2_b32 v[44:45], v14 offset0:192 offset1:208
	ds_read2_b32 v[46:47], v14 offset0:224 offset1:240
	s_waitcnt lgkmcnt(11)
	v_mov_b32_e32 v50, v33
	s_waitcnt lgkmcnt(10)
	v_mov_b32_e32 v51, v35
	s_waitcnt lgkmcnt(9)
	v_mul_f32_e32 v49, v32, v16
	v_mul_f32_e32 v33, v34, v17
	s_waitcnt lgkmcnt(3)
	v_mul_f32_e32 v35, v32, v24
	v_mul_f32_e32 v53, v34, v25
	v_pk_mul_f32 v[16:17], v[50:51], v[16:17]
	v_pk_mul_f32 v[24:25], v[50:51], v[24:25]
	v_mov_b32_e32 v56, v37
	v_mov_b32_e32 v57, v39
	;; [unrolled: 1-line block ×4, first 2 shown]
	v_mul_f32_e32 v55, v36, v18
	v_mul_f32_e32 v37, v38, v19
	;; [unrolled: 1-line block ×4, first 2 shown]
	v_pk_mul_f32 v[18:19], v[56:57], v[18:19]
	v_pk_mul_f32 v[26:27], v[56:57], v[26:27]
	v_mov_b32_e32 v32, v17
	v_mov_b32_e32 v52, v25
	v_pk_add_f32 v[2:3], v[2:3], v[48:49]
	v_pk_add_f32 v[0:1], v[0:1], v[34:35]
	v_mov_b32_e32 v50, v41
	v_mov_b32_e32 v51, v43
	;; [unrolled: 1-line block ×4, first 2 shown]
	v_pk_add_f32 v[2:3], v[2:3], v[32:33]
	v_pk_add_f32 v[0:1], v[0:1], v[52:53]
	v_mul_f32_e32 v61, v40, v20
	s_waitcnt lgkmcnt(0)
	v_mov_b32_e32 v57, v47
	v_mul_f32_e32 v41, v42, v21
	v_pk_mul_f32 v[20:21], v[50:51], v[20:21]
	v_mul_f32_e32 v47, v40, v28
	v_mul_f32_e32 v63, v42, v29
	v_pk_mul_f32 v[28:29], v[50:51], v[28:29]
	v_mov_b32_e32 v36, v19
	v_mov_b32_e32 v58, v27
	v_pk_add_f32 v[2:3], v[2:3], v[54:55]
	v_pk_add_f32 v[0:1], v[0:1], v[38:39]
	v_mov_b32_e32 v56, v45
	v_mul_f32_e32 v45, v46, v23
	v_mul_f32_e32 v67, v46, v31
	v_mov_b32_e32 v60, v20
	v_mov_b32_e32 v46, v28
	v_pk_add_f32 v[2:3], v[2:3], v[36:37]
	v_pk_add_f32 v[0:1], v[0:1], v[58:59]
	v_mul_f32_e32 v43, v44, v22
	v_pk_mul_f32 v[22:23], v[56:57], v[22:23]
	v_mul_f32_e32 v65, v44, v30
	v_pk_mul_f32 v[30:31], v[56:57], v[30:31]
	v_mov_b32_e32 v40, v21
	v_mov_b32_e32 v62, v29
	v_pk_add_f32 v[2:3], v[2:3], v[60:61]
	v_pk_add_f32 v[0:1], v[0:1], v[46:47]
	v_mov_b32_e32 v42, v22
	v_mov_b32_e32 v64, v30
	v_pk_add_f32 v[2:3], v[2:3], v[40:41]
	v_pk_add_f32 v[0:1], v[0:1], v[62:63]
	;; [unrolled: 4-line block ×3, first 2 shown]
	v_pk_add_f32 v[2:3], v[2:3], v[44:45]
	v_pk_add_f32 v[0:1], v[0:1], v[66:67]
	s_barrier
	s_cbranch_vccnz .LBB41_2
	s_branch .LBB41_4
.LBB41_3:
	v_mov_b32_e32 v3, 0
	v_mov_b32_e32 v2, v3
	;; [unrolled: 1-line block ×4, first 2 shown]
.LBB41_4:
	s_load_dwordx4 s[0:3], s[4:5], 0x78
	s_load_dword s9, s[4:5], 0x18
	s_load_dword s20, s[4:5], 0x50
	s_load_dwordx8 s[12:19], s[4:5], 0x58
	v_mov_b32_e32 v4, s11
	s_waitcnt lgkmcnt(0)
	s_mul_i32 s3, s8, s3
	s_mul_hi_u32 s4, s8, s2
	s_add_i32 s3, s4, s3
	s_mul_i32 s2, s8, s2
	v_add_co_u32_e32 v6, vcc, s10, v11
	s_lshl_b64 s[2:3], s[2:3], 2
	v_addc_co_u32_e32 v9, vcc, 0, v4, vcc
	s_add_u32 s4, s18, s2
	v_mov_b32_e32 v5, s7
	v_add_co_u32_e32 v4, vcc, s6, v10
	s_addc_u32 s5, s19, s3
	v_cmp_neq_f32_e64 s[2:3], s20, 0
	v_addc_co_u32_e32 v5, vcc, 0, v5, vcc
	s_and_b64 vcc, exec, s[2:3]
	v_mul_lo_u32 v7, v9, s0
	v_mul_lo_u32 v8, v6, s1
	v_lshlrev_b64 v[4:5], 2, v[4:5]
	s_cbranch_vccnz .LBB41_8
; %bb.5:
	v_mad_u64_u32 v[10:11], s[2:3], v6, s0, 0
	v_add3_u32 v11, v11, v8, v7
	v_lshlrev_b64 v[10:11], 2, v[10:11]
	v_mov_b32_e32 v12, s5
	v_add_co_u32_e32 v10, vcc, s4, v10
	v_addc_co_u32_e32 v11, vcc, v12, v11, vcc
	v_add_co_u32_e32 v10, vcc, v10, v4
	v_mul_f32_e32 v12, s9, v3
	v_addc_co_u32_e32 v11, vcc, v11, v5, vcc
	global_store_dword v[10:11], v12, off
	v_mul_f32_e32 v12, s9, v2
	s_lshl_b64 s[2:3], s[0:1], 6
	global_store_dword v[10:11], v12, off offset:64
	v_mov_b32_e32 v13, s3
	v_add_co_u32_e32 v10, vcc, s2, v10
	v_mul_f32_e32 v12, s9, v1
	v_addc_co_u32_e32 v11, vcc, v11, v13, vcc
	global_store_dword v[10:11], v12, off
	v_mul_f32_e32 v12, s9, v0
	global_store_dword v[10:11], v12, off offset:64
	s_cbranch_execnz .LBB41_7
.LBB41_6:
	s_mul_i32 s2, s8, s17
	s_mul_hi_u32 s3, s8, s16
	s_add_i32 s3, s3, s2
	s_mul_i32 s2, s8, s16
	s_lshl_b64 s[2:3], s[2:3], 2
	s_add_u32 s6, s12, s2
	s_addc_u32 s7, s13, s3
	v_mul_lo_u32 v9, v9, s14
	v_mul_lo_u32 v12, v6, s15
	v_mad_u64_u32 v[10:11], s[2:3], v6, s14, 0
	v_add3_u32 v11, v11, v12, v9
	v_lshlrev_b64 v[10:11], 2, v[10:11]
	v_mov_b32_e32 v9, s7
	v_add_co_u32_e32 v10, vcc, s6, v10
	v_addc_co_u32_e32 v9, vcc, v9, v11, vcc
	v_add_co_u32_e32 v10, vcc, v10, v4
	v_addc_co_u32_e32 v11, vcc, v9, v5, vcc
	global_load_dword v9, v[10:11], off
	v_mad_u64_u32 v[12:13], s[2:3], v6, s0, 0
	v_add3_u32 v13, v13, v8, v7
	v_lshlrev_b64 v[6:7], 2, v[12:13]
	v_mov_b32_e32 v14, s5
	v_add_co_u32_e32 v6, vcc, s4, v6
	v_addc_co_u32_e32 v7, vcc, v14, v7, vcc
	v_add_co_u32_e32 v4, vcc, v6, v4
	v_addc_co_u32_e32 v5, vcc, v7, v5, vcc
	s_lshl_b64 s[2:3], s[14:15], 6
	v_mov_b32_e32 v7, s3
	s_lshl_b64 s[0:1], s[0:1], 6
	s_waitcnt vmcnt(0)
	v_mul_f32_e32 v6, s20, v9
	v_fmac_f32_e32 v6, s9, v3
	global_store_dword v[4:5], v6, off
	global_load_dword v3, v[10:11], off offset:64
	v_add_co_u32_e32 v6, vcc, s2, v10
	v_addc_co_u32_e32 v7, vcc, v11, v7, vcc
	s_waitcnt vmcnt(0)
	v_mul_f32_e32 v3, s20, v3
	v_fmac_f32_e32 v3, s9, v2
	global_store_dword v[4:5], v3, off offset:64
	global_load_dword v2, v[6:7], off
	v_mov_b32_e32 v3, s1
	s_waitcnt vmcnt(0)
	v_mul_f32_e32 v8, s20, v2
	v_add_co_u32_e32 v2, vcc, s0, v4
	v_fmac_f32_e32 v8, s9, v1
	v_addc_co_u32_e32 v3, vcc, v5, v3, vcc
	global_store_dword v[2:3], v8, off
	global_load_dword v1, v[6:7], off offset:64
	s_waitcnt vmcnt(0)
	v_mul_f32_e32 v1, s20, v1
	v_fmac_f32_e32 v1, s9, v0
	global_store_dword v[2:3], v1, off offset:64
.LBB41_7:
	s_endpgm
.LBB41_8:
	s_branch .LBB41_6
	.section	.rodata,"a",@progbits
	.p2align	6, 0x0
	.amdhsa_kernel _ZN12_GLOBAL__N_127rocblas_gemm_batched_kernelIfLi16ELi16ELi32ELi32ELi8ELi32ELi8ELi8ELi32ELc84ELc78EKfS1_fEEvlllT_PT11_llS4_llS2_PT12_llPT13_lli
		.amdhsa_group_segment_fixed_size 2048
		.amdhsa_private_segment_fixed_size 0
		.amdhsa_kernarg_size 140
		.amdhsa_user_sgpr_count 6
		.amdhsa_user_sgpr_private_segment_buffer 1
		.amdhsa_user_sgpr_dispatch_ptr 0
		.amdhsa_user_sgpr_queue_ptr 0
		.amdhsa_user_sgpr_kernarg_segment_ptr 1
		.amdhsa_user_sgpr_dispatch_id 0
		.amdhsa_user_sgpr_flat_scratch_init 0
		.amdhsa_user_sgpr_kernarg_preload_length 0
		.amdhsa_user_sgpr_kernarg_preload_offset 0
		.amdhsa_user_sgpr_private_segment_size 0
		.amdhsa_uses_dynamic_stack 0
		.amdhsa_system_sgpr_private_segment_wavefront_offset 0
		.amdhsa_system_sgpr_workgroup_id_x 1
		.amdhsa_system_sgpr_workgroup_id_y 1
		.amdhsa_system_sgpr_workgroup_id_z 1
		.amdhsa_system_sgpr_workgroup_info 0
		.amdhsa_system_vgpr_workitem_id 1
		.amdhsa_next_free_vgpr 68
		.amdhsa_next_free_sgpr 24
		.amdhsa_accum_offset 68
		.amdhsa_reserve_vcc 1
		.amdhsa_reserve_flat_scratch 0
		.amdhsa_float_round_mode_32 0
		.amdhsa_float_round_mode_16_64 0
		.amdhsa_float_denorm_mode_32 3
		.amdhsa_float_denorm_mode_16_64 3
		.amdhsa_dx10_clamp 1
		.amdhsa_ieee_mode 1
		.amdhsa_fp16_overflow 0
		.amdhsa_tg_split 0
		.amdhsa_exception_fp_ieee_invalid_op 0
		.amdhsa_exception_fp_denorm_src 0
		.amdhsa_exception_fp_ieee_div_zero 0
		.amdhsa_exception_fp_ieee_overflow 0
		.amdhsa_exception_fp_ieee_underflow 0
		.amdhsa_exception_fp_ieee_inexact 0
		.amdhsa_exception_int_div_zero 0
	.end_amdhsa_kernel
	.section	.text._ZN12_GLOBAL__N_127rocblas_gemm_batched_kernelIfLi16ELi16ELi32ELi32ELi8ELi32ELi8ELi8ELi32ELc84ELc78EKfS1_fEEvlllT_PT11_llS4_llS2_PT12_llPT13_lli,"axG",@progbits,_ZN12_GLOBAL__N_127rocblas_gemm_batched_kernelIfLi16ELi16ELi32ELi32ELi8ELi32ELi8ELi8ELi32ELc84ELc78EKfS1_fEEvlllT_PT11_llS4_llS2_PT12_llPT13_lli,comdat
.Lfunc_end41:
	.size	_ZN12_GLOBAL__N_127rocblas_gemm_batched_kernelIfLi16ELi16ELi32ELi32ELi8ELi32ELi8ELi8ELi32ELc84ELc78EKfS1_fEEvlllT_PT11_llS4_llS2_PT12_llPT13_lli, .Lfunc_end41-_ZN12_GLOBAL__N_127rocblas_gemm_batched_kernelIfLi16ELi16ELi32ELi32ELi8ELi32ELi8ELi8ELi32ELc84ELc78EKfS1_fEEvlllT_PT11_llS4_llS2_PT12_llPT13_lli
                                        ; -- End function
	.section	.AMDGPU.csdata,"",@progbits
; Kernel info:
; codeLenInByte = 1500
; NumSgprs: 28
; NumVgprs: 68
; NumAgprs: 0
; TotalNumVgprs: 68
; ScratchSize: 0
; MemoryBound: 0
; FloatMode: 240
; IeeeMode: 1
; LDSByteSize: 2048 bytes/workgroup (compile time only)
; SGPRBlocks: 3
; VGPRBlocks: 8
; NumSGPRsForWavesPerEU: 28
; NumVGPRsForWavesPerEU: 68
; AccumOffset: 68
; Occupancy: 7
; WaveLimiterHint : 0
; COMPUTE_PGM_RSRC2:SCRATCH_EN: 0
; COMPUTE_PGM_RSRC2:USER_SGPR: 6
; COMPUTE_PGM_RSRC2:TRAP_HANDLER: 0
; COMPUTE_PGM_RSRC2:TGID_X_EN: 1
; COMPUTE_PGM_RSRC2:TGID_Y_EN: 1
; COMPUTE_PGM_RSRC2:TGID_Z_EN: 1
; COMPUTE_PGM_RSRC2:TIDIG_COMP_CNT: 1
; COMPUTE_PGM_RSRC3_GFX90A:ACCUM_OFFSET: 16
; COMPUTE_PGM_RSRC3_GFX90A:TG_SPLIT: 0
	.section	.text._ZN12_GLOBAL__N_127rocblas_gemm_batched_kernelIfLi16ELi16ELi32ELi32ELi8ELi32ELi8ELi8ELi32ELc78ELc84EKfS1_fEEvlllT_PT11_llS4_llS2_PT12_llPT13_lli,"axG",@progbits,_ZN12_GLOBAL__N_127rocblas_gemm_batched_kernelIfLi16ELi16ELi32ELi32ELi8ELi32ELi8ELi8ELi32ELc78ELc84EKfS1_fEEvlllT_PT11_llS4_llS2_PT12_llPT13_lli,comdat
	.globl	_ZN12_GLOBAL__N_127rocblas_gemm_batched_kernelIfLi16ELi16ELi32ELi32ELi8ELi32ELi8ELi8ELi32ELc78ELc84EKfS1_fEEvlllT_PT11_llS4_llS2_PT12_llPT13_lli ; -- Begin function _ZN12_GLOBAL__N_127rocblas_gemm_batched_kernelIfLi16ELi16ELi32ELi32ELi8ELi32ELi8ELi8ELi32ELc78ELc84EKfS1_fEEvlllT_PT11_llS4_llS2_PT12_llPT13_lli
	.p2align	8
	.type	_ZN12_GLOBAL__N_127rocblas_gemm_batched_kernelIfLi16ELi16ELi32ELi32ELi8ELi32ELi8ELi8ELi32ELc78ELc84EKfS1_fEEvlllT_PT11_llS4_llS2_PT12_llPT13_lli,@function
_ZN12_GLOBAL__N_127rocblas_gemm_batched_kernelIfLi16ELi16ELi32ELi32ELi8ELi32ELi8ELi8ELi32ELc78ELc84EKfS1_fEEvlllT_PT11_llS4_llS2_PT12_llPT13_lli: ; @_ZN12_GLOBAL__N_127rocblas_gemm_batched_kernelIfLi16ELi16ELi32ELi32ELi8ELi32ELi8ELi8ELi32ELc78ELc84EKfS1_fEEvlllT_PT11_llS4_llS2_PT12_llPT13_lli
; %bb.0:
	s_load_dwordx2 s[20:21], s[4:5], 0x10
	s_mov_b32 s0, s7
	s_ashr_i32 s1, s0, 31
	s_ashr_i32 s7, s6, 31
	s_lshl_b64 s[10:11], s[0:1], 5
	s_waitcnt lgkmcnt(0)
	v_cmp_lt_i64_e64 s[0:1], s[20:21], 1
	v_bfe_u32 v11, v0, 10, 10
	v_and_b32_e32 v10, 0x3ff, v0
	s_lshl_b64 s[6:7], s[6:7], 5
	s_and_b64 vcc, exec, s[0:1]
	s_cbranch_vccnz .LBB42_3
; %bb.1:
	v_lshl_add_u32 v2, v11, 4, v10
	s_load_dwordx8 s[12:19], s[4:5], 0x20
	s_load_dwordx4 s[0:3], s[4:5], 0x40
	v_and_b32_e32 v8, 31, v2
	v_lshrrev_b32_e32 v0, 3, v2
	v_and_b32_e32 v4, 7, v10
	v_lshrrev_b32_e32 v6, 5, v2
	v_lshlrev_b32_e32 v2, 2, v8
	v_lshl_or_b32 v12, v6, 7, v2
	v_lshlrev_b32_e32 v2, 2, v4
	v_lshl_or_b32 v2, v0, 5, v2
	v_mov_b32_e32 v1, 0
	v_add_u32_e32 v13, 0x400, v2
	v_mov_b32_e32 v2, 0x400
	v_lshl_add_u32 v15, v11, 5, v2
	s_waitcnt lgkmcnt(0)
	v_mad_u64_u32 v[2:3], s[22:23], v4, s0, v[0:1]
	s_mul_i32 s3, s3, s8
	s_mul_hi_u32 s9, s2, s8
	v_mov_b32_e32 v0, v3
	s_add_i32 s3, s9, s3
	s_mul_i32 s2, s2, s8
	v_mad_u64_u32 v[4:5], s[22:23], v4, s1, v[0:1]
	s_lshl_b64 s[2:3], s[2:3], 2
	v_mov_b32_e32 v3, v4
	v_mov_b32_e32 v0, s11
	v_add_co_u32_e32 v2, vcc, s10, v2
	v_addc_co_u32_e32 v3, vcc, v3, v0, vcc
	s_add_u32 s2, s18, s2
	v_lshlrev_b64 v[2:3], 2, v[2:3]
	s_addc_u32 s3, s19, s3
	v_mov_b32_e32 v0, s3
	v_add_co_u32_e32 v4, vcc, s2, v2
	v_addc_co_u32_e32 v5, vcc, v0, v3, vcc
	s_mul_i32 s2, s17, s8
	s_mul_hi_u32 s3, s16, s8
	v_pk_mov_b32 v[2:3], s[6:7], s[6:7] op_sel:[0,1]
	s_add_i32 s3, s3, s2
	s_mul_i32 s2, s16, s8
	v_mad_u64_u32 v[2:3], s[16:17], v6, s14, v[2:3]
	v_mov_b32_e32 v0, v3
	v_mad_u64_u32 v[6:7], s[16:17], v6, s15, v[0:1]
	s_lshl_b64 s[0:1], s[0:1], 5
	s_lshl_b64 s[2:3], s[2:3], 2
	v_mov_b32_e32 v3, v6
	v_add_co_u32_e32 v2, vcc, v2, v8
	v_addc_co_u32_e32 v3, vcc, 0, v3, vcc
	s_add_u32 s2, s12, s2
	v_lshlrev_b64 v[2:3], 2, v[2:3]
	s_addc_u32 s3, s13, s3
	v_mov_b32_e32 v0, s3
	v_add_co_u32_e32 v6, vcc, s2, v2
	s_lshl_b64 s[2:3], s[14:15], 5
	v_lshlrev_b32_e32 v14, 2, v10
	v_addc_co_u32_e32 v7, vcc, v0, v3, vcc
	s_mov_b64 s[12:13], 0
	v_mov_b32_e32 v16, s1
	v_mov_b32_e32 v17, s3
	v_pk_mov_b32 v[8:9], s[20:21], s[20:21] op_sel:[0,1]
	v_mov_b32_e32 v0, v1
	v_mov_b32_e32 v2, v1
	;; [unrolled: 1-line block ×3, first 2 shown]
.LBB42_2:                               ; =>This Inner Loop Header: Depth=1
	global_load_dword v18, v[6:7], off
	global_load_dword v19, v[4:5], off
	v_add_co_u32_e32 v4, vcc, s0, v4
	v_addc_co_u32_e32 v5, vcc, v5, v16, vcc
	s_add_u32 s12, s12, 8
	v_add_co_u32_e32 v6, vcc, s2, v6
	v_addc_co_u32_e32 v7, vcc, v7, v17, vcc
	s_addc_u32 s13, s13, 0
	v_cmp_lt_i64_e32 vcc, s[12:13], v[8:9]
	s_and_b64 vcc, exec, vcc
	s_waitcnt vmcnt(1)
	ds_write_b32 v12, v18
	s_waitcnt vmcnt(0)
	ds_write_b32 v13, v19
	s_waitcnt lgkmcnt(0)
	s_barrier
	ds_read2_b32 v[34:35], v14 offset1:16
	ds_read2_b32 v[36:37], v14 offset0:32 offset1:48
	ds_read_b128 v[18:21], v15
	ds_read_b128 v[22:25], v15 offset:16
	ds_read2_b32 v[38:39], v14 offset0:64 offset1:80
	ds_read2_b32 v[40:41], v14 offset0:96 offset1:112
	;; [unrolled: 1-line block ×4, first 2 shown]
	ds_read_b128 v[26:29], v15 offset:512
	ds_read_b128 v[30:33], v15 offset:528
	ds_read2_b32 v[46:47], v14 offset0:192 offset1:208
	s_waitcnt lgkmcnt(10)
	v_mov_b32_e32 v50, v35
	s_waitcnt lgkmcnt(9)
	v_mov_b32_e32 v51, v37
	s_waitcnt lgkmcnt(8)
	v_mul_f32_e32 v49, v34, v18
	v_mul_f32_e32 v35, v36, v19
	s_waitcnt lgkmcnt(5)
	v_mov_b32_e32 v53, v41
	v_pk_mul_f32 v[18:19], v[50:51], v[18:19]
	ds_read2_b32 v[54:55], v14 offset0:224 offset1:240
	s_waitcnt lgkmcnt(3)
	v_mul_f32_e32 v41, v34, v26
	v_mul_f32_e32 v57, v36, v27
	v_pk_mul_f32 v[26:27], v[50:51], v[26:27]
	v_mov_b32_e32 v52, v39
	v_mul_f32_e32 v39, v40, v21
	v_mul_f32_e32 v61, v40, v29
	v_mov_b32_e32 v48, v18
	v_mov_b32_e32 v40, v26
	v_mul_f32_e32 v37, v38, v20
	v_pk_mul_f32 v[20:21], v[52:53], v[20:21]
	v_mul_f32_e32 v59, v38, v28
	v_pk_mul_f32 v[28:29], v[52:53], v[28:29]
	v_mov_b32_e32 v34, v19
	v_mov_b32_e32 v56, v27
	v_pk_add_f32 v[2:3], v[2:3], v[48:49]
	v_pk_add_f32 v[0:1], v[0:1], v[40:41]
	v_mov_b32_e32 v50, v43
	v_mov_b32_e32 v51, v45
	;; [unrolled: 1-line block ×4, first 2 shown]
	v_pk_add_f32 v[2:3], v[2:3], v[34:35]
	v_pk_add_f32 v[0:1], v[0:1], v[56:57]
	v_mul_f32_e32 v43, v42, v22
	v_mul_f32_e32 v45, v44, v23
	v_pk_mul_f32 v[22:23], v[50:51], v[22:23]
	s_waitcnt lgkmcnt(2)
	v_mul_f32_e32 v63, v42, v30
	v_mul_f32_e32 v65, v44, v31
	v_pk_mul_f32 v[30:31], v[50:51], v[30:31]
	v_mov_b32_e32 v38, v21
	v_mov_b32_e32 v60, v29
	v_pk_add_f32 v[2:3], v[2:3], v[36:37]
	v_pk_add_f32 v[0:1], v[0:1], v[58:59]
	s_waitcnt lgkmcnt(1)
	v_mov_b32_e32 v52, v47
	s_waitcnt lgkmcnt(0)
	v_mov_b32_e32 v53, v55
	v_mov_b32_e32 v42, v22
	;; [unrolled: 1-line block ×3, first 2 shown]
	v_pk_add_f32 v[2:3], v[2:3], v[38:39]
	v_pk_add_f32 v[0:1], v[0:1], v[60:61]
	v_mul_f32_e32 v47, v46, v24
	v_mul_f32_e32 v55, v54, v25
	v_pk_mul_f32 v[24:25], v[52:53], v[24:25]
	v_mul_f32_e32 v67, v46, v32
	v_mul_f32_e32 v69, v54, v33
	v_pk_mul_f32 v[32:33], v[52:53], v[32:33]
	v_mov_b32_e32 v44, v23
	v_mov_b32_e32 v64, v31
	v_pk_add_f32 v[2:3], v[2:3], v[42:43]
	v_pk_add_f32 v[0:1], v[0:1], v[62:63]
	v_mov_b32_e32 v46, v24
	v_mov_b32_e32 v66, v32
	v_pk_add_f32 v[2:3], v[2:3], v[44:45]
	v_pk_add_f32 v[0:1], v[0:1], v[64:65]
	;; [unrolled: 4-line block ×3, first 2 shown]
	v_pk_add_f32 v[2:3], v[2:3], v[54:55]
	v_pk_add_f32 v[0:1], v[0:1], v[68:69]
	s_barrier
	s_cbranch_vccnz .LBB42_2
	s_branch .LBB42_4
.LBB42_3:
	v_mov_b32_e32 v3, 0
	v_mov_b32_e32 v2, v3
	;; [unrolled: 1-line block ×4, first 2 shown]
.LBB42_4:
	s_load_dwordx4 s[0:3], s[4:5], 0x78
	s_load_dword s9, s[4:5], 0x18
	s_load_dword s20, s[4:5], 0x50
	s_load_dwordx8 s[12:19], s[4:5], 0x58
	v_mov_b32_e32 v4, s11
	s_waitcnt lgkmcnt(0)
	s_mul_i32 s3, s8, s3
	s_mul_hi_u32 s4, s8, s2
	s_add_i32 s3, s4, s3
	s_mul_i32 s2, s8, s2
	v_add_co_u32_e32 v6, vcc, s10, v11
	s_lshl_b64 s[2:3], s[2:3], 2
	v_addc_co_u32_e32 v9, vcc, 0, v4, vcc
	s_add_u32 s4, s18, s2
	v_mov_b32_e32 v5, s7
	v_add_co_u32_e32 v4, vcc, s6, v10
	s_addc_u32 s5, s19, s3
	v_cmp_neq_f32_e64 s[2:3], s20, 0
	v_addc_co_u32_e32 v5, vcc, 0, v5, vcc
	s_and_b64 vcc, exec, s[2:3]
	v_mul_lo_u32 v7, v9, s0
	v_mul_lo_u32 v8, v6, s1
	v_lshlrev_b64 v[4:5], 2, v[4:5]
	s_cbranch_vccnz .LBB42_8
; %bb.5:
	v_mad_u64_u32 v[10:11], s[2:3], v6, s0, 0
	v_add3_u32 v11, v11, v8, v7
	v_lshlrev_b64 v[10:11], 2, v[10:11]
	v_mov_b32_e32 v12, s5
	v_add_co_u32_e32 v10, vcc, s4, v10
	v_addc_co_u32_e32 v11, vcc, v12, v11, vcc
	v_add_co_u32_e32 v10, vcc, v10, v4
	v_mul_f32_e32 v12, s9, v3
	v_addc_co_u32_e32 v11, vcc, v11, v5, vcc
	global_store_dword v[10:11], v12, off
	v_mul_f32_e32 v12, s9, v2
	s_lshl_b64 s[2:3], s[0:1], 6
	global_store_dword v[10:11], v12, off offset:64
	v_mov_b32_e32 v13, s3
	v_add_co_u32_e32 v10, vcc, s2, v10
	v_mul_f32_e32 v12, s9, v1
	v_addc_co_u32_e32 v11, vcc, v11, v13, vcc
	global_store_dword v[10:11], v12, off
	v_mul_f32_e32 v12, s9, v0
	global_store_dword v[10:11], v12, off offset:64
	s_cbranch_execnz .LBB42_7
.LBB42_6:
	s_mul_i32 s2, s8, s17
	s_mul_hi_u32 s3, s8, s16
	s_add_i32 s3, s3, s2
	s_mul_i32 s2, s8, s16
	s_lshl_b64 s[2:3], s[2:3], 2
	s_add_u32 s6, s12, s2
	s_addc_u32 s7, s13, s3
	v_mul_lo_u32 v9, v9, s14
	v_mul_lo_u32 v12, v6, s15
	v_mad_u64_u32 v[10:11], s[2:3], v6, s14, 0
	v_add3_u32 v11, v11, v12, v9
	v_lshlrev_b64 v[10:11], 2, v[10:11]
	v_mov_b32_e32 v9, s7
	v_add_co_u32_e32 v10, vcc, s6, v10
	v_addc_co_u32_e32 v9, vcc, v9, v11, vcc
	v_add_co_u32_e32 v10, vcc, v10, v4
	v_addc_co_u32_e32 v11, vcc, v9, v5, vcc
	global_load_dword v9, v[10:11], off
	v_mad_u64_u32 v[12:13], s[2:3], v6, s0, 0
	v_add3_u32 v13, v13, v8, v7
	v_lshlrev_b64 v[6:7], 2, v[12:13]
	v_mov_b32_e32 v14, s5
	v_add_co_u32_e32 v6, vcc, s4, v6
	v_addc_co_u32_e32 v7, vcc, v14, v7, vcc
	v_add_co_u32_e32 v4, vcc, v6, v4
	v_addc_co_u32_e32 v5, vcc, v7, v5, vcc
	s_lshl_b64 s[2:3], s[14:15], 6
	v_mov_b32_e32 v7, s3
	s_lshl_b64 s[0:1], s[0:1], 6
	s_waitcnt vmcnt(0)
	v_mul_f32_e32 v6, s20, v9
	v_fmac_f32_e32 v6, s9, v3
	global_store_dword v[4:5], v6, off
	global_load_dword v3, v[10:11], off offset:64
	v_add_co_u32_e32 v6, vcc, s2, v10
	v_addc_co_u32_e32 v7, vcc, v11, v7, vcc
	s_waitcnt vmcnt(0)
	v_mul_f32_e32 v3, s20, v3
	v_fmac_f32_e32 v3, s9, v2
	global_store_dword v[4:5], v3, off offset:64
	global_load_dword v2, v[6:7], off
	v_mov_b32_e32 v3, s1
	s_waitcnt vmcnt(0)
	v_mul_f32_e32 v8, s20, v2
	v_add_co_u32_e32 v2, vcc, s0, v4
	v_fmac_f32_e32 v8, s9, v1
	v_addc_co_u32_e32 v3, vcc, v5, v3, vcc
	global_store_dword v[2:3], v8, off
	global_load_dword v1, v[6:7], off offset:64
	s_waitcnt vmcnt(0)
	v_mul_f32_e32 v1, s20, v1
	v_fmac_f32_e32 v1, s9, v0
	global_store_dword v[2:3], v1, off offset:64
.LBB42_7:
	s_endpgm
.LBB42_8:
	s_branch .LBB42_6
	.section	.rodata,"a",@progbits
	.p2align	6, 0x0
	.amdhsa_kernel _ZN12_GLOBAL__N_127rocblas_gemm_batched_kernelIfLi16ELi16ELi32ELi32ELi8ELi32ELi8ELi8ELi32ELc78ELc84EKfS1_fEEvlllT_PT11_llS4_llS2_PT12_llPT13_lli
		.amdhsa_group_segment_fixed_size 2048
		.amdhsa_private_segment_fixed_size 0
		.amdhsa_kernarg_size 140
		.amdhsa_user_sgpr_count 6
		.amdhsa_user_sgpr_private_segment_buffer 1
		.amdhsa_user_sgpr_dispatch_ptr 0
		.amdhsa_user_sgpr_queue_ptr 0
		.amdhsa_user_sgpr_kernarg_segment_ptr 1
		.amdhsa_user_sgpr_dispatch_id 0
		.amdhsa_user_sgpr_flat_scratch_init 0
		.amdhsa_user_sgpr_kernarg_preload_length 0
		.amdhsa_user_sgpr_kernarg_preload_offset 0
		.amdhsa_user_sgpr_private_segment_size 0
		.amdhsa_uses_dynamic_stack 0
		.amdhsa_system_sgpr_private_segment_wavefront_offset 0
		.amdhsa_system_sgpr_workgroup_id_x 1
		.amdhsa_system_sgpr_workgroup_id_y 1
		.amdhsa_system_sgpr_workgroup_id_z 1
		.amdhsa_system_sgpr_workgroup_info 0
		.amdhsa_system_vgpr_workitem_id 1
		.amdhsa_next_free_vgpr 70
		.amdhsa_next_free_sgpr 24
		.amdhsa_accum_offset 72
		.amdhsa_reserve_vcc 1
		.amdhsa_reserve_flat_scratch 0
		.amdhsa_float_round_mode_32 0
		.amdhsa_float_round_mode_16_64 0
		.amdhsa_float_denorm_mode_32 3
		.amdhsa_float_denorm_mode_16_64 3
		.amdhsa_dx10_clamp 1
		.amdhsa_ieee_mode 1
		.amdhsa_fp16_overflow 0
		.amdhsa_tg_split 0
		.amdhsa_exception_fp_ieee_invalid_op 0
		.amdhsa_exception_fp_denorm_src 0
		.amdhsa_exception_fp_ieee_div_zero 0
		.amdhsa_exception_fp_ieee_overflow 0
		.amdhsa_exception_fp_ieee_underflow 0
		.amdhsa_exception_fp_ieee_inexact 0
		.amdhsa_exception_int_div_zero 0
	.end_amdhsa_kernel
	.section	.text._ZN12_GLOBAL__N_127rocblas_gemm_batched_kernelIfLi16ELi16ELi32ELi32ELi8ELi32ELi8ELi8ELi32ELc78ELc84EKfS1_fEEvlllT_PT11_llS4_llS2_PT12_llPT13_lli,"axG",@progbits,_ZN12_GLOBAL__N_127rocblas_gemm_batched_kernelIfLi16ELi16ELi32ELi32ELi8ELi32ELi8ELi8ELi32ELc78ELc84EKfS1_fEEvlllT_PT11_llS4_llS2_PT12_llPT13_lli,comdat
.Lfunc_end42:
	.size	_ZN12_GLOBAL__N_127rocblas_gemm_batched_kernelIfLi16ELi16ELi32ELi32ELi8ELi32ELi8ELi8ELi32ELc78ELc84EKfS1_fEEvlllT_PT11_llS4_llS2_PT12_llPT13_lli, .Lfunc_end42-_ZN12_GLOBAL__N_127rocblas_gemm_batched_kernelIfLi16ELi16ELi32ELi32ELi8ELi32ELi8ELi8ELi32ELc78ELc84EKfS1_fEEvlllT_PT11_llS4_llS2_PT12_llPT13_lli
                                        ; -- End function
	.section	.AMDGPU.csdata,"",@progbits
; Kernel info:
; codeLenInByte = 1488
; NumSgprs: 28
; NumVgprs: 70
; NumAgprs: 0
; TotalNumVgprs: 70
; ScratchSize: 0
; MemoryBound: 0
; FloatMode: 240
; IeeeMode: 1
; LDSByteSize: 2048 bytes/workgroup (compile time only)
; SGPRBlocks: 3
; VGPRBlocks: 8
; NumSGPRsForWavesPerEU: 28
; NumVGPRsForWavesPerEU: 70
; AccumOffset: 72
; Occupancy: 7
; WaveLimiterHint : 0
; COMPUTE_PGM_RSRC2:SCRATCH_EN: 0
; COMPUTE_PGM_RSRC2:USER_SGPR: 6
; COMPUTE_PGM_RSRC2:TRAP_HANDLER: 0
; COMPUTE_PGM_RSRC2:TGID_X_EN: 1
; COMPUTE_PGM_RSRC2:TGID_Y_EN: 1
; COMPUTE_PGM_RSRC2:TGID_Z_EN: 1
; COMPUTE_PGM_RSRC2:TIDIG_COMP_CNT: 1
; COMPUTE_PGM_RSRC3_GFX90A:ACCUM_OFFSET: 17
; COMPUTE_PGM_RSRC3_GFX90A:TG_SPLIT: 0
	.section	.text._ZN12_GLOBAL__N_127rocblas_gemm_batched_kernelIfLi16ELi16ELi32ELi32ELi8ELi32ELi8ELi8ELi32ELc84ELc84EKfS1_fEEvlllT_PT11_llS4_llS2_PT12_llPT13_lli,"axG",@progbits,_ZN12_GLOBAL__N_127rocblas_gemm_batched_kernelIfLi16ELi16ELi32ELi32ELi8ELi32ELi8ELi8ELi32ELc84ELc84EKfS1_fEEvlllT_PT11_llS4_llS2_PT12_llPT13_lli,comdat
	.globl	_ZN12_GLOBAL__N_127rocblas_gemm_batched_kernelIfLi16ELi16ELi32ELi32ELi8ELi32ELi8ELi8ELi32ELc84ELc84EKfS1_fEEvlllT_PT11_llS4_llS2_PT12_llPT13_lli ; -- Begin function _ZN12_GLOBAL__N_127rocblas_gemm_batched_kernelIfLi16ELi16ELi32ELi32ELi8ELi32ELi8ELi8ELi32ELc84ELc84EKfS1_fEEvlllT_PT11_llS4_llS2_PT12_llPT13_lli
	.p2align	8
	.type	_ZN12_GLOBAL__N_127rocblas_gemm_batched_kernelIfLi16ELi16ELi32ELi32ELi8ELi32ELi8ELi8ELi32ELc84ELc84EKfS1_fEEvlllT_PT11_llS4_llS2_PT12_llPT13_lli,@function
_ZN12_GLOBAL__N_127rocblas_gemm_batched_kernelIfLi16ELi16ELi32ELi32ELi8ELi32ELi8ELi8ELi32ELc84ELc84EKfS1_fEEvlllT_PT11_llS4_llS2_PT12_llPT13_lli: ; @_ZN12_GLOBAL__N_127rocblas_gemm_batched_kernelIfLi16ELi16ELi32ELi32ELi8ELi32ELi8ELi8ELi32ELc84ELc84EKfS1_fEEvlllT_PT11_llS4_llS2_PT12_llPT13_lli
; %bb.0:
	s_load_dwordx2 s[20:21], s[4:5], 0x10
	s_mov_b32 s0, s7
	s_ashr_i32 s1, s0, 31
	s_ashr_i32 s7, s6, 31
	s_lshl_b64 s[10:11], s[0:1], 5
	s_waitcnt lgkmcnt(0)
	v_cmp_lt_i64_e64 s[0:1], s[20:21], 1
	v_bfe_u32 v11, v0, 10, 10
	v_and_b32_e32 v10, 0x3ff, v0
	s_lshl_b64 s[6:7], s[6:7], 5
	s_and_b64 vcc, exec, s[0:1]
	s_cbranch_vccnz .LBB43_3
; %bb.1:
	v_lshl_add_u32 v2, v11, 4, v10
	s_load_dwordx8 s[12:19], s[4:5], 0x20
	s_load_dwordx4 s[0:3], s[4:5], 0x40
	v_and_b32_e32 v6, 31, v2
	v_lshrrev_b32_e32 v0, 3, v2
	v_and_b32_e32 v4, 7, v10
	v_lshrrev_b32_e32 v7, 5, v2
	v_lshlrev_b32_e32 v2, 2, v6
	v_lshl_or_b32 v12, v7, 7, v2
	v_lshlrev_b32_e32 v2, 2, v4
	v_lshl_or_b32 v2, v0, 5, v2
	v_mov_b32_e32 v1, 0
	v_add_u32_e32 v13, 0x400, v2
	v_mov_b32_e32 v2, 0x400
	v_lshl_add_u32 v15, v11, 5, v2
	s_waitcnt lgkmcnt(0)
	v_mad_u64_u32 v[2:3], s[22:23], v4, s0, v[0:1]
	s_mul_i32 s3, s3, s8
	s_mul_hi_u32 s9, s2, s8
	v_mov_b32_e32 v0, v3
	s_add_i32 s3, s9, s3
	s_mul_i32 s2, s2, s8
	v_mad_u64_u32 v[4:5], s[22:23], v4, s1, v[0:1]
	s_lshl_b64 s[2:3], s[2:3], 2
	v_mov_b32_e32 v3, v4
	v_mov_b32_e32 v0, s11
	v_add_co_u32_e32 v2, vcc, s10, v2
	v_addc_co_u32_e32 v3, vcc, v3, v0, vcc
	s_add_u32 s2, s18, s2
	v_lshlrev_b64 v[2:3], 2, v[2:3]
	s_addc_u32 s3, s19, s3
	v_mov_b32_e32 v0, s3
	v_add_co_u32_e32 v4, vcc, s2, v2
	v_addc_co_u32_e32 v5, vcc, v0, v3, vcc
	v_mov_b32_e32 v0, s7
	v_add_co_u32_e32 v2, vcc, s6, v6
	v_addc_co_u32_e32 v0, vcc, 0, v0, vcc
	v_mul_lo_u32 v6, s15, v2
	v_mad_u64_u32 v[2:3], s[2:3], s14, v2, 0
	v_mul_lo_u32 v0, s14, v0
	s_mul_i32 s2, s17, s8
	s_mul_hi_u32 s3, s16, s8
	v_add3_u32 v3, v3, v0, v6
	s_add_i32 s3, s3, s2
	s_mul_i32 s2, s16, s8
	v_lshlrev_b64 v[2:3], 2, v[2:3]
	s_lshl_b64 s[2:3], s[2:3], 2
	v_mov_b32_e32 v0, s3
	v_add_co_u32_e32 v2, vcc, s2, v2
	v_addc_co_u32_e32 v0, vcc, v3, v0, vcc
	v_lshlrev_b32_e32 v3, 2, v7
	v_add_co_u32_e32 v2, vcc, v2, v3
	v_addc_co_u32_e32 v0, vcc, 0, v0, vcc
	s_lshl_b64 s[0:1], s[0:1], 5
	v_mov_b32_e32 v3, s13
	v_add_co_u32_e32 v6, vcc, s12, v2
	v_lshlrev_b32_e32 v14, 2, v10
	v_addc_co_u32_e32 v7, vcc, v3, v0, vcc
	s_mov_b64 s[2:3], 0
	v_mov_b32_e32 v16, s1
	v_pk_mov_b32 v[8:9], s[20:21], s[20:21] op_sel:[0,1]
	v_mov_b32_e32 v0, v1
	v_mov_b32_e32 v2, v1
	;; [unrolled: 1-line block ×3, first 2 shown]
.LBB43_2:                               ; =>This Inner Loop Header: Depth=1
	global_load_dword v17, v[6:7], off
	global_load_dword v18, v[4:5], off
	v_add_co_u32_e32 v4, vcc, s0, v4
	v_addc_co_u32_e32 v5, vcc, v5, v16, vcc
	s_add_u32 s2, s2, 8
	v_add_co_u32_e32 v6, vcc, 32, v6
	v_addc_co_u32_e32 v7, vcc, 0, v7, vcc
	s_addc_u32 s3, s3, 0
	v_cmp_lt_i64_e32 vcc, s[2:3], v[8:9]
	s_and_b64 vcc, exec, vcc
	s_waitcnt vmcnt(1)
	ds_write_b32 v12, v17
	s_waitcnt vmcnt(0)
	ds_write_b32 v13, v18
	s_waitcnt lgkmcnt(0)
	s_barrier
	ds_read2_b32 v[34:35], v14 offset1:16
	ds_read2_b32 v[36:37], v14 offset0:32 offset1:48
	ds_read_b128 v[18:21], v15
	ds_read_b128 v[22:25], v15 offset:16
	ds_read2_b32 v[38:39], v14 offset0:64 offset1:80
	ds_read2_b32 v[40:41], v14 offset0:96 offset1:112
	;; [unrolled: 1-line block ×4, first 2 shown]
	ds_read_b128 v[26:29], v15 offset:512
	ds_read_b128 v[30:33], v15 offset:528
	ds_read2_b32 v[46:47], v14 offset0:192 offset1:208
	s_waitcnt lgkmcnt(10)
	v_mov_b32_e32 v50, v35
	s_waitcnt lgkmcnt(9)
	v_mov_b32_e32 v51, v37
	s_waitcnt lgkmcnt(8)
	v_mul_f32_e32 v49, v34, v18
	v_mul_f32_e32 v35, v36, v19
	s_waitcnt lgkmcnt(5)
	v_mov_b32_e32 v53, v41
	v_pk_mul_f32 v[18:19], v[50:51], v[18:19]
	ds_read2_b32 v[54:55], v14 offset0:224 offset1:240
	s_waitcnt lgkmcnt(3)
	v_mul_f32_e32 v41, v34, v26
	v_mul_f32_e32 v57, v36, v27
	v_pk_mul_f32 v[26:27], v[50:51], v[26:27]
	v_mov_b32_e32 v52, v39
	v_mul_f32_e32 v39, v40, v21
	v_mul_f32_e32 v61, v40, v29
	v_mov_b32_e32 v48, v18
	v_mov_b32_e32 v40, v26
	v_mul_f32_e32 v37, v38, v20
	v_pk_mul_f32 v[20:21], v[52:53], v[20:21]
	v_mul_f32_e32 v59, v38, v28
	v_pk_mul_f32 v[28:29], v[52:53], v[28:29]
	v_mov_b32_e32 v34, v19
	v_mov_b32_e32 v56, v27
	v_pk_add_f32 v[2:3], v[2:3], v[48:49]
	v_pk_add_f32 v[0:1], v[0:1], v[40:41]
	v_mov_b32_e32 v50, v43
	v_mov_b32_e32 v51, v45
	v_mov_b32_e32 v36, v20
	v_mov_b32_e32 v58, v28
	v_pk_add_f32 v[2:3], v[2:3], v[34:35]
	v_pk_add_f32 v[0:1], v[0:1], v[56:57]
	v_mul_f32_e32 v43, v42, v22
	v_mul_f32_e32 v45, v44, v23
	v_pk_mul_f32 v[22:23], v[50:51], v[22:23]
	s_waitcnt lgkmcnt(2)
	v_mul_f32_e32 v63, v42, v30
	v_mul_f32_e32 v65, v44, v31
	v_pk_mul_f32 v[30:31], v[50:51], v[30:31]
	v_mov_b32_e32 v38, v21
	v_mov_b32_e32 v60, v29
	v_pk_add_f32 v[2:3], v[2:3], v[36:37]
	v_pk_add_f32 v[0:1], v[0:1], v[58:59]
	s_waitcnt lgkmcnt(1)
	v_mov_b32_e32 v52, v47
	s_waitcnt lgkmcnt(0)
	v_mov_b32_e32 v53, v55
	v_mov_b32_e32 v42, v22
	;; [unrolled: 1-line block ×3, first 2 shown]
	v_pk_add_f32 v[2:3], v[2:3], v[38:39]
	v_pk_add_f32 v[0:1], v[0:1], v[60:61]
	v_mul_f32_e32 v47, v46, v24
	v_mul_f32_e32 v55, v54, v25
	v_pk_mul_f32 v[24:25], v[52:53], v[24:25]
	v_mul_f32_e32 v67, v46, v32
	v_mul_f32_e32 v69, v54, v33
	v_pk_mul_f32 v[32:33], v[52:53], v[32:33]
	v_mov_b32_e32 v44, v23
	v_mov_b32_e32 v64, v31
	v_pk_add_f32 v[2:3], v[2:3], v[42:43]
	v_pk_add_f32 v[0:1], v[0:1], v[62:63]
	v_mov_b32_e32 v46, v24
	v_mov_b32_e32 v66, v32
	v_pk_add_f32 v[2:3], v[2:3], v[44:45]
	v_pk_add_f32 v[0:1], v[0:1], v[64:65]
	;; [unrolled: 4-line block ×3, first 2 shown]
	v_pk_add_f32 v[2:3], v[2:3], v[54:55]
	v_pk_add_f32 v[0:1], v[0:1], v[68:69]
	s_barrier
	s_cbranch_vccnz .LBB43_2
	s_branch .LBB43_4
.LBB43_3:
	v_mov_b32_e32 v3, 0
	v_mov_b32_e32 v2, v3
	;; [unrolled: 1-line block ×4, first 2 shown]
.LBB43_4:
	s_load_dwordx4 s[0:3], s[4:5], 0x78
	s_load_dword s9, s[4:5], 0x18
	s_load_dword s20, s[4:5], 0x50
	s_load_dwordx8 s[12:19], s[4:5], 0x58
	v_mov_b32_e32 v4, s11
	s_waitcnt lgkmcnt(0)
	s_mul_i32 s3, s8, s3
	s_mul_hi_u32 s4, s8, s2
	s_add_i32 s3, s4, s3
	s_mul_i32 s2, s8, s2
	v_add_co_u32_e32 v6, vcc, s10, v11
	s_lshl_b64 s[2:3], s[2:3], 2
	v_addc_co_u32_e32 v9, vcc, 0, v4, vcc
	s_add_u32 s4, s18, s2
	v_mov_b32_e32 v5, s7
	v_add_co_u32_e32 v4, vcc, s6, v10
	s_addc_u32 s5, s19, s3
	v_cmp_neq_f32_e64 s[2:3], s20, 0
	v_addc_co_u32_e32 v5, vcc, 0, v5, vcc
	s_and_b64 vcc, exec, s[2:3]
	v_mul_lo_u32 v7, v9, s0
	v_mul_lo_u32 v8, v6, s1
	v_lshlrev_b64 v[4:5], 2, v[4:5]
	s_cbranch_vccnz .LBB43_8
; %bb.5:
	v_mad_u64_u32 v[10:11], s[2:3], v6, s0, 0
	v_add3_u32 v11, v11, v8, v7
	v_lshlrev_b64 v[10:11], 2, v[10:11]
	v_mov_b32_e32 v12, s5
	v_add_co_u32_e32 v10, vcc, s4, v10
	v_addc_co_u32_e32 v11, vcc, v12, v11, vcc
	v_add_co_u32_e32 v10, vcc, v10, v4
	v_mul_f32_e32 v12, s9, v3
	v_addc_co_u32_e32 v11, vcc, v11, v5, vcc
	global_store_dword v[10:11], v12, off
	v_mul_f32_e32 v12, s9, v2
	s_lshl_b64 s[2:3], s[0:1], 6
	global_store_dword v[10:11], v12, off offset:64
	v_mov_b32_e32 v13, s3
	v_add_co_u32_e32 v10, vcc, s2, v10
	v_mul_f32_e32 v12, s9, v1
	v_addc_co_u32_e32 v11, vcc, v11, v13, vcc
	global_store_dword v[10:11], v12, off
	v_mul_f32_e32 v12, s9, v0
	global_store_dword v[10:11], v12, off offset:64
	s_cbranch_execnz .LBB43_7
.LBB43_6:
	s_mul_i32 s2, s8, s17
	s_mul_hi_u32 s3, s8, s16
	s_add_i32 s3, s3, s2
	s_mul_i32 s2, s8, s16
	s_lshl_b64 s[2:3], s[2:3], 2
	s_add_u32 s6, s12, s2
	s_addc_u32 s7, s13, s3
	v_mul_lo_u32 v9, v9, s14
	v_mul_lo_u32 v12, v6, s15
	v_mad_u64_u32 v[10:11], s[2:3], v6, s14, 0
	v_add3_u32 v11, v11, v12, v9
	v_lshlrev_b64 v[10:11], 2, v[10:11]
	v_mov_b32_e32 v9, s7
	v_add_co_u32_e32 v10, vcc, s6, v10
	v_addc_co_u32_e32 v9, vcc, v9, v11, vcc
	v_add_co_u32_e32 v10, vcc, v10, v4
	v_addc_co_u32_e32 v11, vcc, v9, v5, vcc
	global_load_dword v9, v[10:11], off
	v_mad_u64_u32 v[12:13], s[2:3], v6, s0, 0
	v_add3_u32 v13, v13, v8, v7
	v_lshlrev_b64 v[6:7], 2, v[12:13]
	v_mov_b32_e32 v14, s5
	v_add_co_u32_e32 v6, vcc, s4, v6
	v_addc_co_u32_e32 v7, vcc, v14, v7, vcc
	v_add_co_u32_e32 v4, vcc, v6, v4
	v_addc_co_u32_e32 v5, vcc, v7, v5, vcc
	s_lshl_b64 s[2:3], s[14:15], 6
	v_mov_b32_e32 v7, s3
	s_lshl_b64 s[0:1], s[0:1], 6
	s_waitcnt vmcnt(0)
	v_mul_f32_e32 v6, s20, v9
	v_fmac_f32_e32 v6, s9, v3
	global_store_dword v[4:5], v6, off
	global_load_dword v3, v[10:11], off offset:64
	v_add_co_u32_e32 v6, vcc, s2, v10
	v_addc_co_u32_e32 v7, vcc, v11, v7, vcc
	s_waitcnt vmcnt(0)
	v_mul_f32_e32 v3, s20, v3
	v_fmac_f32_e32 v3, s9, v2
	global_store_dword v[4:5], v3, off offset:64
	global_load_dword v2, v[6:7], off
	v_mov_b32_e32 v3, s1
	s_waitcnt vmcnt(0)
	v_mul_f32_e32 v8, s20, v2
	v_add_co_u32_e32 v2, vcc, s0, v4
	v_fmac_f32_e32 v8, s9, v1
	v_addc_co_u32_e32 v3, vcc, v5, v3, vcc
	global_store_dword v[2:3], v8, off
	global_load_dword v1, v[6:7], off offset:64
	s_waitcnt vmcnt(0)
	v_mul_f32_e32 v1, s20, v1
	v_fmac_f32_e32 v1, s9, v0
	global_store_dword v[2:3], v1, off offset:64
.LBB43_7:
	s_endpgm
.LBB43_8:
	s_branch .LBB43_6
	.section	.rodata,"a",@progbits
	.p2align	6, 0x0
	.amdhsa_kernel _ZN12_GLOBAL__N_127rocblas_gemm_batched_kernelIfLi16ELi16ELi32ELi32ELi8ELi32ELi8ELi8ELi32ELc84ELc84EKfS1_fEEvlllT_PT11_llS4_llS2_PT12_llPT13_lli
		.amdhsa_group_segment_fixed_size 2048
		.amdhsa_private_segment_fixed_size 0
		.amdhsa_kernarg_size 140
		.amdhsa_user_sgpr_count 6
		.amdhsa_user_sgpr_private_segment_buffer 1
		.amdhsa_user_sgpr_dispatch_ptr 0
		.amdhsa_user_sgpr_queue_ptr 0
		.amdhsa_user_sgpr_kernarg_segment_ptr 1
		.amdhsa_user_sgpr_dispatch_id 0
		.amdhsa_user_sgpr_flat_scratch_init 0
		.amdhsa_user_sgpr_kernarg_preload_length 0
		.amdhsa_user_sgpr_kernarg_preload_offset 0
		.amdhsa_user_sgpr_private_segment_size 0
		.amdhsa_uses_dynamic_stack 0
		.amdhsa_system_sgpr_private_segment_wavefront_offset 0
		.amdhsa_system_sgpr_workgroup_id_x 1
		.amdhsa_system_sgpr_workgroup_id_y 1
		.amdhsa_system_sgpr_workgroup_id_z 1
		.amdhsa_system_sgpr_workgroup_info 0
		.amdhsa_system_vgpr_workitem_id 1
		.amdhsa_next_free_vgpr 70
		.amdhsa_next_free_sgpr 24
		.amdhsa_accum_offset 72
		.amdhsa_reserve_vcc 1
		.amdhsa_reserve_flat_scratch 0
		.amdhsa_float_round_mode_32 0
		.amdhsa_float_round_mode_16_64 0
		.amdhsa_float_denorm_mode_32 3
		.amdhsa_float_denorm_mode_16_64 3
		.amdhsa_dx10_clamp 1
		.amdhsa_ieee_mode 1
		.amdhsa_fp16_overflow 0
		.amdhsa_tg_split 0
		.amdhsa_exception_fp_ieee_invalid_op 0
		.amdhsa_exception_fp_denorm_src 0
		.amdhsa_exception_fp_ieee_div_zero 0
		.amdhsa_exception_fp_ieee_overflow 0
		.amdhsa_exception_fp_ieee_underflow 0
		.amdhsa_exception_fp_ieee_inexact 0
		.amdhsa_exception_int_div_zero 0
	.end_amdhsa_kernel
	.section	.text._ZN12_GLOBAL__N_127rocblas_gemm_batched_kernelIfLi16ELi16ELi32ELi32ELi8ELi32ELi8ELi8ELi32ELc84ELc84EKfS1_fEEvlllT_PT11_llS4_llS2_PT12_llPT13_lli,"axG",@progbits,_ZN12_GLOBAL__N_127rocblas_gemm_batched_kernelIfLi16ELi16ELi32ELi32ELi8ELi32ELi8ELi8ELi32ELc84ELc84EKfS1_fEEvlllT_PT11_llS4_llS2_PT12_llPT13_lli,comdat
.Lfunc_end43:
	.size	_ZN12_GLOBAL__N_127rocblas_gemm_batched_kernelIfLi16ELi16ELi32ELi32ELi8ELi32ELi8ELi8ELi32ELc84ELc84EKfS1_fEEvlllT_PT11_llS4_llS2_PT12_llPT13_lli, .Lfunc_end43-_ZN12_GLOBAL__N_127rocblas_gemm_batched_kernelIfLi16ELi16ELi32ELi32ELi8ELi32ELi8ELi8ELi32ELc84ELc84EKfS1_fEEvlllT_PT11_llS4_llS2_PT12_llPT13_lli
                                        ; -- End function
	.section	.AMDGPU.csdata,"",@progbits
; Kernel info:
; codeLenInByte = 1500
; NumSgprs: 28
; NumVgprs: 70
; NumAgprs: 0
; TotalNumVgprs: 70
; ScratchSize: 0
; MemoryBound: 0
; FloatMode: 240
; IeeeMode: 1
; LDSByteSize: 2048 bytes/workgroup (compile time only)
; SGPRBlocks: 3
; VGPRBlocks: 8
; NumSGPRsForWavesPerEU: 28
; NumVGPRsForWavesPerEU: 70
; AccumOffset: 72
; Occupancy: 7
; WaveLimiterHint : 0
; COMPUTE_PGM_RSRC2:SCRATCH_EN: 0
; COMPUTE_PGM_RSRC2:USER_SGPR: 6
; COMPUTE_PGM_RSRC2:TRAP_HANDLER: 0
; COMPUTE_PGM_RSRC2:TGID_X_EN: 1
; COMPUTE_PGM_RSRC2:TGID_Y_EN: 1
; COMPUTE_PGM_RSRC2:TGID_Z_EN: 1
; COMPUTE_PGM_RSRC2:TIDIG_COMP_CNT: 1
; COMPUTE_PGM_RSRC3_GFX90A:ACCUM_OFFSET: 17
; COMPUTE_PGM_RSRC3_GFX90A:TG_SPLIT: 0
	.section	.text._ZN12_GLOBAL__N_127rocblas_gemm_batched_kernelIfLi16ELi16ELi32ELi32ELi8ELi32ELi8ELi8ELi32ELc67ELc67EKfS1_fEEvlllT_PT11_llS4_llS2_PT12_llPT13_lli,"axG",@progbits,_ZN12_GLOBAL__N_127rocblas_gemm_batched_kernelIfLi16ELi16ELi32ELi32ELi8ELi32ELi8ELi8ELi32ELc67ELc67EKfS1_fEEvlllT_PT11_llS4_llS2_PT12_llPT13_lli,comdat
	.globl	_ZN12_GLOBAL__N_127rocblas_gemm_batched_kernelIfLi16ELi16ELi32ELi32ELi8ELi32ELi8ELi8ELi32ELc67ELc67EKfS1_fEEvlllT_PT11_llS4_llS2_PT12_llPT13_lli ; -- Begin function _ZN12_GLOBAL__N_127rocblas_gemm_batched_kernelIfLi16ELi16ELi32ELi32ELi8ELi32ELi8ELi8ELi32ELc67ELc67EKfS1_fEEvlllT_PT11_llS4_llS2_PT12_llPT13_lli
	.p2align	8
	.type	_ZN12_GLOBAL__N_127rocblas_gemm_batched_kernelIfLi16ELi16ELi32ELi32ELi8ELi32ELi8ELi8ELi32ELc67ELc67EKfS1_fEEvlllT_PT11_llS4_llS2_PT12_llPT13_lli,@function
_ZN12_GLOBAL__N_127rocblas_gemm_batched_kernelIfLi16ELi16ELi32ELi32ELi8ELi32ELi8ELi8ELi32ELc67ELc67EKfS1_fEEvlllT_PT11_llS4_llS2_PT12_llPT13_lli: ; @_ZN12_GLOBAL__N_127rocblas_gemm_batched_kernelIfLi16ELi16ELi32ELi32ELi8ELi32ELi8ELi8ELi32ELc67ELc67EKfS1_fEEvlllT_PT11_llS4_llS2_PT12_llPT13_lli
; %bb.0:
	s_load_dwordx2 s[20:21], s[4:5], 0x10
	s_mov_b32 s0, s7
	s_ashr_i32 s1, s0, 31
	s_ashr_i32 s7, s6, 31
	s_lshl_b64 s[10:11], s[0:1], 5
	s_waitcnt lgkmcnt(0)
	v_cmp_lt_i64_e64 s[0:1], s[20:21], 1
	v_bfe_u32 v11, v0, 10, 10
	v_and_b32_e32 v10, 0x3ff, v0
	s_lshl_b64 s[6:7], s[6:7], 5
	s_and_b64 vcc, exec, s[0:1]
	s_cbranch_vccnz .LBB44_3
; %bb.1:
	v_lshl_add_u32 v2, v11, 4, v10
	s_load_dwordx8 s[12:19], s[4:5], 0x20
	s_load_dwordx4 s[0:3], s[4:5], 0x40
	v_and_b32_e32 v6, 31, v2
	v_lshrrev_b32_e32 v0, 3, v2
	v_and_b32_e32 v4, 7, v10
	v_lshrrev_b32_e32 v7, 5, v2
	v_lshlrev_b32_e32 v2, 2, v6
	v_lshl_or_b32 v12, v7, 7, v2
	v_lshlrev_b32_e32 v2, 2, v4
	v_lshl_or_b32 v2, v0, 5, v2
	v_mov_b32_e32 v1, 0
	v_add_u32_e32 v13, 0x400, v2
	v_mov_b32_e32 v2, 0x400
	v_lshl_add_u32 v15, v11, 5, v2
	s_waitcnt lgkmcnt(0)
	v_mad_u64_u32 v[2:3], s[22:23], v4, s0, v[0:1]
	s_mul_i32 s3, s3, s8
	s_mul_hi_u32 s9, s2, s8
	v_mov_b32_e32 v0, v3
	s_add_i32 s3, s9, s3
	s_mul_i32 s2, s2, s8
	v_mad_u64_u32 v[4:5], s[22:23], v4, s1, v[0:1]
	s_lshl_b64 s[2:3], s[2:3], 2
	v_mov_b32_e32 v3, v4
	v_mov_b32_e32 v0, s11
	v_add_co_u32_e32 v2, vcc, s10, v2
	v_addc_co_u32_e32 v3, vcc, v3, v0, vcc
	s_add_u32 s2, s18, s2
	v_lshlrev_b64 v[2:3], 2, v[2:3]
	s_addc_u32 s3, s19, s3
	v_mov_b32_e32 v0, s3
	v_add_co_u32_e32 v4, vcc, s2, v2
	v_addc_co_u32_e32 v5, vcc, v0, v3, vcc
	v_mov_b32_e32 v0, s7
	v_add_co_u32_e32 v2, vcc, s6, v6
	v_addc_co_u32_e32 v0, vcc, 0, v0, vcc
	v_mul_lo_u32 v6, s15, v2
	v_mad_u64_u32 v[2:3], s[2:3], s14, v2, 0
	v_mul_lo_u32 v0, s14, v0
	s_mul_i32 s2, s17, s8
	s_mul_hi_u32 s3, s16, s8
	v_add3_u32 v3, v3, v0, v6
	s_add_i32 s3, s3, s2
	s_mul_i32 s2, s16, s8
	v_lshlrev_b64 v[2:3], 2, v[2:3]
	s_lshl_b64 s[2:3], s[2:3], 2
	v_mov_b32_e32 v0, s3
	v_add_co_u32_e32 v2, vcc, s2, v2
	v_addc_co_u32_e32 v0, vcc, v3, v0, vcc
	v_lshlrev_b32_e32 v3, 2, v7
	v_add_co_u32_e32 v2, vcc, v2, v3
	v_addc_co_u32_e32 v0, vcc, 0, v0, vcc
	s_lshl_b64 s[0:1], s[0:1], 5
	v_mov_b32_e32 v3, s13
	v_add_co_u32_e32 v6, vcc, s12, v2
	v_lshlrev_b32_e32 v14, 2, v10
	v_addc_co_u32_e32 v7, vcc, v3, v0, vcc
	s_mov_b64 s[2:3], 0
	v_mov_b32_e32 v16, s1
	v_pk_mov_b32 v[8:9], s[20:21], s[20:21] op_sel:[0,1]
	v_mov_b32_e32 v0, v1
	v_mov_b32_e32 v2, v1
	;; [unrolled: 1-line block ×3, first 2 shown]
.LBB44_2:                               ; =>This Inner Loop Header: Depth=1
	global_load_dword v17, v[6:7], off
	global_load_dword v18, v[4:5], off
	v_add_co_u32_e32 v4, vcc, s0, v4
	v_addc_co_u32_e32 v5, vcc, v5, v16, vcc
	s_add_u32 s2, s2, 8
	v_add_co_u32_e32 v6, vcc, 32, v6
	v_addc_co_u32_e32 v7, vcc, 0, v7, vcc
	s_addc_u32 s3, s3, 0
	v_cmp_lt_i64_e32 vcc, s[2:3], v[8:9]
	s_and_b64 vcc, exec, vcc
	s_waitcnt vmcnt(1)
	ds_write_b32 v12, v17
	s_waitcnt vmcnt(0)
	ds_write_b32 v13, v18
	s_waitcnt lgkmcnt(0)
	s_barrier
	ds_read2_b32 v[34:35], v14 offset1:16
	ds_read2_b32 v[36:37], v14 offset0:32 offset1:48
	ds_read_b128 v[18:21], v15
	ds_read_b128 v[22:25], v15 offset:16
	ds_read2_b32 v[38:39], v14 offset0:64 offset1:80
	ds_read2_b32 v[40:41], v14 offset0:96 offset1:112
	;; [unrolled: 1-line block ×4, first 2 shown]
	ds_read_b128 v[26:29], v15 offset:512
	ds_read_b128 v[30:33], v15 offset:528
	ds_read2_b32 v[46:47], v14 offset0:192 offset1:208
	s_waitcnt lgkmcnt(10)
	v_mov_b32_e32 v50, v35
	s_waitcnt lgkmcnt(9)
	v_mov_b32_e32 v51, v37
	s_waitcnt lgkmcnt(8)
	v_mul_f32_e32 v49, v34, v18
	v_mul_f32_e32 v35, v36, v19
	s_waitcnt lgkmcnt(5)
	v_mov_b32_e32 v53, v41
	v_pk_mul_f32 v[18:19], v[50:51], v[18:19]
	ds_read2_b32 v[54:55], v14 offset0:224 offset1:240
	s_waitcnt lgkmcnt(3)
	v_mul_f32_e32 v41, v34, v26
	v_mul_f32_e32 v57, v36, v27
	v_pk_mul_f32 v[26:27], v[50:51], v[26:27]
	v_mov_b32_e32 v52, v39
	v_mul_f32_e32 v39, v40, v21
	v_mul_f32_e32 v61, v40, v29
	v_mov_b32_e32 v48, v18
	v_mov_b32_e32 v40, v26
	v_mul_f32_e32 v37, v38, v20
	v_pk_mul_f32 v[20:21], v[52:53], v[20:21]
	v_mul_f32_e32 v59, v38, v28
	v_pk_mul_f32 v[28:29], v[52:53], v[28:29]
	v_mov_b32_e32 v34, v19
	v_mov_b32_e32 v56, v27
	v_pk_add_f32 v[2:3], v[2:3], v[48:49]
	v_pk_add_f32 v[0:1], v[0:1], v[40:41]
	v_mov_b32_e32 v50, v43
	v_mov_b32_e32 v51, v45
	;; [unrolled: 1-line block ×4, first 2 shown]
	v_pk_add_f32 v[2:3], v[2:3], v[34:35]
	v_pk_add_f32 v[0:1], v[0:1], v[56:57]
	v_mul_f32_e32 v43, v42, v22
	v_mul_f32_e32 v45, v44, v23
	v_pk_mul_f32 v[22:23], v[50:51], v[22:23]
	s_waitcnt lgkmcnt(2)
	v_mul_f32_e32 v63, v42, v30
	v_mul_f32_e32 v65, v44, v31
	v_pk_mul_f32 v[30:31], v[50:51], v[30:31]
	v_mov_b32_e32 v38, v21
	v_mov_b32_e32 v60, v29
	v_pk_add_f32 v[2:3], v[2:3], v[36:37]
	v_pk_add_f32 v[0:1], v[0:1], v[58:59]
	s_waitcnt lgkmcnt(1)
	v_mov_b32_e32 v52, v47
	s_waitcnt lgkmcnt(0)
	v_mov_b32_e32 v53, v55
	v_mov_b32_e32 v42, v22
	;; [unrolled: 1-line block ×3, first 2 shown]
	v_pk_add_f32 v[2:3], v[2:3], v[38:39]
	v_pk_add_f32 v[0:1], v[0:1], v[60:61]
	v_mul_f32_e32 v47, v46, v24
	v_mul_f32_e32 v55, v54, v25
	v_pk_mul_f32 v[24:25], v[52:53], v[24:25]
	v_mul_f32_e32 v67, v46, v32
	v_mul_f32_e32 v69, v54, v33
	v_pk_mul_f32 v[32:33], v[52:53], v[32:33]
	v_mov_b32_e32 v44, v23
	v_mov_b32_e32 v64, v31
	v_pk_add_f32 v[2:3], v[2:3], v[42:43]
	v_pk_add_f32 v[0:1], v[0:1], v[62:63]
	v_mov_b32_e32 v46, v24
	v_mov_b32_e32 v66, v32
	v_pk_add_f32 v[2:3], v[2:3], v[44:45]
	v_pk_add_f32 v[0:1], v[0:1], v[64:65]
	;; [unrolled: 4-line block ×3, first 2 shown]
	v_pk_add_f32 v[2:3], v[2:3], v[54:55]
	v_pk_add_f32 v[0:1], v[0:1], v[68:69]
	s_barrier
	s_cbranch_vccnz .LBB44_2
	s_branch .LBB44_4
.LBB44_3:
	v_mov_b32_e32 v3, 0
	v_mov_b32_e32 v2, v3
	;; [unrolled: 1-line block ×4, first 2 shown]
.LBB44_4:
	s_load_dwordx4 s[0:3], s[4:5], 0x78
	s_load_dword s9, s[4:5], 0x18
	s_load_dword s20, s[4:5], 0x50
	s_load_dwordx8 s[12:19], s[4:5], 0x58
	v_mov_b32_e32 v4, s11
	s_waitcnt lgkmcnt(0)
	s_mul_i32 s3, s8, s3
	s_mul_hi_u32 s4, s8, s2
	s_add_i32 s3, s4, s3
	s_mul_i32 s2, s8, s2
	v_add_co_u32_e32 v6, vcc, s10, v11
	s_lshl_b64 s[2:3], s[2:3], 2
	v_addc_co_u32_e32 v9, vcc, 0, v4, vcc
	s_add_u32 s4, s18, s2
	v_mov_b32_e32 v5, s7
	v_add_co_u32_e32 v4, vcc, s6, v10
	s_addc_u32 s5, s19, s3
	v_cmp_neq_f32_e64 s[2:3], s20, 0
	v_addc_co_u32_e32 v5, vcc, 0, v5, vcc
	s_and_b64 vcc, exec, s[2:3]
	v_mul_lo_u32 v7, v9, s0
	v_mul_lo_u32 v8, v6, s1
	v_lshlrev_b64 v[4:5], 2, v[4:5]
	s_cbranch_vccnz .LBB44_8
; %bb.5:
	v_mad_u64_u32 v[10:11], s[2:3], v6, s0, 0
	v_add3_u32 v11, v11, v8, v7
	v_lshlrev_b64 v[10:11], 2, v[10:11]
	v_mov_b32_e32 v12, s5
	v_add_co_u32_e32 v10, vcc, s4, v10
	v_addc_co_u32_e32 v11, vcc, v12, v11, vcc
	v_add_co_u32_e32 v10, vcc, v10, v4
	v_mul_f32_e32 v12, s9, v3
	v_addc_co_u32_e32 v11, vcc, v11, v5, vcc
	global_store_dword v[10:11], v12, off
	v_mul_f32_e32 v12, s9, v2
	s_lshl_b64 s[2:3], s[0:1], 6
	global_store_dword v[10:11], v12, off offset:64
	v_mov_b32_e32 v13, s3
	v_add_co_u32_e32 v10, vcc, s2, v10
	v_mul_f32_e32 v12, s9, v1
	v_addc_co_u32_e32 v11, vcc, v11, v13, vcc
	global_store_dword v[10:11], v12, off
	v_mul_f32_e32 v12, s9, v0
	global_store_dword v[10:11], v12, off offset:64
	s_cbranch_execnz .LBB44_7
.LBB44_6:
	s_mul_i32 s2, s8, s17
	s_mul_hi_u32 s3, s8, s16
	s_add_i32 s3, s3, s2
	s_mul_i32 s2, s8, s16
	s_lshl_b64 s[2:3], s[2:3], 2
	s_add_u32 s6, s12, s2
	s_addc_u32 s7, s13, s3
	v_mul_lo_u32 v9, v9, s14
	v_mul_lo_u32 v12, v6, s15
	v_mad_u64_u32 v[10:11], s[2:3], v6, s14, 0
	v_add3_u32 v11, v11, v12, v9
	v_lshlrev_b64 v[10:11], 2, v[10:11]
	v_mov_b32_e32 v9, s7
	v_add_co_u32_e32 v10, vcc, s6, v10
	v_addc_co_u32_e32 v9, vcc, v9, v11, vcc
	v_add_co_u32_e32 v10, vcc, v10, v4
	v_addc_co_u32_e32 v11, vcc, v9, v5, vcc
	global_load_dword v9, v[10:11], off
	v_mad_u64_u32 v[12:13], s[2:3], v6, s0, 0
	v_add3_u32 v13, v13, v8, v7
	v_lshlrev_b64 v[6:7], 2, v[12:13]
	v_mov_b32_e32 v14, s5
	v_add_co_u32_e32 v6, vcc, s4, v6
	v_addc_co_u32_e32 v7, vcc, v14, v7, vcc
	v_add_co_u32_e32 v4, vcc, v6, v4
	v_addc_co_u32_e32 v5, vcc, v7, v5, vcc
	s_lshl_b64 s[2:3], s[14:15], 6
	v_mov_b32_e32 v7, s3
	s_lshl_b64 s[0:1], s[0:1], 6
	s_waitcnt vmcnt(0)
	v_mul_f32_e32 v6, s20, v9
	v_fmac_f32_e32 v6, s9, v3
	global_store_dword v[4:5], v6, off
	global_load_dword v3, v[10:11], off offset:64
	v_add_co_u32_e32 v6, vcc, s2, v10
	v_addc_co_u32_e32 v7, vcc, v11, v7, vcc
	s_waitcnt vmcnt(0)
	v_mul_f32_e32 v3, s20, v3
	v_fmac_f32_e32 v3, s9, v2
	global_store_dword v[4:5], v3, off offset:64
	global_load_dword v2, v[6:7], off
	v_mov_b32_e32 v3, s1
	s_waitcnt vmcnt(0)
	v_mul_f32_e32 v8, s20, v2
	v_add_co_u32_e32 v2, vcc, s0, v4
	v_fmac_f32_e32 v8, s9, v1
	v_addc_co_u32_e32 v3, vcc, v5, v3, vcc
	global_store_dword v[2:3], v8, off
	global_load_dword v1, v[6:7], off offset:64
	s_waitcnt vmcnt(0)
	v_mul_f32_e32 v1, s20, v1
	v_fmac_f32_e32 v1, s9, v0
	global_store_dword v[2:3], v1, off offset:64
.LBB44_7:
	s_endpgm
.LBB44_8:
	s_branch .LBB44_6
	.section	.rodata,"a",@progbits
	.p2align	6, 0x0
	.amdhsa_kernel _ZN12_GLOBAL__N_127rocblas_gemm_batched_kernelIfLi16ELi16ELi32ELi32ELi8ELi32ELi8ELi8ELi32ELc67ELc67EKfS1_fEEvlllT_PT11_llS4_llS2_PT12_llPT13_lli
		.amdhsa_group_segment_fixed_size 2048
		.amdhsa_private_segment_fixed_size 0
		.amdhsa_kernarg_size 140
		.amdhsa_user_sgpr_count 6
		.amdhsa_user_sgpr_private_segment_buffer 1
		.amdhsa_user_sgpr_dispatch_ptr 0
		.amdhsa_user_sgpr_queue_ptr 0
		.amdhsa_user_sgpr_kernarg_segment_ptr 1
		.amdhsa_user_sgpr_dispatch_id 0
		.amdhsa_user_sgpr_flat_scratch_init 0
		.amdhsa_user_sgpr_kernarg_preload_length 0
		.amdhsa_user_sgpr_kernarg_preload_offset 0
		.amdhsa_user_sgpr_private_segment_size 0
		.amdhsa_uses_dynamic_stack 0
		.amdhsa_system_sgpr_private_segment_wavefront_offset 0
		.amdhsa_system_sgpr_workgroup_id_x 1
		.amdhsa_system_sgpr_workgroup_id_y 1
		.amdhsa_system_sgpr_workgroup_id_z 1
		.amdhsa_system_sgpr_workgroup_info 0
		.amdhsa_system_vgpr_workitem_id 1
		.amdhsa_next_free_vgpr 70
		.amdhsa_next_free_sgpr 24
		.amdhsa_accum_offset 72
		.amdhsa_reserve_vcc 1
		.amdhsa_reserve_flat_scratch 0
		.amdhsa_float_round_mode_32 0
		.amdhsa_float_round_mode_16_64 0
		.amdhsa_float_denorm_mode_32 3
		.amdhsa_float_denorm_mode_16_64 3
		.amdhsa_dx10_clamp 1
		.amdhsa_ieee_mode 1
		.amdhsa_fp16_overflow 0
		.amdhsa_tg_split 0
		.amdhsa_exception_fp_ieee_invalid_op 0
		.amdhsa_exception_fp_denorm_src 0
		.amdhsa_exception_fp_ieee_div_zero 0
		.amdhsa_exception_fp_ieee_overflow 0
		.amdhsa_exception_fp_ieee_underflow 0
		.amdhsa_exception_fp_ieee_inexact 0
		.amdhsa_exception_int_div_zero 0
	.end_amdhsa_kernel
	.section	.text._ZN12_GLOBAL__N_127rocblas_gemm_batched_kernelIfLi16ELi16ELi32ELi32ELi8ELi32ELi8ELi8ELi32ELc67ELc67EKfS1_fEEvlllT_PT11_llS4_llS2_PT12_llPT13_lli,"axG",@progbits,_ZN12_GLOBAL__N_127rocblas_gemm_batched_kernelIfLi16ELi16ELi32ELi32ELi8ELi32ELi8ELi8ELi32ELc67ELc67EKfS1_fEEvlllT_PT11_llS4_llS2_PT12_llPT13_lli,comdat
.Lfunc_end44:
	.size	_ZN12_GLOBAL__N_127rocblas_gemm_batched_kernelIfLi16ELi16ELi32ELi32ELi8ELi32ELi8ELi8ELi32ELc67ELc67EKfS1_fEEvlllT_PT11_llS4_llS2_PT12_llPT13_lli, .Lfunc_end44-_ZN12_GLOBAL__N_127rocblas_gemm_batched_kernelIfLi16ELi16ELi32ELi32ELi8ELi32ELi8ELi8ELi32ELc67ELc67EKfS1_fEEvlllT_PT11_llS4_llS2_PT12_llPT13_lli
                                        ; -- End function
	.section	.AMDGPU.csdata,"",@progbits
; Kernel info:
; codeLenInByte = 1500
; NumSgprs: 28
; NumVgprs: 70
; NumAgprs: 0
; TotalNumVgprs: 70
; ScratchSize: 0
; MemoryBound: 0
; FloatMode: 240
; IeeeMode: 1
; LDSByteSize: 2048 bytes/workgroup (compile time only)
; SGPRBlocks: 3
; VGPRBlocks: 8
; NumSGPRsForWavesPerEU: 28
; NumVGPRsForWavesPerEU: 70
; AccumOffset: 72
; Occupancy: 7
; WaveLimiterHint : 0
; COMPUTE_PGM_RSRC2:SCRATCH_EN: 0
; COMPUTE_PGM_RSRC2:USER_SGPR: 6
; COMPUTE_PGM_RSRC2:TRAP_HANDLER: 0
; COMPUTE_PGM_RSRC2:TGID_X_EN: 1
; COMPUTE_PGM_RSRC2:TGID_Y_EN: 1
; COMPUTE_PGM_RSRC2:TGID_Z_EN: 1
; COMPUTE_PGM_RSRC2:TIDIG_COMP_CNT: 1
; COMPUTE_PGM_RSRC3_GFX90A:ACCUM_OFFSET: 17
; COMPUTE_PGM_RSRC3_GFX90A:TG_SPLIT: 0
	.section	.text._ZN12_GLOBAL__N_127rocblas_gemm_batched_kernelIfLi16ELi16ELi32ELi32ELi8ELi32ELi8ELi8ELi32ELc67ELc78EKfS1_fEEvlllT_PT11_llS4_llS2_PT12_llPT13_lli,"axG",@progbits,_ZN12_GLOBAL__N_127rocblas_gemm_batched_kernelIfLi16ELi16ELi32ELi32ELi8ELi32ELi8ELi8ELi32ELc67ELc78EKfS1_fEEvlllT_PT11_llS4_llS2_PT12_llPT13_lli,comdat
	.globl	_ZN12_GLOBAL__N_127rocblas_gemm_batched_kernelIfLi16ELi16ELi32ELi32ELi8ELi32ELi8ELi8ELi32ELc67ELc78EKfS1_fEEvlllT_PT11_llS4_llS2_PT12_llPT13_lli ; -- Begin function _ZN12_GLOBAL__N_127rocblas_gemm_batched_kernelIfLi16ELi16ELi32ELi32ELi8ELi32ELi8ELi8ELi32ELc67ELc78EKfS1_fEEvlllT_PT11_llS4_llS2_PT12_llPT13_lli
	.p2align	8
	.type	_ZN12_GLOBAL__N_127rocblas_gemm_batched_kernelIfLi16ELi16ELi32ELi32ELi8ELi32ELi8ELi8ELi32ELc67ELc78EKfS1_fEEvlllT_PT11_llS4_llS2_PT12_llPT13_lli,@function
_ZN12_GLOBAL__N_127rocblas_gemm_batched_kernelIfLi16ELi16ELi32ELi32ELi8ELi32ELi8ELi8ELi32ELc67ELc78EKfS1_fEEvlllT_PT11_llS4_llS2_PT12_llPT13_lli: ; @_ZN12_GLOBAL__N_127rocblas_gemm_batched_kernelIfLi16ELi16ELi32ELi32ELi8ELi32ELi8ELi8ELi32ELc67ELc78EKfS1_fEEvlllT_PT11_llS4_llS2_PT12_llPT13_lli
; %bb.0:
	s_load_dwordx2 s[2:3], s[4:5], 0x10
	s_mov_b32 s0, s7
	s_ashr_i32 s1, s0, 31
	s_ashr_i32 s7, s6, 31
	s_lshl_b64 s[10:11], s[0:1], 5
	s_waitcnt lgkmcnt(0)
	v_cmp_lt_i64_e64 s[0:1], s[2:3], 1
	v_bfe_u32 v11, v0, 10, 10
	v_and_b32_e32 v10, 0x3ff, v0
	s_lshl_b64 s[6:7], s[6:7], 5
	s_and_b64 vcc, exec, s[0:1]
	s_cbranch_vccnz .LBB45_3
; %bb.1:
	s_load_dwordx8 s[12:19], s[4:5], 0x20
	s_load_dwordx4 s[20:23], s[4:5], 0x40
	v_lshl_add_u32 v0, v11, 4, v10
	v_and_b32_e32 v4, 7, v10
	v_and_b32_e32 v6, 31, v0
	v_lshrrev_b32_e32 v1, 3, v0
	v_lshrrev_b32_e32 v7, 5, v0
	v_lshlrev_b32_e32 v0, 2, v6
	v_lshlrev_b32_e32 v4, 2, v4
	v_lshl_or_b32 v12, v7, 7, v0
	v_lshl_or_b32 v0, v1, 5, v4
	v_mov_b32_e32 v2, s11
	v_add_co_u32_e32 v3, vcc, s10, v1
	v_add_u32_e32 v13, 0x400, v0
	v_mov_b32_e32 v0, 0x400
	v_addc_co_u32_e32 v2, vcc, 0, v2, vcc
	v_lshl_add_u32 v15, v11, 5, v0
	s_waitcnt lgkmcnt(0)
	v_mad_u64_u32 v[0:1], s[0:1], s20, v3, 0
	v_mul_lo_u32 v5, s21, v3
	v_mul_lo_u32 v2, s20, v2
	s_mul_i32 s0, s23, s8
	s_mul_hi_u32 s1, s22, s8
	v_add3_u32 v1, v1, v2, v5
	s_add_i32 s1, s1, s0
	s_mul_i32 s0, s22, s8
	v_lshlrev_b64 v[0:1], 2, v[0:1]
	s_lshl_b64 s[0:1], s[0:1], 2
	v_mov_b32_e32 v2, s1
	v_add_co_u32_e32 v0, vcc, s0, v0
	v_addc_co_u32_e32 v1, vcc, v1, v2, vcc
	v_add_co_u32_e32 v0, vcc, v0, v4
	v_addc_co_u32_e32 v1, vcc, 0, v1, vcc
	v_mov_b32_e32 v2, s19
	v_add_co_u32_e32 v4, vcc, s18, v0
	v_addc_co_u32_e32 v5, vcc, v2, v1, vcc
	v_mov_b32_e32 v0, s7
	v_add_co_u32_e32 v1, vcc, s6, v6
	v_addc_co_u32_e32 v0, vcc, 0, v0, vcc
	v_mul_lo_u32 v2, s15, v1
	v_mul_lo_u32 v3, s14, v0
	v_mad_u64_u32 v[0:1], s[0:1], s14, v1, 0
	s_mul_i32 s0, s17, s8
	s_mul_hi_u32 s1, s16, s8
	v_add3_u32 v1, v1, v3, v2
	s_add_i32 s1, s1, s0
	s_mul_i32 s0, s16, s8
	v_lshlrev_b64 v[0:1], 2, v[0:1]
	s_lshl_b64 s[0:1], s[0:1], 2
	v_mov_b32_e32 v2, s1
	v_add_co_u32_e32 v0, vcc, s0, v0
	v_addc_co_u32_e32 v1, vcc, v1, v2, vcc
	v_lshlrev_b32_e32 v2, 2, v7
	v_add_co_u32_e32 v0, vcc, v0, v2
	v_addc_co_u32_e32 v1, vcc, 0, v1, vcc
	v_mov_b32_e32 v2, s13
	v_add_co_u32_e32 v6, vcc, s12, v0
	v_mov_b32_e32 v0, 0
	v_lshlrev_b32_e32 v14, 2, v10
	v_addc_co_u32_e32 v7, vcc, v2, v1, vcc
	s_mov_b64 s[0:1], 0
	v_pk_mov_b32 v[8:9], s[2:3], s[2:3] op_sel:[0,1]
	v_mov_b32_e32 v1, v0
	v_mov_b32_e32 v2, v0
	;; [unrolled: 1-line block ×3, first 2 shown]
.LBB45_2:                               ; =>This Inner Loop Header: Depth=1
	global_load_dword v16, v[6:7], off
	global_load_dword v17, v[4:5], off
	v_add_co_u32_e32 v4, vcc, 32, v4
	v_addc_co_u32_e32 v5, vcc, 0, v5, vcc
	s_add_u32 s0, s0, 8
	v_add_co_u32_e32 v6, vcc, 32, v6
	v_addc_co_u32_e32 v7, vcc, 0, v7, vcc
	s_addc_u32 s1, s1, 0
	v_cmp_lt_i64_e32 vcc, s[0:1], v[8:9]
	s_and_b64 vcc, exec, vcc
	s_waitcnt vmcnt(1)
	ds_write_b32 v12, v16
	s_waitcnt vmcnt(0)
	ds_write_b32 v13, v17
	s_waitcnt lgkmcnt(0)
	s_barrier
	ds_read2_b32 v[32:33], v14 offset1:16
	ds_read2_b32 v[34:35], v14 offset0:32 offset1:48
	ds_read_b128 v[16:19], v15
	ds_read_b128 v[20:23], v15 offset:16
	ds_read2_b32 v[36:37], v14 offset0:64 offset1:80
	ds_read2_b32 v[38:39], v14 offset0:96 offset1:112
	;; [unrolled: 1-line block ×4, first 2 shown]
	ds_read_b128 v[24:27], v15 offset:512
	ds_read_b128 v[28:31], v15 offset:528
	ds_read2_b32 v[44:45], v14 offset0:192 offset1:208
	ds_read2_b32 v[46:47], v14 offset0:224 offset1:240
	s_waitcnt lgkmcnt(11)
	v_mov_b32_e32 v50, v33
	s_waitcnt lgkmcnt(10)
	v_mov_b32_e32 v51, v35
	s_waitcnt lgkmcnt(9)
	v_mul_f32_e32 v49, v32, v16
	v_mul_f32_e32 v33, v34, v17
	s_waitcnt lgkmcnt(3)
	v_mul_f32_e32 v35, v32, v24
	v_mul_f32_e32 v53, v34, v25
	v_pk_mul_f32 v[16:17], v[50:51], v[16:17]
	v_pk_mul_f32 v[24:25], v[50:51], v[24:25]
	v_mov_b32_e32 v56, v37
	v_mov_b32_e32 v57, v39
	;; [unrolled: 1-line block ×4, first 2 shown]
	v_mul_f32_e32 v55, v36, v18
	v_mul_f32_e32 v37, v38, v19
	;; [unrolled: 1-line block ×4, first 2 shown]
	v_pk_mul_f32 v[18:19], v[56:57], v[18:19]
	v_pk_mul_f32 v[26:27], v[56:57], v[26:27]
	v_mov_b32_e32 v32, v17
	v_mov_b32_e32 v52, v25
	v_pk_add_f32 v[2:3], v[2:3], v[48:49]
	v_pk_add_f32 v[0:1], v[0:1], v[34:35]
	v_mov_b32_e32 v50, v41
	v_mov_b32_e32 v51, v43
	;; [unrolled: 1-line block ×4, first 2 shown]
	v_pk_add_f32 v[2:3], v[2:3], v[32:33]
	v_pk_add_f32 v[0:1], v[0:1], v[52:53]
	v_mul_f32_e32 v61, v40, v20
	s_waitcnt lgkmcnt(0)
	v_mov_b32_e32 v57, v47
	v_mul_f32_e32 v41, v42, v21
	v_pk_mul_f32 v[20:21], v[50:51], v[20:21]
	v_mul_f32_e32 v47, v40, v28
	v_mul_f32_e32 v63, v42, v29
	v_pk_mul_f32 v[28:29], v[50:51], v[28:29]
	v_mov_b32_e32 v36, v19
	v_mov_b32_e32 v58, v27
	v_pk_add_f32 v[2:3], v[2:3], v[54:55]
	v_pk_add_f32 v[0:1], v[0:1], v[38:39]
	v_mov_b32_e32 v56, v45
	v_mul_f32_e32 v45, v46, v23
	v_mul_f32_e32 v67, v46, v31
	v_mov_b32_e32 v60, v20
	v_mov_b32_e32 v46, v28
	v_pk_add_f32 v[2:3], v[2:3], v[36:37]
	v_pk_add_f32 v[0:1], v[0:1], v[58:59]
	v_mul_f32_e32 v43, v44, v22
	v_pk_mul_f32 v[22:23], v[56:57], v[22:23]
	v_mul_f32_e32 v65, v44, v30
	v_pk_mul_f32 v[30:31], v[56:57], v[30:31]
	v_mov_b32_e32 v40, v21
	v_mov_b32_e32 v62, v29
	v_pk_add_f32 v[2:3], v[2:3], v[60:61]
	v_pk_add_f32 v[0:1], v[0:1], v[46:47]
	v_mov_b32_e32 v42, v22
	v_mov_b32_e32 v64, v30
	v_pk_add_f32 v[2:3], v[2:3], v[40:41]
	v_pk_add_f32 v[0:1], v[0:1], v[62:63]
	;; [unrolled: 4-line block ×3, first 2 shown]
	v_pk_add_f32 v[2:3], v[2:3], v[44:45]
	v_pk_add_f32 v[0:1], v[0:1], v[66:67]
	s_barrier
	s_cbranch_vccnz .LBB45_2
	s_branch .LBB45_4
.LBB45_3:
	v_mov_b32_e32 v3, 0
	v_mov_b32_e32 v2, v3
	;; [unrolled: 1-line block ×4, first 2 shown]
.LBB45_4:
	s_load_dwordx4 s[0:3], s[4:5], 0x78
	s_load_dword s9, s[4:5], 0x18
	s_load_dword s20, s[4:5], 0x50
	s_load_dwordx8 s[12:19], s[4:5], 0x58
	v_mov_b32_e32 v4, s11
	s_waitcnt lgkmcnt(0)
	s_mul_i32 s3, s8, s3
	s_mul_hi_u32 s4, s8, s2
	s_add_i32 s3, s4, s3
	s_mul_i32 s2, s8, s2
	v_add_co_u32_e32 v6, vcc, s10, v11
	s_lshl_b64 s[2:3], s[2:3], 2
	v_addc_co_u32_e32 v9, vcc, 0, v4, vcc
	s_add_u32 s4, s18, s2
	v_mov_b32_e32 v5, s7
	v_add_co_u32_e32 v4, vcc, s6, v10
	s_addc_u32 s5, s19, s3
	v_cmp_neq_f32_e64 s[2:3], s20, 0
	v_addc_co_u32_e32 v5, vcc, 0, v5, vcc
	s_and_b64 vcc, exec, s[2:3]
	v_mul_lo_u32 v7, v9, s0
	v_mul_lo_u32 v8, v6, s1
	v_lshlrev_b64 v[4:5], 2, v[4:5]
	s_cbranch_vccnz .LBB45_8
; %bb.5:
	v_mad_u64_u32 v[10:11], s[2:3], v6, s0, 0
	v_add3_u32 v11, v11, v8, v7
	v_lshlrev_b64 v[10:11], 2, v[10:11]
	v_mov_b32_e32 v12, s5
	v_add_co_u32_e32 v10, vcc, s4, v10
	v_addc_co_u32_e32 v11, vcc, v12, v11, vcc
	v_add_co_u32_e32 v10, vcc, v10, v4
	v_mul_f32_e32 v12, s9, v3
	v_addc_co_u32_e32 v11, vcc, v11, v5, vcc
	global_store_dword v[10:11], v12, off
	v_mul_f32_e32 v12, s9, v2
	s_lshl_b64 s[2:3], s[0:1], 6
	global_store_dword v[10:11], v12, off offset:64
	v_mov_b32_e32 v13, s3
	v_add_co_u32_e32 v10, vcc, s2, v10
	v_mul_f32_e32 v12, s9, v1
	v_addc_co_u32_e32 v11, vcc, v11, v13, vcc
	global_store_dword v[10:11], v12, off
	v_mul_f32_e32 v12, s9, v0
	global_store_dword v[10:11], v12, off offset:64
	s_cbranch_execnz .LBB45_7
.LBB45_6:
	s_mul_i32 s2, s8, s17
	s_mul_hi_u32 s3, s8, s16
	s_add_i32 s3, s3, s2
	s_mul_i32 s2, s8, s16
	s_lshl_b64 s[2:3], s[2:3], 2
	s_add_u32 s6, s12, s2
	s_addc_u32 s7, s13, s3
	v_mul_lo_u32 v9, v9, s14
	v_mul_lo_u32 v12, v6, s15
	v_mad_u64_u32 v[10:11], s[2:3], v6, s14, 0
	v_add3_u32 v11, v11, v12, v9
	v_lshlrev_b64 v[10:11], 2, v[10:11]
	v_mov_b32_e32 v9, s7
	v_add_co_u32_e32 v10, vcc, s6, v10
	v_addc_co_u32_e32 v9, vcc, v9, v11, vcc
	v_add_co_u32_e32 v10, vcc, v10, v4
	v_addc_co_u32_e32 v11, vcc, v9, v5, vcc
	global_load_dword v9, v[10:11], off
	v_mad_u64_u32 v[12:13], s[2:3], v6, s0, 0
	v_add3_u32 v13, v13, v8, v7
	v_lshlrev_b64 v[6:7], 2, v[12:13]
	v_mov_b32_e32 v14, s5
	v_add_co_u32_e32 v6, vcc, s4, v6
	v_addc_co_u32_e32 v7, vcc, v14, v7, vcc
	v_add_co_u32_e32 v4, vcc, v6, v4
	v_addc_co_u32_e32 v5, vcc, v7, v5, vcc
	s_lshl_b64 s[2:3], s[14:15], 6
	v_mov_b32_e32 v7, s3
	s_lshl_b64 s[0:1], s[0:1], 6
	s_waitcnt vmcnt(0)
	v_mul_f32_e32 v6, s20, v9
	v_fmac_f32_e32 v6, s9, v3
	global_store_dword v[4:5], v6, off
	global_load_dword v3, v[10:11], off offset:64
	v_add_co_u32_e32 v6, vcc, s2, v10
	v_addc_co_u32_e32 v7, vcc, v11, v7, vcc
	s_waitcnt vmcnt(0)
	v_mul_f32_e32 v3, s20, v3
	v_fmac_f32_e32 v3, s9, v2
	global_store_dword v[4:5], v3, off offset:64
	global_load_dword v2, v[6:7], off
	v_mov_b32_e32 v3, s1
	s_waitcnt vmcnt(0)
	v_mul_f32_e32 v8, s20, v2
	v_add_co_u32_e32 v2, vcc, s0, v4
	v_fmac_f32_e32 v8, s9, v1
	v_addc_co_u32_e32 v3, vcc, v5, v3, vcc
	global_store_dword v[2:3], v8, off
	global_load_dword v1, v[6:7], off offset:64
	s_waitcnt vmcnt(0)
	v_mul_f32_e32 v1, s20, v1
	v_fmac_f32_e32 v1, s9, v0
	global_store_dword v[2:3], v1, off offset:64
.LBB45_7:
	s_endpgm
.LBB45_8:
	s_branch .LBB45_6
	.section	.rodata,"a",@progbits
	.p2align	6, 0x0
	.amdhsa_kernel _ZN12_GLOBAL__N_127rocblas_gemm_batched_kernelIfLi16ELi16ELi32ELi32ELi8ELi32ELi8ELi8ELi32ELc67ELc78EKfS1_fEEvlllT_PT11_llS4_llS2_PT12_llPT13_lli
		.amdhsa_group_segment_fixed_size 2048
		.amdhsa_private_segment_fixed_size 0
		.amdhsa_kernarg_size 140
		.amdhsa_user_sgpr_count 6
		.amdhsa_user_sgpr_private_segment_buffer 1
		.amdhsa_user_sgpr_dispatch_ptr 0
		.amdhsa_user_sgpr_queue_ptr 0
		.amdhsa_user_sgpr_kernarg_segment_ptr 1
		.amdhsa_user_sgpr_dispatch_id 0
		.amdhsa_user_sgpr_flat_scratch_init 0
		.amdhsa_user_sgpr_kernarg_preload_length 0
		.amdhsa_user_sgpr_kernarg_preload_offset 0
		.amdhsa_user_sgpr_private_segment_size 0
		.amdhsa_uses_dynamic_stack 0
		.amdhsa_system_sgpr_private_segment_wavefront_offset 0
		.amdhsa_system_sgpr_workgroup_id_x 1
		.amdhsa_system_sgpr_workgroup_id_y 1
		.amdhsa_system_sgpr_workgroup_id_z 1
		.amdhsa_system_sgpr_workgroup_info 0
		.amdhsa_system_vgpr_workitem_id 1
		.amdhsa_next_free_vgpr 68
		.amdhsa_next_free_sgpr 24
		.amdhsa_accum_offset 68
		.amdhsa_reserve_vcc 1
		.amdhsa_reserve_flat_scratch 0
		.amdhsa_float_round_mode_32 0
		.amdhsa_float_round_mode_16_64 0
		.amdhsa_float_denorm_mode_32 3
		.amdhsa_float_denorm_mode_16_64 3
		.amdhsa_dx10_clamp 1
		.amdhsa_ieee_mode 1
		.amdhsa_fp16_overflow 0
		.amdhsa_tg_split 0
		.amdhsa_exception_fp_ieee_invalid_op 0
		.amdhsa_exception_fp_denorm_src 0
		.amdhsa_exception_fp_ieee_div_zero 0
		.amdhsa_exception_fp_ieee_overflow 0
		.amdhsa_exception_fp_ieee_underflow 0
		.amdhsa_exception_fp_ieee_inexact 0
		.amdhsa_exception_int_div_zero 0
	.end_amdhsa_kernel
	.section	.text._ZN12_GLOBAL__N_127rocblas_gemm_batched_kernelIfLi16ELi16ELi32ELi32ELi8ELi32ELi8ELi8ELi32ELc67ELc78EKfS1_fEEvlllT_PT11_llS4_llS2_PT12_llPT13_lli,"axG",@progbits,_ZN12_GLOBAL__N_127rocblas_gemm_batched_kernelIfLi16ELi16ELi32ELi32ELi8ELi32ELi8ELi8ELi32ELc67ELc78EKfS1_fEEvlllT_PT11_llS4_llS2_PT12_llPT13_lli,comdat
.Lfunc_end45:
	.size	_ZN12_GLOBAL__N_127rocblas_gemm_batched_kernelIfLi16ELi16ELi32ELi32ELi8ELi32ELi8ELi8ELi32ELc67ELc78EKfS1_fEEvlllT_PT11_llS4_llS2_PT12_llPT13_lli, .Lfunc_end45-_ZN12_GLOBAL__N_127rocblas_gemm_batched_kernelIfLi16ELi16ELi32ELi32ELi8ELi32ELi8ELi8ELi32ELc67ELc78EKfS1_fEEvlllT_PT11_llS4_llS2_PT12_llPT13_lli
                                        ; -- End function
	.section	.AMDGPU.csdata,"",@progbits
; Kernel info:
; codeLenInByte = 1500
; NumSgprs: 28
; NumVgprs: 68
; NumAgprs: 0
; TotalNumVgprs: 68
; ScratchSize: 0
; MemoryBound: 0
; FloatMode: 240
; IeeeMode: 1
; LDSByteSize: 2048 bytes/workgroup (compile time only)
; SGPRBlocks: 3
; VGPRBlocks: 8
; NumSGPRsForWavesPerEU: 28
; NumVGPRsForWavesPerEU: 68
; AccumOffset: 68
; Occupancy: 7
; WaveLimiterHint : 0
; COMPUTE_PGM_RSRC2:SCRATCH_EN: 0
; COMPUTE_PGM_RSRC2:USER_SGPR: 6
; COMPUTE_PGM_RSRC2:TRAP_HANDLER: 0
; COMPUTE_PGM_RSRC2:TGID_X_EN: 1
; COMPUTE_PGM_RSRC2:TGID_Y_EN: 1
; COMPUTE_PGM_RSRC2:TGID_Z_EN: 1
; COMPUTE_PGM_RSRC2:TIDIG_COMP_CNT: 1
; COMPUTE_PGM_RSRC3_GFX90A:ACCUM_OFFSET: 16
; COMPUTE_PGM_RSRC3_GFX90A:TG_SPLIT: 0
	.section	.text._ZN12_GLOBAL__N_127rocblas_gemm_batched_kernelIfLi16ELi16ELi32ELi32ELi8ELi32ELi8ELi8ELi32ELc67ELc84EKfS1_fEEvlllT_PT11_llS4_llS2_PT12_llPT13_lli,"axG",@progbits,_ZN12_GLOBAL__N_127rocblas_gemm_batched_kernelIfLi16ELi16ELi32ELi32ELi8ELi32ELi8ELi8ELi32ELc67ELc84EKfS1_fEEvlllT_PT11_llS4_llS2_PT12_llPT13_lli,comdat
	.globl	_ZN12_GLOBAL__N_127rocblas_gemm_batched_kernelIfLi16ELi16ELi32ELi32ELi8ELi32ELi8ELi8ELi32ELc67ELc84EKfS1_fEEvlllT_PT11_llS4_llS2_PT12_llPT13_lli ; -- Begin function _ZN12_GLOBAL__N_127rocblas_gemm_batched_kernelIfLi16ELi16ELi32ELi32ELi8ELi32ELi8ELi8ELi32ELc67ELc84EKfS1_fEEvlllT_PT11_llS4_llS2_PT12_llPT13_lli
	.p2align	8
	.type	_ZN12_GLOBAL__N_127rocblas_gemm_batched_kernelIfLi16ELi16ELi32ELi32ELi8ELi32ELi8ELi8ELi32ELc67ELc84EKfS1_fEEvlllT_PT11_llS4_llS2_PT12_llPT13_lli,@function
_ZN12_GLOBAL__N_127rocblas_gemm_batched_kernelIfLi16ELi16ELi32ELi32ELi8ELi32ELi8ELi8ELi32ELc67ELc84EKfS1_fEEvlllT_PT11_llS4_llS2_PT12_llPT13_lli: ; @_ZN12_GLOBAL__N_127rocblas_gemm_batched_kernelIfLi16ELi16ELi32ELi32ELi8ELi32ELi8ELi8ELi32ELc67ELc84EKfS1_fEEvlllT_PT11_llS4_llS2_PT12_llPT13_lli
; %bb.0:
	s_load_dwordx2 s[20:21], s[4:5], 0x10
	s_mov_b32 s0, s7
	s_ashr_i32 s1, s0, 31
	s_ashr_i32 s7, s6, 31
	s_lshl_b64 s[10:11], s[0:1], 5
	s_waitcnt lgkmcnt(0)
	v_cmp_lt_i64_e64 s[0:1], s[20:21], 1
	v_bfe_u32 v11, v0, 10, 10
	v_and_b32_e32 v10, 0x3ff, v0
	s_lshl_b64 s[6:7], s[6:7], 5
	s_and_b64 vcc, exec, s[0:1]
	s_cbranch_vccnz .LBB46_3
; %bb.1:
	v_lshl_add_u32 v2, v11, 4, v10
	s_load_dwordx8 s[12:19], s[4:5], 0x20
	s_load_dwordx4 s[0:3], s[4:5], 0x40
	v_and_b32_e32 v6, 31, v2
	v_lshrrev_b32_e32 v0, 3, v2
	v_and_b32_e32 v4, 7, v10
	v_lshrrev_b32_e32 v7, 5, v2
	v_lshlrev_b32_e32 v2, 2, v6
	v_lshl_or_b32 v12, v7, 7, v2
	v_lshlrev_b32_e32 v2, 2, v4
	v_lshl_or_b32 v2, v0, 5, v2
	v_mov_b32_e32 v1, 0
	v_add_u32_e32 v13, 0x400, v2
	v_mov_b32_e32 v2, 0x400
	v_lshl_add_u32 v15, v11, 5, v2
	s_waitcnt lgkmcnt(0)
	v_mad_u64_u32 v[2:3], s[22:23], v4, s0, v[0:1]
	s_mul_i32 s3, s3, s8
	s_mul_hi_u32 s9, s2, s8
	v_mov_b32_e32 v0, v3
	s_add_i32 s3, s9, s3
	s_mul_i32 s2, s2, s8
	v_mad_u64_u32 v[4:5], s[22:23], v4, s1, v[0:1]
	s_lshl_b64 s[2:3], s[2:3], 2
	v_mov_b32_e32 v3, v4
	v_mov_b32_e32 v0, s11
	v_add_co_u32_e32 v2, vcc, s10, v2
	v_addc_co_u32_e32 v3, vcc, v3, v0, vcc
	s_add_u32 s2, s18, s2
	v_lshlrev_b64 v[2:3], 2, v[2:3]
	s_addc_u32 s3, s19, s3
	v_mov_b32_e32 v0, s3
	v_add_co_u32_e32 v4, vcc, s2, v2
	v_addc_co_u32_e32 v5, vcc, v0, v3, vcc
	v_mov_b32_e32 v0, s7
	v_add_co_u32_e32 v2, vcc, s6, v6
	v_addc_co_u32_e32 v0, vcc, 0, v0, vcc
	v_mul_lo_u32 v6, s15, v2
	v_mad_u64_u32 v[2:3], s[2:3], s14, v2, 0
	v_mul_lo_u32 v0, s14, v0
	s_mul_i32 s2, s17, s8
	s_mul_hi_u32 s3, s16, s8
	v_add3_u32 v3, v3, v0, v6
	s_add_i32 s3, s3, s2
	s_mul_i32 s2, s16, s8
	v_lshlrev_b64 v[2:3], 2, v[2:3]
	s_lshl_b64 s[2:3], s[2:3], 2
	v_mov_b32_e32 v0, s3
	v_add_co_u32_e32 v2, vcc, s2, v2
	v_addc_co_u32_e32 v0, vcc, v3, v0, vcc
	v_lshlrev_b32_e32 v3, 2, v7
	v_add_co_u32_e32 v2, vcc, v2, v3
	v_addc_co_u32_e32 v0, vcc, 0, v0, vcc
	s_lshl_b64 s[0:1], s[0:1], 5
	v_mov_b32_e32 v3, s13
	v_add_co_u32_e32 v6, vcc, s12, v2
	v_lshlrev_b32_e32 v14, 2, v10
	v_addc_co_u32_e32 v7, vcc, v3, v0, vcc
	s_mov_b64 s[2:3], 0
	v_mov_b32_e32 v16, s1
	v_pk_mov_b32 v[8:9], s[20:21], s[20:21] op_sel:[0,1]
	v_mov_b32_e32 v0, v1
	v_mov_b32_e32 v2, v1
	;; [unrolled: 1-line block ×3, first 2 shown]
.LBB46_2:                               ; =>This Inner Loop Header: Depth=1
	global_load_dword v17, v[6:7], off
	global_load_dword v18, v[4:5], off
	v_add_co_u32_e32 v4, vcc, s0, v4
	v_addc_co_u32_e32 v5, vcc, v5, v16, vcc
	s_add_u32 s2, s2, 8
	v_add_co_u32_e32 v6, vcc, 32, v6
	v_addc_co_u32_e32 v7, vcc, 0, v7, vcc
	s_addc_u32 s3, s3, 0
	v_cmp_lt_i64_e32 vcc, s[2:3], v[8:9]
	s_and_b64 vcc, exec, vcc
	s_waitcnt vmcnt(1)
	ds_write_b32 v12, v17
	s_waitcnt vmcnt(0)
	ds_write_b32 v13, v18
	s_waitcnt lgkmcnt(0)
	s_barrier
	ds_read2_b32 v[34:35], v14 offset1:16
	ds_read2_b32 v[36:37], v14 offset0:32 offset1:48
	ds_read_b128 v[18:21], v15
	ds_read_b128 v[22:25], v15 offset:16
	ds_read2_b32 v[38:39], v14 offset0:64 offset1:80
	ds_read2_b32 v[40:41], v14 offset0:96 offset1:112
	;; [unrolled: 1-line block ×4, first 2 shown]
	ds_read_b128 v[26:29], v15 offset:512
	ds_read_b128 v[30:33], v15 offset:528
	ds_read2_b32 v[46:47], v14 offset0:192 offset1:208
	s_waitcnt lgkmcnt(10)
	v_mov_b32_e32 v50, v35
	s_waitcnt lgkmcnt(9)
	v_mov_b32_e32 v51, v37
	s_waitcnt lgkmcnt(8)
	v_mul_f32_e32 v49, v34, v18
	v_mul_f32_e32 v35, v36, v19
	s_waitcnt lgkmcnt(5)
	v_mov_b32_e32 v53, v41
	v_pk_mul_f32 v[18:19], v[50:51], v[18:19]
	ds_read2_b32 v[54:55], v14 offset0:224 offset1:240
	s_waitcnt lgkmcnt(3)
	v_mul_f32_e32 v41, v34, v26
	v_mul_f32_e32 v57, v36, v27
	v_pk_mul_f32 v[26:27], v[50:51], v[26:27]
	v_mov_b32_e32 v52, v39
	v_mul_f32_e32 v39, v40, v21
	v_mul_f32_e32 v61, v40, v29
	v_mov_b32_e32 v48, v18
	v_mov_b32_e32 v40, v26
	v_mul_f32_e32 v37, v38, v20
	v_pk_mul_f32 v[20:21], v[52:53], v[20:21]
	v_mul_f32_e32 v59, v38, v28
	v_pk_mul_f32 v[28:29], v[52:53], v[28:29]
	v_mov_b32_e32 v34, v19
	v_mov_b32_e32 v56, v27
	v_pk_add_f32 v[2:3], v[2:3], v[48:49]
	v_pk_add_f32 v[0:1], v[0:1], v[40:41]
	v_mov_b32_e32 v50, v43
	v_mov_b32_e32 v51, v45
	;; [unrolled: 1-line block ×4, first 2 shown]
	v_pk_add_f32 v[2:3], v[2:3], v[34:35]
	v_pk_add_f32 v[0:1], v[0:1], v[56:57]
	v_mul_f32_e32 v43, v42, v22
	v_mul_f32_e32 v45, v44, v23
	v_pk_mul_f32 v[22:23], v[50:51], v[22:23]
	s_waitcnt lgkmcnt(2)
	v_mul_f32_e32 v63, v42, v30
	v_mul_f32_e32 v65, v44, v31
	v_pk_mul_f32 v[30:31], v[50:51], v[30:31]
	v_mov_b32_e32 v38, v21
	v_mov_b32_e32 v60, v29
	v_pk_add_f32 v[2:3], v[2:3], v[36:37]
	v_pk_add_f32 v[0:1], v[0:1], v[58:59]
	s_waitcnt lgkmcnt(1)
	v_mov_b32_e32 v52, v47
	s_waitcnt lgkmcnt(0)
	v_mov_b32_e32 v53, v55
	v_mov_b32_e32 v42, v22
	;; [unrolled: 1-line block ×3, first 2 shown]
	v_pk_add_f32 v[2:3], v[2:3], v[38:39]
	v_pk_add_f32 v[0:1], v[0:1], v[60:61]
	v_mul_f32_e32 v47, v46, v24
	v_mul_f32_e32 v55, v54, v25
	v_pk_mul_f32 v[24:25], v[52:53], v[24:25]
	v_mul_f32_e32 v67, v46, v32
	v_mul_f32_e32 v69, v54, v33
	v_pk_mul_f32 v[32:33], v[52:53], v[32:33]
	v_mov_b32_e32 v44, v23
	v_mov_b32_e32 v64, v31
	v_pk_add_f32 v[2:3], v[2:3], v[42:43]
	v_pk_add_f32 v[0:1], v[0:1], v[62:63]
	v_mov_b32_e32 v46, v24
	v_mov_b32_e32 v66, v32
	v_pk_add_f32 v[2:3], v[2:3], v[44:45]
	v_pk_add_f32 v[0:1], v[0:1], v[64:65]
	;; [unrolled: 4-line block ×3, first 2 shown]
	v_pk_add_f32 v[2:3], v[2:3], v[54:55]
	v_pk_add_f32 v[0:1], v[0:1], v[68:69]
	s_barrier
	s_cbranch_vccnz .LBB46_2
	s_branch .LBB46_4
.LBB46_3:
	v_mov_b32_e32 v3, 0
	v_mov_b32_e32 v2, v3
	;; [unrolled: 1-line block ×4, first 2 shown]
.LBB46_4:
	s_load_dwordx4 s[0:3], s[4:5], 0x78
	s_load_dword s9, s[4:5], 0x18
	s_load_dword s20, s[4:5], 0x50
	s_load_dwordx8 s[12:19], s[4:5], 0x58
	v_mov_b32_e32 v4, s11
	s_waitcnt lgkmcnt(0)
	s_mul_i32 s3, s8, s3
	s_mul_hi_u32 s4, s8, s2
	s_add_i32 s3, s4, s3
	s_mul_i32 s2, s8, s2
	v_add_co_u32_e32 v6, vcc, s10, v11
	s_lshl_b64 s[2:3], s[2:3], 2
	v_addc_co_u32_e32 v9, vcc, 0, v4, vcc
	s_add_u32 s4, s18, s2
	v_mov_b32_e32 v5, s7
	v_add_co_u32_e32 v4, vcc, s6, v10
	s_addc_u32 s5, s19, s3
	v_cmp_neq_f32_e64 s[2:3], s20, 0
	v_addc_co_u32_e32 v5, vcc, 0, v5, vcc
	s_and_b64 vcc, exec, s[2:3]
	v_mul_lo_u32 v7, v9, s0
	v_mul_lo_u32 v8, v6, s1
	v_lshlrev_b64 v[4:5], 2, v[4:5]
	s_cbranch_vccnz .LBB46_8
; %bb.5:
	v_mad_u64_u32 v[10:11], s[2:3], v6, s0, 0
	v_add3_u32 v11, v11, v8, v7
	v_lshlrev_b64 v[10:11], 2, v[10:11]
	v_mov_b32_e32 v12, s5
	v_add_co_u32_e32 v10, vcc, s4, v10
	v_addc_co_u32_e32 v11, vcc, v12, v11, vcc
	v_add_co_u32_e32 v10, vcc, v10, v4
	v_mul_f32_e32 v12, s9, v3
	v_addc_co_u32_e32 v11, vcc, v11, v5, vcc
	global_store_dword v[10:11], v12, off
	v_mul_f32_e32 v12, s9, v2
	s_lshl_b64 s[2:3], s[0:1], 6
	global_store_dword v[10:11], v12, off offset:64
	v_mov_b32_e32 v13, s3
	v_add_co_u32_e32 v10, vcc, s2, v10
	v_mul_f32_e32 v12, s9, v1
	v_addc_co_u32_e32 v11, vcc, v11, v13, vcc
	global_store_dword v[10:11], v12, off
	v_mul_f32_e32 v12, s9, v0
	global_store_dword v[10:11], v12, off offset:64
	s_cbranch_execnz .LBB46_7
.LBB46_6:
	s_mul_i32 s2, s8, s17
	s_mul_hi_u32 s3, s8, s16
	s_add_i32 s3, s3, s2
	s_mul_i32 s2, s8, s16
	s_lshl_b64 s[2:3], s[2:3], 2
	s_add_u32 s6, s12, s2
	s_addc_u32 s7, s13, s3
	v_mul_lo_u32 v9, v9, s14
	v_mul_lo_u32 v12, v6, s15
	v_mad_u64_u32 v[10:11], s[2:3], v6, s14, 0
	v_add3_u32 v11, v11, v12, v9
	v_lshlrev_b64 v[10:11], 2, v[10:11]
	v_mov_b32_e32 v9, s7
	v_add_co_u32_e32 v10, vcc, s6, v10
	v_addc_co_u32_e32 v9, vcc, v9, v11, vcc
	v_add_co_u32_e32 v10, vcc, v10, v4
	v_addc_co_u32_e32 v11, vcc, v9, v5, vcc
	global_load_dword v9, v[10:11], off
	v_mad_u64_u32 v[12:13], s[2:3], v6, s0, 0
	v_add3_u32 v13, v13, v8, v7
	v_lshlrev_b64 v[6:7], 2, v[12:13]
	v_mov_b32_e32 v14, s5
	v_add_co_u32_e32 v6, vcc, s4, v6
	v_addc_co_u32_e32 v7, vcc, v14, v7, vcc
	v_add_co_u32_e32 v4, vcc, v6, v4
	v_addc_co_u32_e32 v5, vcc, v7, v5, vcc
	s_lshl_b64 s[2:3], s[14:15], 6
	v_mov_b32_e32 v7, s3
	s_lshl_b64 s[0:1], s[0:1], 6
	s_waitcnt vmcnt(0)
	v_mul_f32_e32 v6, s20, v9
	v_fmac_f32_e32 v6, s9, v3
	global_store_dword v[4:5], v6, off
	global_load_dword v3, v[10:11], off offset:64
	v_add_co_u32_e32 v6, vcc, s2, v10
	v_addc_co_u32_e32 v7, vcc, v11, v7, vcc
	s_waitcnt vmcnt(0)
	v_mul_f32_e32 v3, s20, v3
	v_fmac_f32_e32 v3, s9, v2
	global_store_dword v[4:5], v3, off offset:64
	global_load_dword v2, v[6:7], off
	v_mov_b32_e32 v3, s1
	s_waitcnt vmcnt(0)
	v_mul_f32_e32 v8, s20, v2
	v_add_co_u32_e32 v2, vcc, s0, v4
	v_fmac_f32_e32 v8, s9, v1
	v_addc_co_u32_e32 v3, vcc, v5, v3, vcc
	global_store_dword v[2:3], v8, off
	global_load_dword v1, v[6:7], off offset:64
	s_waitcnt vmcnt(0)
	v_mul_f32_e32 v1, s20, v1
	v_fmac_f32_e32 v1, s9, v0
	global_store_dword v[2:3], v1, off offset:64
.LBB46_7:
	s_endpgm
.LBB46_8:
	s_branch .LBB46_6
	.section	.rodata,"a",@progbits
	.p2align	6, 0x0
	.amdhsa_kernel _ZN12_GLOBAL__N_127rocblas_gemm_batched_kernelIfLi16ELi16ELi32ELi32ELi8ELi32ELi8ELi8ELi32ELc67ELc84EKfS1_fEEvlllT_PT11_llS4_llS2_PT12_llPT13_lli
		.amdhsa_group_segment_fixed_size 2048
		.amdhsa_private_segment_fixed_size 0
		.amdhsa_kernarg_size 140
		.amdhsa_user_sgpr_count 6
		.amdhsa_user_sgpr_private_segment_buffer 1
		.amdhsa_user_sgpr_dispatch_ptr 0
		.amdhsa_user_sgpr_queue_ptr 0
		.amdhsa_user_sgpr_kernarg_segment_ptr 1
		.amdhsa_user_sgpr_dispatch_id 0
		.amdhsa_user_sgpr_flat_scratch_init 0
		.amdhsa_user_sgpr_kernarg_preload_length 0
		.amdhsa_user_sgpr_kernarg_preload_offset 0
		.amdhsa_user_sgpr_private_segment_size 0
		.amdhsa_uses_dynamic_stack 0
		.amdhsa_system_sgpr_private_segment_wavefront_offset 0
		.amdhsa_system_sgpr_workgroup_id_x 1
		.amdhsa_system_sgpr_workgroup_id_y 1
		.amdhsa_system_sgpr_workgroup_id_z 1
		.amdhsa_system_sgpr_workgroup_info 0
		.amdhsa_system_vgpr_workitem_id 1
		.amdhsa_next_free_vgpr 70
		.amdhsa_next_free_sgpr 24
		.amdhsa_accum_offset 72
		.amdhsa_reserve_vcc 1
		.amdhsa_reserve_flat_scratch 0
		.amdhsa_float_round_mode_32 0
		.amdhsa_float_round_mode_16_64 0
		.amdhsa_float_denorm_mode_32 3
		.amdhsa_float_denorm_mode_16_64 3
		.amdhsa_dx10_clamp 1
		.amdhsa_ieee_mode 1
		.amdhsa_fp16_overflow 0
		.amdhsa_tg_split 0
		.amdhsa_exception_fp_ieee_invalid_op 0
		.amdhsa_exception_fp_denorm_src 0
		.amdhsa_exception_fp_ieee_div_zero 0
		.amdhsa_exception_fp_ieee_overflow 0
		.amdhsa_exception_fp_ieee_underflow 0
		.amdhsa_exception_fp_ieee_inexact 0
		.amdhsa_exception_int_div_zero 0
	.end_amdhsa_kernel
	.section	.text._ZN12_GLOBAL__N_127rocblas_gemm_batched_kernelIfLi16ELi16ELi32ELi32ELi8ELi32ELi8ELi8ELi32ELc67ELc84EKfS1_fEEvlllT_PT11_llS4_llS2_PT12_llPT13_lli,"axG",@progbits,_ZN12_GLOBAL__N_127rocblas_gemm_batched_kernelIfLi16ELi16ELi32ELi32ELi8ELi32ELi8ELi8ELi32ELc67ELc84EKfS1_fEEvlllT_PT11_llS4_llS2_PT12_llPT13_lli,comdat
.Lfunc_end46:
	.size	_ZN12_GLOBAL__N_127rocblas_gemm_batched_kernelIfLi16ELi16ELi32ELi32ELi8ELi32ELi8ELi8ELi32ELc67ELc84EKfS1_fEEvlllT_PT11_llS4_llS2_PT12_llPT13_lli, .Lfunc_end46-_ZN12_GLOBAL__N_127rocblas_gemm_batched_kernelIfLi16ELi16ELi32ELi32ELi8ELi32ELi8ELi8ELi32ELc67ELc84EKfS1_fEEvlllT_PT11_llS4_llS2_PT12_llPT13_lli
                                        ; -- End function
	.section	.AMDGPU.csdata,"",@progbits
; Kernel info:
; codeLenInByte = 1500
; NumSgprs: 28
; NumVgprs: 70
; NumAgprs: 0
; TotalNumVgprs: 70
; ScratchSize: 0
; MemoryBound: 0
; FloatMode: 240
; IeeeMode: 1
; LDSByteSize: 2048 bytes/workgroup (compile time only)
; SGPRBlocks: 3
; VGPRBlocks: 8
; NumSGPRsForWavesPerEU: 28
; NumVGPRsForWavesPerEU: 70
; AccumOffset: 72
; Occupancy: 7
; WaveLimiterHint : 0
; COMPUTE_PGM_RSRC2:SCRATCH_EN: 0
; COMPUTE_PGM_RSRC2:USER_SGPR: 6
; COMPUTE_PGM_RSRC2:TRAP_HANDLER: 0
; COMPUTE_PGM_RSRC2:TGID_X_EN: 1
; COMPUTE_PGM_RSRC2:TGID_Y_EN: 1
; COMPUTE_PGM_RSRC2:TGID_Z_EN: 1
; COMPUTE_PGM_RSRC2:TIDIG_COMP_CNT: 1
; COMPUTE_PGM_RSRC3_GFX90A:ACCUM_OFFSET: 17
; COMPUTE_PGM_RSRC3_GFX90A:TG_SPLIT: 0
	.section	.text._ZN12_GLOBAL__N_127rocblas_gemm_batched_kernelIfLi16ELi16ELi32ELi32ELi8ELi32ELi8ELi8ELi32ELc78ELc67EKfS1_fEEvlllT_PT11_llS4_llS2_PT12_llPT13_lli,"axG",@progbits,_ZN12_GLOBAL__N_127rocblas_gemm_batched_kernelIfLi16ELi16ELi32ELi32ELi8ELi32ELi8ELi8ELi32ELc78ELc67EKfS1_fEEvlllT_PT11_llS4_llS2_PT12_llPT13_lli,comdat
	.globl	_ZN12_GLOBAL__N_127rocblas_gemm_batched_kernelIfLi16ELi16ELi32ELi32ELi8ELi32ELi8ELi8ELi32ELc78ELc67EKfS1_fEEvlllT_PT11_llS4_llS2_PT12_llPT13_lli ; -- Begin function _ZN12_GLOBAL__N_127rocblas_gemm_batched_kernelIfLi16ELi16ELi32ELi32ELi8ELi32ELi8ELi8ELi32ELc78ELc67EKfS1_fEEvlllT_PT11_llS4_llS2_PT12_llPT13_lli
	.p2align	8
	.type	_ZN12_GLOBAL__N_127rocblas_gemm_batched_kernelIfLi16ELi16ELi32ELi32ELi8ELi32ELi8ELi8ELi32ELc78ELc67EKfS1_fEEvlllT_PT11_llS4_llS2_PT12_llPT13_lli,@function
_ZN12_GLOBAL__N_127rocblas_gemm_batched_kernelIfLi16ELi16ELi32ELi32ELi8ELi32ELi8ELi8ELi32ELc78ELc67EKfS1_fEEvlllT_PT11_llS4_llS2_PT12_llPT13_lli: ; @_ZN12_GLOBAL__N_127rocblas_gemm_batched_kernelIfLi16ELi16ELi32ELi32ELi8ELi32ELi8ELi8ELi32ELc78ELc67EKfS1_fEEvlllT_PT11_llS4_llS2_PT12_llPT13_lli
; %bb.0:
	s_load_dwordx2 s[20:21], s[4:5], 0x10
	s_mov_b32 s0, s7
	s_ashr_i32 s1, s0, 31
	s_ashr_i32 s7, s6, 31
	s_lshl_b64 s[10:11], s[0:1], 5
	s_waitcnt lgkmcnt(0)
	v_cmp_lt_i64_e64 s[0:1], s[20:21], 1
	v_bfe_u32 v11, v0, 10, 10
	v_and_b32_e32 v10, 0x3ff, v0
	s_lshl_b64 s[6:7], s[6:7], 5
	s_and_b64 vcc, exec, s[0:1]
	s_cbranch_vccnz .LBB47_3
; %bb.1:
	v_lshl_add_u32 v2, v11, 4, v10
	s_load_dwordx8 s[12:19], s[4:5], 0x20
	s_load_dwordx4 s[0:3], s[4:5], 0x40
	v_and_b32_e32 v8, 31, v2
	v_lshrrev_b32_e32 v0, 3, v2
	v_and_b32_e32 v4, 7, v10
	v_lshrrev_b32_e32 v6, 5, v2
	v_lshlrev_b32_e32 v2, 2, v8
	v_lshl_or_b32 v12, v6, 7, v2
	v_lshlrev_b32_e32 v2, 2, v4
	v_lshl_or_b32 v2, v0, 5, v2
	v_mov_b32_e32 v1, 0
	v_add_u32_e32 v13, 0x400, v2
	v_mov_b32_e32 v2, 0x400
	v_lshl_add_u32 v15, v11, 5, v2
	s_waitcnt lgkmcnt(0)
	v_mad_u64_u32 v[2:3], s[22:23], v4, s0, v[0:1]
	s_mul_i32 s3, s3, s8
	s_mul_hi_u32 s9, s2, s8
	v_mov_b32_e32 v0, v3
	s_add_i32 s3, s9, s3
	s_mul_i32 s2, s2, s8
	v_mad_u64_u32 v[4:5], s[22:23], v4, s1, v[0:1]
	s_lshl_b64 s[2:3], s[2:3], 2
	v_mov_b32_e32 v3, v4
	v_mov_b32_e32 v0, s11
	v_add_co_u32_e32 v2, vcc, s10, v2
	v_addc_co_u32_e32 v3, vcc, v3, v0, vcc
	s_add_u32 s2, s18, s2
	v_lshlrev_b64 v[2:3], 2, v[2:3]
	s_addc_u32 s3, s19, s3
	v_mov_b32_e32 v0, s3
	v_add_co_u32_e32 v4, vcc, s2, v2
	v_addc_co_u32_e32 v5, vcc, v0, v3, vcc
	s_mul_i32 s2, s17, s8
	s_mul_hi_u32 s3, s16, s8
	v_pk_mov_b32 v[2:3], s[6:7], s[6:7] op_sel:[0,1]
	s_add_i32 s3, s3, s2
	s_mul_i32 s2, s16, s8
	v_mad_u64_u32 v[2:3], s[16:17], v6, s14, v[2:3]
	v_mov_b32_e32 v0, v3
	v_mad_u64_u32 v[6:7], s[16:17], v6, s15, v[0:1]
	s_lshl_b64 s[0:1], s[0:1], 5
	s_lshl_b64 s[2:3], s[2:3], 2
	v_mov_b32_e32 v3, v6
	v_add_co_u32_e32 v2, vcc, v2, v8
	v_addc_co_u32_e32 v3, vcc, 0, v3, vcc
	s_add_u32 s2, s12, s2
	v_lshlrev_b64 v[2:3], 2, v[2:3]
	s_addc_u32 s3, s13, s3
	v_mov_b32_e32 v0, s3
	v_add_co_u32_e32 v6, vcc, s2, v2
	s_lshl_b64 s[2:3], s[14:15], 5
	v_lshlrev_b32_e32 v14, 2, v10
	v_addc_co_u32_e32 v7, vcc, v0, v3, vcc
	s_mov_b64 s[12:13], 0
	v_mov_b32_e32 v16, s1
	v_mov_b32_e32 v17, s3
	v_pk_mov_b32 v[8:9], s[20:21], s[20:21] op_sel:[0,1]
	v_mov_b32_e32 v0, v1
	v_mov_b32_e32 v2, v1
	;; [unrolled: 1-line block ×3, first 2 shown]
.LBB47_2:                               ; =>This Inner Loop Header: Depth=1
	global_load_dword v18, v[6:7], off
	global_load_dword v19, v[4:5], off
	v_add_co_u32_e32 v4, vcc, s0, v4
	v_addc_co_u32_e32 v5, vcc, v5, v16, vcc
	s_add_u32 s12, s12, 8
	v_add_co_u32_e32 v6, vcc, s2, v6
	v_addc_co_u32_e32 v7, vcc, v7, v17, vcc
	s_addc_u32 s13, s13, 0
	v_cmp_lt_i64_e32 vcc, s[12:13], v[8:9]
	s_and_b64 vcc, exec, vcc
	s_waitcnt vmcnt(1)
	ds_write_b32 v12, v18
	s_waitcnt vmcnt(0)
	ds_write_b32 v13, v19
	s_waitcnt lgkmcnt(0)
	s_barrier
	ds_read2_b32 v[34:35], v14 offset1:16
	ds_read2_b32 v[36:37], v14 offset0:32 offset1:48
	ds_read_b128 v[18:21], v15
	ds_read_b128 v[22:25], v15 offset:16
	ds_read2_b32 v[38:39], v14 offset0:64 offset1:80
	ds_read2_b32 v[40:41], v14 offset0:96 offset1:112
	ds_read2_b32 v[42:43], v14 offset0:128 offset1:144
	ds_read2_b32 v[44:45], v14 offset0:160 offset1:176
	ds_read_b128 v[26:29], v15 offset:512
	ds_read_b128 v[30:33], v15 offset:528
	ds_read2_b32 v[46:47], v14 offset0:192 offset1:208
	s_waitcnt lgkmcnt(10)
	v_mov_b32_e32 v50, v35
	s_waitcnt lgkmcnt(9)
	v_mov_b32_e32 v51, v37
	s_waitcnt lgkmcnt(8)
	v_mul_f32_e32 v49, v34, v18
	v_mul_f32_e32 v35, v36, v19
	s_waitcnt lgkmcnt(5)
	v_mov_b32_e32 v53, v41
	v_pk_mul_f32 v[18:19], v[50:51], v[18:19]
	ds_read2_b32 v[54:55], v14 offset0:224 offset1:240
	s_waitcnt lgkmcnt(3)
	v_mul_f32_e32 v41, v34, v26
	v_mul_f32_e32 v57, v36, v27
	v_pk_mul_f32 v[26:27], v[50:51], v[26:27]
	v_mov_b32_e32 v52, v39
	v_mul_f32_e32 v39, v40, v21
	v_mul_f32_e32 v61, v40, v29
	v_mov_b32_e32 v48, v18
	v_mov_b32_e32 v40, v26
	v_mul_f32_e32 v37, v38, v20
	v_pk_mul_f32 v[20:21], v[52:53], v[20:21]
	v_mul_f32_e32 v59, v38, v28
	v_pk_mul_f32 v[28:29], v[52:53], v[28:29]
	v_mov_b32_e32 v34, v19
	v_mov_b32_e32 v56, v27
	v_pk_add_f32 v[2:3], v[2:3], v[48:49]
	v_pk_add_f32 v[0:1], v[0:1], v[40:41]
	v_mov_b32_e32 v50, v43
	v_mov_b32_e32 v51, v45
	;; [unrolled: 1-line block ×4, first 2 shown]
	v_pk_add_f32 v[2:3], v[2:3], v[34:35]
	v_pk_add_f32 v[0:1], v[0:1], v[56:57]
	v_mul_f32_e32 v43, v42, v22
	v_mul_f32_e32 v45, v44, v23
	v_pk_mul_f32 v[22:23], v[50:51], v[22:23]
	s_waitcnt lgkmcnt(2)
	v_mul_f32_e32 v63, v42, v30
	v_mul_f32_e32 v65, v44, v31
	v_pk_mul_f32 v[30:31], v[50:51], v[30:31]
	v_mov_b32_e32 v38, v21
	v_mov_b32_e32 v60, v29
	v_pk_add_f32 v[2:3], v[2:3], v[36:37]
	v_pk_add_f32 v[0:1], v[0:1], v[58:59]
	s_waitcnt lgkmcnt(1)
	v_mov_b32_e32 v52, v47
	s_waitcnt lgkmcnt(0)
	v_mov_b32_e32 v53, v55
	v_mov_b32_e32 v42, v22
	;; [unrolled: 1-line block ×3, first 2 shown]
	v_pk_add_f32 v[2:3], v[2:3], v[38:39]
	v_pk_add_f32 v[0:1], v[0:1], v[60:61]
	v_mul_f32_e32 v47, v46, v24
	v_mul_f32_e32 v55, v54, v25
	v_pk_mul_f32 v[24:25], v[52:53], v[24:25]
	v_mul_f32_e32 v67, v46, v32
	v_mul_f32_e32 v69, v54, v33
	v_pk_mul_f32 v[32:33], v[52:53], v[32:33]
	v_mov_b32_e32 v44, v23
	v_mov_b32_e32 v64, v31
	v_pk_add_f32 v[2:3], v[2:3], v[42:43]
	v_pk_add_f32 v[0:1], v[0:1], v[62:63]
	v_mov_b32_e32 v46, v24
	v_mov_b32_e32 v66, v32
	v_pk_add_f32 v[2:3], v[2:3], v[44:45]
	v_pk_add_f32 v[0:1], v[0:1], v[64:65]
	;; [unrolled: 4-line block ×3, first 2 shown]
	v_pk_add_f32 v[2:3], v[2:3], v[54:55]
	v_pk_add_f32 v[0:1], v[0:1], v[68:69]
	s_barrier
	s_cbranch_vccnz .LBB47_2
	s_branch .LBB47_4
.LBB47_3:
	v_mov_b32_e32 v3, 0
	v_mov_b32_e32 v2, v3
	;; [unrolled: 1-line block ×4, first 2 shown]
.LBB47_4:
	s_load_dwordx4 s[0:3], s[4:5], 0x78
	s_load_dword s9, s[4:5], 0x18
	s_load_dword s20, s[4:5], 0x50
	s_load_dwordx8 s[12:19], s[4:5], 0x58
	v_mov_b32_e32 v4, s11
	s_waitcnt lgkmcnt(0)
	s_mul_i32 s3, s8, s3
	s_mul_hi_u32 s4, s8, s2
	s_add_i32 s3, s4, s3
	s_mul_i32 s2, s8, s2
	v_add_co_u32_e32 v6, vcc, s10, v11
	s_lshl_b64 s[2:3], s[2:3], 2
	v_addc_co_u32_e32 v9, vcc, 0, v4, vcc
	s_add_u32 s4, s18, s2
	v_mov_b32_e32 v5, s7
	v_add_co_u32_e32 v4, vcc, s6, v10
	s_addc_u32 s5, s19, s3
	v_cmp_neq_f32_e64 s[2:3], s20, 0
	v_addc_co_u32_e32 v5, vcc, 0, v5, vcc
	s_and_b64 vcc, exec, s[2:3]
	v_mul_lo_u32 v7, v9, s0
	v_mul_lo_u32 v8, v6, s1
	v_lshlrev_b64 v[4:5], 2, v[4:5]
	s_cbranch_vccnz .LBB47_8
; %bb.5:
	v_mad_u64_u32 v[10:11], s[2:3], v6, s0, 0
	v_add3_u32 v11, v11, v8, v7
	v_lshlrev_b64 v[10:11], 2, v[10:11]
	v_mov_b32_e32 v12, s5
	v_add_co_u32_e32 v10, vcc, s4, v10
	v_addc_co_u32_e32 v11, vcc, v12, v11, vcc
	v_add_co_u32_e32 v10, vcc, v10, v4
	v_mul_f32_e32 v12, s9, v3
	v_addc_co_u32_e32 v11, vcc, v11, v5, vcc
	global_store_dword v[10:11], v12, off
	v_mul_f32_e32 v12, s9, v2
	s_lshl_b64 s[2:3], s[0:1], 6
	global_store_dword v[10:11], v12, off offset:64
	v_mov_b32_e32 v13, s3
	v_add_co_u32_e32 v10, vcc, s2, v10
	v_mul_f32_e32 v12, s9, v1
	v_addc_co_u32_e32 v11, vcc, v11, v13, vcc
	global_store_dword v[10:11], v12, off
	v_mul_f32_e32 v12, s9, v0
	global_store_dword v[10:11], v12, off offset:64
	s_cbranch_execnz .LBB47_7
.LBB47_6:
	s_mul_i32 s2, s8, s17
	s_mul_hi_u32 s3, s8, s16
	s_add_i32 s3, s3, s2
	s_mul_i32 s2, s8, s16
	s_lshl_b64 s[2:3], s[2:3], 2
	s_add_u32 s6, s12, s2
	s_addc_u32 s7, s13, s3
	v_mul_lo_u32 v9, v9, s14
	v_mul_lo_u32 v12, v6, s15
	v_mad_u64_u32 v[10:11], s[2:3], v6, s14, 0
	v_add3_u32 v11, v11, v12, v9
	v_lshlrev_b64 v[10:11], 2, v[10:11]
	v_mov_b32_e32 v9, s7
	v_add_co_u32_e32 v10, vcc, s6, v10
	v_addc_co_u32_e32 v9, vcc, v9, v11, vcc
	v_add_co_u32_e32 v10, vcc, v10, v4
	v_addc_co_u32_e32 v11, vcc, v9, v5, vcc
	global_load_dword v9, v[10:11], off
	v_mad_u64_u32 v[12:13], s[2:3], v6, s0, 0
	v_add3_u32 v13, v13, v8, v7
	v_lshlrev_b64 v[6:7], 2, v[12:13]
	v_mov_b32_e32 v14, s5
	v_add_co_u32_e32 v6, vcc, s4, v6
	v_addc_co_u32_e32 v7, vcc, v14, v7, vcc
	v_add_co_u32_e32 v4, vcc, v6, v4
	v_addc_co_u32_e32 v5, vcc, v7, v5, vcc
	s_lshl_b64 s[2:3], s[14:15], 6
	v_mov_b32_e32 v7, s3
	s_lshl_b64 s[0:1], s[0:1], 6
	s_waitcnt vmcnt(0)
	v_mul_f32_e32 v6, s20, v9
	v_fmac_f32_e32 v6, s9, v3
	global_store_dword v[4:5], v6, off
	global_load_dword v3, v[10:11], off offset:64
	v_add_co_u32_e32 v6, vcc, s2, v10
	v_addc_co_u32_e32 v7, vcc, v11, v7, vcc
	s_waitcnt vmcnt(0)
	v_mul_f32_e32 v3, s20, v3
	v_fmac_f32_e32 v3, s9, v2
	global_store_dword v[4:5], v3, off offset:64
	global_load_dword v2, v[6:7], off
	v_mov_b32_e32 v3, s1
	s_waitcnt vmcnt(0)
	v_mul_f32_e32 v8, s20, v2
	v_add_co_u32_e32 v2, vcc, s0, v4
	v_fmac_f32_e32 v8, s9, v1
	v_addc_co_u32_e32 v3, vcc, v5, v3, vcc
	global_store_dword v[2:3], v8, off
	global_load_dword v1, v[6:7], off offset:64
	s_waitcnt vmcnt(0)
	v_mul_f32_e32 v1, s20, v1
	v_fmac_f32_e32 v1, s9, v0
	global_store_dword v[2:3], v1, off offset:64
.LBB47_7:
	s_endpgm
.LBB47_8:
	s_branch .LBB47_6
	.section	.rodata,"a",@progbits
	.p2align	6, 0x0
	.amdhsa_kernel _ZN12_GLOBAL__N_127rocblas_gemm_batched_kernelIfLi16ELi16ELi32ELi32ELi8ELi32ELi8ELi8ELi32ELc78ELc67EKfS1_fEEvlllT_PT11_llS4_llS2_PT12_llPT13_lli
		.amdhsa_group_segment_fixed_size 2048
		.amdhsa_private_segment_fixed_size 0
		.amdhsa_kernarg_size 140
		.amdhsa_user_sgpr_count 6
		.amdhsa_user_sgpr_private_segment_buffer 1
		.amdhsa_user_sgpr_dispatch_ptr 0
		.amdhsa_user_sgpr_queue_ptr 0
		.amdhsa_user_sgpr_kernarg_segment_ptr 1
		.amdhsa_user_sgpr_dispatch_id 0
		.amdhsa_user_sgpr_flat_scratch_init 0
		.amdhsa_user_sgpr_kernarg_preload_length 0
		.amdhsa_user_sgpr_kernarg_preload_offset 0
		.amdhsa_user_sgpr_private_segment_size 0
		.amdhsa_uses_dynamic_stack 0
		.amdhsa_system_sgpr_private_segment_wavefront_offset 0
		.amdhsa_system_sgpr_workgroup_id_x 1
		.amdhsa_system_sgpr_workgroup_id_y 1
		.amdhsa_system_sgpr_workgroup_id_z 1
		.amdhsa_system_sgpr_workgroup_info 0
		.amdhsa_system_vgpr_workitem_id 1
		.amdhsa_next_free_vgpr 70
		.amdhsa_next_free_sgpr 24
		.amdhsa_accum_offset 72
		.amdhsa_reserve_vcc 1
		.amdhsa_reserve_flat_scratch 0
		.amdhsa_float_round_mode_32 0
		.amdhsa_float_round_mode_16_64 0
		.amdhsa_float_denorm_mode_32 3
		.amdhsa_float_denorm_mode_16_64 3
		.amdhsa_dx10_clamp 1
		.amdhsa_ieee_mode 1
		.amdhsa_fp16_overflow 0
		.amdhsa_tg_split 0
		.amdhsa_exception_fp_ieee_invalid_op 0
		.amdhsa_exception_fp_denorm_src 0
		.amdhsa_exception_fp_ieee_div_zero 0
		.amdhsa_exception_fp_ieee_overflow 0
		.amdhsa_exception_fp_ieee_underflow 0
		.amdhsa_exception_fp_ieee_inexact 0
		.amdhsa_exception_int_div_zero 0
	.end_amdhsa_kernel
	.section	.text._ZN12_GLOBAL__N_127rocblas_gemm_batched_kernelIfLi16ELi16ELi32ELi32ELi8ELi32ELi8ELi8ELi32ELc78ELc67EKfS1_fEEvlllT_PT11_llS4_llS2_PT12_llPT13_lli,"axG",@progbits,_ZN12_GLOBAL__N_127rocblas_gemm_batched_kernelIfLi16ELi16ELi32ELi32ELi8ELi32ELi8ELi8ELi32ELc78ELc67EKfS1_fEEvlllT_PT11_llS4_llS2_PT12_llPT13_lli,comdat
.Lfunc_end47:
	.size	_ZN12_GLOBAL__N_127rocblas_gemm_batched_kernelIfLi16ELi16ELi32ELi32ELi8ELi32ELi8ELi8ELi32ELc78ELc67EKfS1_fEEvlllT_PT11_llS4_llS2_PT12_llPT13_lli, .Lfunc_end47-_ZN12_GLOBAL__N_127rocblas_gemm_batched_kernelIfLi16ELi16ELi32ELi32ELi8ELi32ELi8ELi8ELi32ELc78ELc67EKfS1_fEEvlllT_PT11_llS4_llS2_PT12_llPT13_lli
                                        ; -- End function
	.section	.AMDGPU.csdata,"",@progbits
; Kernel info:
; codeLenInByte = 1488
; NumSgprs: 28
; NumVgprs: 70
; NumAgprs: 0
; TotalNumVgprs: 70
; ScratchSize: 0
; MemoryBound: 0
; FloatMode: 240
; IeeeMode: 1
; LDSByteSize: 2048 bytes/workgroup (compile time only)
; SGPRBlocks: 3
; VGPRBlocks: 8
; NumSGPRsForWavesPerEU: 28
; NumVGPRsForWavesPerEU: 70
; AccumOffset: 72
; Occupancy: 7
; WaveLimiterHint : 0
; COMPUTE_PGM_RSRC2:SCRATCH_EN: 0
; COMPUTE_PGM_RSRC2:USER_SGPR: 6
; COMPUTE_PGM_RSRC2:TRAP_HANDLER: 0
; COMPUTE_PGM_RSRC2:TGID_X_EN: 1
; COMPUTE_PGM_RSRC2:TGID_Y_EN: 1
; COMPUTE_PGM_RSRC2:TGID_Z_EN: 1
; COMPUTE_PGM_RSRC2:TIDIG_COMP_CNT: 1
; COMPUTE_PGM_RSRC3_GFX90A:ACCUM_OFFSET: 17
; COMPUTE_PGM_RSRC3_GFX90A:TG_SPLIT: 0
	.section	.text._ZN12_GLOBAL__N_127rocblas_gemm_batched_kernelIfLi16ELi16ELi32ELi32ELi8ELi32ELi8ELi8ELi32ELc84ELc67EKfS1_fEEvlllT_PT11_llS4_llS2_PT12_llPT13_lli,"axG",@progbits,_ZN12_GLOBAL__N_127rocblas_gemm_batched_kernelIfLi16ELi16ELi32ELi32ELi8ELi32ELi8ELi8ELi32ELc84ELc67EKfS1_fEEvlllT_PT11_llS4_llS2_PT12_llPT13_lli,comdat
	.globl	_ZN12_GLOBAL__N_127rocblas_gemm_batched_kernelIfLi16ELi16ELi32ELi32ELi8ELi32ELi8ELi8ELi32ELc84ELc67EKfS1_fEEvlllT_PT11_llS4_llS2_PT12_llPT13_lli ; -- Begin function _ZN12_GLOBAL__N_127rocblas_gemm_batched_kernelIfLi16ELi16ELi32ELi32ELi8ELi32ELi8ELi8ELi32ELc84ELc67EKfS1_fEEvlllT_PT11_llS4_llS2_PT12_llPT13_lli
	.p2align	8
	.type	_ZN12_GLOBAL__N_127rocblas_gemm_batched_kernelIfLi16ELi16ELi32ELi32ELi8ELi32ELi8ELi8ELi32ELc84ELc67EKfS1_fEEvlllT_PT11_llS4_llS2_PT12_llPT13_lli,@function
_ZN12_GLOBAL__N_127rocblas_gemm_batched_kernelIfLi16ELi16ELi32ELi32ELi8ELi32ELi8ELi8ELi32ELc84ELc67EKfS1_fEEvlllT_PT11_llS4_llS2_PT12_llPT13_lli: ; @_ZN12_GLOBAL__N_127rocblas_gemm_batched_kernelIfLi16ELi16ELi32ELi32ELi8ELi32ELi8ELi8ELi32ELc84ELc67EKfS1_fEEvlllT_PT11_llS4_llS2_PT12_llPT13_lli
; %bb.0:
	s_load_dwordx2 s[20:21], s[4:5], 0x10
	s_mov_b32 s0, s7
	s_ashr_i32 s1, s0, 31
	s_ashr_i32 s7, s6, 31
	s_lshl_b64 s[10:11], s[0:1], 5
	s_waitcnt lgkmcnt(0)
	v_cmp_lt_i64_e64 s[0:1], s[20:21], 1
	v_bfe_u32 v11, v0, 10, 10
	v_and_b32_e32 v10, 0x3ff, v0
	s_lshl_b64 s[6:7], s[6:7], 5
	s_and_b64 vcc, exec, s[0:1]
	s_cbranch_vccnz .LBB48_3
; %bb.1:
	v_lshl_add_u32 v2, v11, 4, v10
	s_load_dwordx8 s[12:19], s[4:5], 0x20
	s_load_dwordx4 s[0:3], s[4:5], 0x40
	v_and_b32_e32 v6, 31, v2
	v_lshrrev_b32_e32 v0, 3, v2
	v_and_b32_e32 v4, 7, v10
	v_lshrrev_b32_e32 v7, 5, v2
	v_lshlrev_b32_e32 v2, 2, v6
	v_lshl_or_b32 v12, v7, 7, v2
	v_lshlrev_b32_e32 v2, 2, v4
	v_lshl_or_b32 v2, v0, 5, v2
	v_mov_b32_e32 v1, 0
	v_add_u32_e32 v13, 0x400, v2
	v_mov_b32_e32 v2, 0x400
	v_lshl_add_u32 v15, v11, 5, v2
	s_waitcnt lgkmcnt(0)
	v_mad_u64_u32 v[2:3], s[22:23], v4, s0, v[0:1]
	s_mul_i32 s3, s3, s8
	s_mul_hi_u32 s9, s2, s8
	v_mov_b32_e32 v0, v3
	s_add_i32 s3, s9, s3
	s_mul_i32 s2, s2, s8
	v_mad_u64_u32 v[4:5], s[22:23], v4, s1, v[0:1]
	s_lshl_b64 s[2:3], s[2:3], 2
	v_mov_b32_e32 v3, v4
	v_mov_b32_e32 v0, s11
	v_add_co_u32_e32 v2, vcc, s10, v2
	v_addc_co_u32_e32 v3, vcc, v3, v0, vcc
	s_add_u32 s2, s18, s2
	v_lshlrev_b64 v[2:3], 2, v[2:3]
	s_addc_u32 s3, s19, s3
	v_mov_b32_e32 v0, s3
	v_add_co_u32_e32 v4, vcc, s2, v2
	v_addc_co_u32_e32 v5, vcc, v0, v3, vcc
	v_mov_b32_e32 v0, s7
	v_add_co_u32_e32 v2, vcc, s6, v6
	v_addc_co_u32_e32 v0, vcc, 0, v0, vcc
	v_mul_lo_u32 v6, s15, v2
	v_mad_u64_u32 v[2:3], s[2:3], s14, v2, 0
	v_mul_lo_u32 v0, s14, v0
	s_mul_i32 s2, s17, s8
	s_mul_hi_u32 s3, s16, s8
	v_add3_u32 v3, v3, v0, v6
	s_add_i32 s3, s3, s2
	s_mul_i32 s2, s16, s8
	v_lshlrev_b64 v[2:3], 2, v[2:3]
	s_lshl_b64 s[2:3], s[2:3], 2
	v_mov_b32_e32 v0, s3
	v_add_co_u32_e32 v2, vcc, s2, v2
	v_addc_co_u32_e32 v0, vcc, v3, v0, vcc
	v_lshlrev_b32_e32 v3, 2, v7
	v_add_co_u32_e32 v2, vcc, v2, v3
	v_addc_co_u32_e32 v0, vcc, 0, v0, vcc
	s_lshl_b64 s[0:1], s[0:1], 5
	v_mov_b32_e32 v3, s13
	v_add_co_u32_e32 v6, vcc, s12, v2
	v_lshlrev_b32_e32 v14, 2, v10
	v_addc_co_u32_e32 v7, vcc, v3, v0, vcc
	s_mov_b64 s[2:3], 0
	v_mov_b32_e32 v16, s1
	v_pk_mov_b32 v[8:9], s[20:21], s[20:21] op_sel:[0,1]
	v_mov_b32_e32 v0, v1
	v_mov_b32_e32 v2, v1
	;; [unrolled: 1-line block ×3, first 2 shown]
.LBB48_2:                               ; =>This Inner Loop Header: Depth=1
	global_load_dword v17, v[6:7], off
	global_load_dword v18, v[4:5], off
	v_add_co_u32_e32 v4, vcc, s0, v4
	v_addc_co_u32_e32 v5, vcc, v5, v16, vcc
	s_add_u32 s2, s2, 8
	v_add_co_u32_e32 v6, vcc, 32, v6
	v_addc_co_u32_e32 v7, vcc, 0, v7, vcc
	s_addc_u32 s3, s3, 0
	v_cmp_lt_i64_e32 vcc, s[2:3], v[8:9]
	s_and_b64 vcc, exec, vcc
	s_waitcnt vmcnt(1)
	ds_write_b32 v12, v17
	s_waitcnt vmcnt(0)
	ds_write_b32 v13, v18
	s_waitcnt lgkmcnt(0)
	s_barrier
	ds_read2_b32 v[34:35], v14 offset1:16
	ds_read2_b32 v[36:37], v14 offset0:32 offset1:48
	ds_read_b128 v[18:21], v15
	ds_read_b128 v[22:25], v15 offset:16
	ds_read2_b32 v[38:39], v14 offset0:64 offset1:80
	ds_read2_b32 v[40:41], v14 offset0:96 offset1:112
	;; [unrolled: 1-line block ×4, first 2 shown]
	ds_read_b128 v[26:29], v15 offset:512
	ds_read_b128 v[30:33], v15 offset:528
	ds_read2_b32 v[46:47], v14 offset0:192 offset1:208
	s_waitcnt lgkmcnt(10)
	v_mov_b32_e32 v50, v35
	s_waitcnt lgkmcnt(9)
	v_mov_b32_e32 v51, v37
	s_waitcnt lgkmcnt(8)
	v_mul_f32_e32 v49, v34, v18
	v_mul_f32_e32 v35, v36, v19
	s_waitcnt lgkmcnt(5)
	v_mov_b32_e32 v53, v41
	v_pk_mul_f32 v[18:19], v[50:51], v[18:19]
	ds_read2_b32 v[54:55], v14 offset0:224 offset1:240
	s_waitcnt lgkmcnt(3)
	v_mul_f32_e32 v41, v34, v26
	v_mul_f32_e32 v57, v36, v27
	v_pk_mul_f32 v[26:27], v[50:51], v[26:27]
	v_mov_b32_e32 v52, v39
	v_mul_f32_e32 v39, v40, v21
	v_mul_f32_e32 v61, v40, v29
	v_mov_b32_e32 v48, v18
	v_mov_b32_e32 v40, v26
	v_mul_f32_e32 v37, v38, v20
	v_pk_mul_f32 v[20:21], v[52:53], v[20:21]
	v_mul_f32_e32 v59, v38, v28
	v_pk_mul_f32 v[28:29], v[52:53], v[28:29]
	v_mov_b32_e32 v34, v19
	v_mov_b32_e32 v56, v27
	v_pk_add_f32 v[2:3], v[2:3], v[48:49]
	v_pk_add_f32 v[0:1], v[0:1], v[40:41]
	v_mov_b32_e32 v50, v43
	v_mov_b32_e32 v51, v45
	;; [unrolled: 1-line block ×4, first 2 shown]
	v_pk_add_f32 v[2:3], v[2:3], v[34:35]
	v_pk_add_f32 v[0:1], v[0:1], v[56:57]
	v_mul_f32_e32 v43, v42, v22
	v_mul_f32_e32 v45, v44, v23
	v_pk_mul_f32 v[22:23], v[50:51], v[22:23]
	s_waitcnt lgkmcnt(2)
	v_mul_f32_e32 v63, v42, v30
	v_mul_f32_e32 v65, v44, v31
	v_pk_mul_f32 v[30:31], v[50:51], v[30:31]
	v_mov_b32_e32 v38, v21
	v_mov_b32_e32 v60, v29
	v_pk_add_f32 v[2:3], v[2:3], v[36:37]
	v_pk_add_f32 v[0:1], v[0:1], v[58:59]
	s_waitcnt lgkmcnt(1)
	v_mov_b32_e32 v52, v47
	s_waitcnt lgkmcnt(0)
	v_mov_b32_e32 v53, v55
	v_mov_b32_e32 v42, v22
	;; [unrolled: 1-line block ×3, first 2 shown]
	v_pk_add_f32 v[2:3], v[2:3], v[38:39]
	v_pk_add_f32 v[0:1], v[0:1], v[60:61]
	v_mul_f32_e32 v47, v46, v24
	v_mul_f32_e32 v55, v54, v25
	v_pk_mul_f32 v[24:25], v[52:53], v[24:25]
	v_mul_f32_e32 v67, v46, v32
	v_mul_f32_e32 v69, v54, v33
	v_pk_mul_f32 v[32:33], v[52:53], v[32:33]
	v_mov_b32_e32 v44, v23
	v_mov_b32_e32 v64, v31
	v_pk_add_f32 v[2:3], v[2:3], v[42:43]
	v_pk_add_f32 v[0:1], v[0:1], v[62:63]
	v_mov_b32_e32 v46, v24
	v_mov_b32_e32 v66, v32
	v_pk_add_f32 v[2:3], v[2:3], v[44:45]
	v_pk_add_f32 v[0:1], v[0:1], v[64:65]
	;; [unrolled: 4-line block ×3, first 2 shown]
	v_pk_add_f32 v[2:3], v[2:3], v[54:55]
	v_pk_add_f32 v[0:1], v[0:1], v[68:69]
	s_barrier
	s_cbranch_vccnz .LBB48_2
	s_branch .LBB48_4
.LBB48_3:
	v_mov_b32_e32 v3, 0
	v_mov_b32_e32 v2, v3
	v_mov_b32_e32 v1, v3
	v_mov_b32_e32 v0, v3
.LBB48_4:
	s_load_dwordx4 s[0:3], s[4:5], 0x78
	s_load_dword s9, s[4:5], 0x18
	s_load_dword s20, s[4:5], 0x50
	s_load_dwordx8 s[12:19], s[4:5], 0x58
	v_mov_b32_e32 v4, s11
	s_waitcnt lgkmcnt(0)
	s_mul_i32 s3, s8, s3
	s_mul_hi_u32 s4, s8, s2
	s_add_i32 s3, s4, s3
	s_mul_i32 s2, s8, s2
	v_add_co_u32_e32 v6, vcc, s10, v11
	s_lshl_b64 s[2:3], s[2:3], 2
	v_addc_co_u32_e32 v9, vcc, 0, v4, vcc
	s_add_u32 s4, s18, s2
	v_mov_b32_e32 v5, s7
	v_add_co_u32_e32 v4, vcc, s6, v10
	s_addc_u32 s5, s19, s3
	v_cmp_neq_f32_e64 s[2:3], s20, 0
	v_addc_co_u32_e32 v5, vcc, 0, v5, vcc
	s_and_b64 vcc, exec, s[2:3]
	v_mul_lo_u32 v7, v9, s0
	v_mul_lo_u32 v8, v6, s1
	v_lshlrev_b64 v[4:5], 2, v[4:5]
	s_cbranch_vccnz .LBB48_8
; %bb.5:
	v_mad_u64_u32 v[10:11], s[2:3], v6, s0, 0
	v_add3_u32 v11, v11, v8, v7
	v_lshlrev_b64 v[10:11], 2, v[10:11]
	v_mov_b32_e32 v12, s5
	v_add_co_u32_e32 v10, vcc, s4, v10
	v_addc_co_u32_e32 v11, vcc, v12, v11, vcc
	v_add_co_u32_e32 v10, vcc, v10, v4
	v_mul_f32_e32 v12, s9, v3
	v_addc_co_u32_e32 v11, vcc, v11, v5, vcc
	global_store_dword v[10:11], v12, off
	v_mul_f32_e32 v12, s9, v2
	s_lshl_b64 s[2:3], s[0:1], 6
	global_store_dword v[10:11], v12, off offset:64
	v_mov_b32_e32 v13, s3
	v_add_co_u32_e32 v10, vcc, s2, v10
	v_mul_f32_e32 v12, s9, v1
	v_addc_co_u32_e32 v11, vcc, v11, v13, vcc
	global_store_dword v[10:11], v12, off
	v_mul_f32_e32 v12, s9, v0
	global_store_dword v[10:11], v12, off offset:64
	s_cbranch_execnz .LBB48_7
.LBB48_6:
	s_mul_i32 s2, s8, s17
	s_mul_hi_u32 s3, s8, s16
	s_add_i32 s3, s3, s2
	s_mul_i32 s2, s8, s16
	s_lshl_b64 s[2:3], s[2:3], 2
	s_add_u32 s6, s12, s2
	s_addc_u32 s7, s13, s3
	v_mul_lo_u32 v9, v9, s14
	v_mul_lo_u32 v12, v6, s15
	v_mad_u64_u32 v[10:11], s[2:3], v6, s14, 0
	v_add3_u32 v11, v11, v12, v9
	v_lshlrev_b64 v[10:11], 2, v[10:11]
	v_mov_b32_e32 v9, s7
	v_add_co_u32_e32 v10, vcc, s6, v10
	v_addc_co_u32_e32 v9, vcc, v9, v11, vcc
	v_add_co_u32_e32 v10, vcc, v10, v4
	v_addc_co_u32_e32 v11, vcc, v9, v5, vcc
	global_load_dword v9, v[10:11], off
	v_mad_u64_u32 v[12:13], s[2:3], v6, s0, 0
	v_add3_u32 v13, v13, v8, v7
	v_lshlrev_b64 v[6:7], 2, v[12:13]
	v_mov_b32_e32 v14, s5
	v_add_co_u32_e32 v6, vcc, s4, v6
	v_addc_co_u32_e32 v7, vcc, v14, v7, vcc
	v_add_co_u32_e32 v4, vcc, v6, v4
	v_addc_co_u32_e32 v5, vcc, v7, v5, vcc
	s_lshl_b64 s[2:3], s[14:15], 6
	v_mov_b32_e32 v7, s3
	s_lshl_b64 s[0:1], s[0:1], 6
	s_waitcnt vmcnt(0)
	v_mul_f32_e32 v6, s20, v9
	v_fmac_f32_e32 v6, s9, v3
	global_store_dword v[4:5], v6, off
	global_load_dword v3, v[10:11], off offset:64
	v_add_co_u32_e32 v6, vcc, s2, v10
	v_addc_co_u32_e32 v7, vcc, v11, v7, vcc
	s_waitcnt vmcnt(0)
	v_mul_f32_e32 v3, s20, v3
	v_fmac_f32_e32 v3, s9, v2
	global_store_dword v[4:5], v3, off offset:64
	global_load_dword v2, v[6:7], off
	v_mov_b32_e32 v3, s1
	s_waitcnt vmcnt(0)
	v_mul_f32_e32 v8, s20, v2
	v_add_co_u32_e32 v2, vcc, s0, v4
	v_fmac_f32_e32 v8, s9, v1
	v_addc_co_u32_e32 v3, vcc, v5, v3, vcc
	global_store_dword v[2:3], v8, off
	global_load_dword v1, v[6:7], off offset:64
	s_waitcnt vmcnt(0)
	v_mul_f32_e32 v1, s20, v1
	v_fmac_f32_e32 v1, s9, v0
	global_store_dword v[2:3], v1, off offset:64
.LBB48_7:
	s_endpgm
.LBB48_8:
	s_branch .LBB48_6
	.section	.rodata,"a",@progbits
	.p2align	6, 0x0
	.amdhsa_kernel _ZN12_GLOBAL__N_127rocblas_gemm_batched_kernelIfLi16ELi16ELi32ELi32ELi8ELi32ELi8ELi8ELi32ELc84ELc67EKfS1_fEEvlllT_PT11_llS4_llS2_PT12_llPT13_lli
		.amdhsa_group_segment_fixed_size 2048
		.amdhsa_private_segment_fixed_size 0
		.amdhsa_kernarg_size 140
		.amdhsa_user_sgpr_count 6
		.amdhsa_user_sgpr_private_segment_buffer 1
		.amdhsa_user_sgpr_dispatch_ptr 0
		.amdhsa_user_sgpr_queue_ptr 0
		.amdhsa_user_sgpr_kernarg_segment_ptr 1
		.amdhsa_user_sgpr_dispatch_id 0
		.amdhsa_user_sgpr_flat_scratch_init 0
		.amdhsa_user_sgpr_kernarg_preload_length 0
		.amdhsa_user_sgpr_kernarg_preload_offset 0
		.amdhsa_user_sgpr_private_segment_size 0
		.amdhsa_uses_dynamic_stack 0
		.amdhsa_system_sgpr_private_segment_wavefront_offset 0
		.amdhsa_system_sgpr_workgroup_id_x 1
		.amdhsa_system_sgpr_workgroup_id_y 1
		.amdhsa_system_sgpr_workgroup_id_z 1
		.amdhsa_system_sgpr_workgroup_info 0
		.amdhsa_system_vgpr_workitem_id 1
		.amdhsa_next_free_vgpr 70
		.amdhsa_next_free_sgpr 24
		.amdhsa_accum_offset 72
		.amdhsa_reserve_vcc 1
		.amdhsa_reserve_flat_scratch 0
		.amdhsa_float_round_mode_32 0
		.amdhsa_float_round_mode_16_64 0
		.amdhsa_float_denorm_mode_32 3
		.amdhsa_float_denorm_mode_16_64 3
		.amdhsa_dx10_clamp 1
		.amdhsa_ieee_mode 1
		.amdhsa_fp16_overflow 0
		.amdhsa_tg_split 0
		.amdhsa_exception_fp_ieee_invalid_op 0
		.amdhsa_exception_fp_denorm_src 0
		.amdhsa_exception_fp_ieee_div_zero 0
		.amdhsa_exception_fp_ieee_overflow 0
		.amdhsa_exception_fp_ieee_underflow 0
		.amdhsa_exception_fp_ieee_inexact 0
		.amdhsa_exception_int_div_zero 0
	.end_amdhsa_kernel
	.section	.text._ZN12_GLOBAL__N_127rocblas_gemm_batched_kernelIfLi16ELi16ELi32ELi32ELi8ELi32ELi8ELi8ELi32ELc84ELc67EKfS1_fEEvlllT_PT11_llS4_llS2_PT12_llPT13_lli,"axG",@progbits,_ZN12_GLOBAL__N_127rocblas_gemm_batched_kernelIfLi16ELi16ELi32ELi32ELi8ELi32ELi8ELi8ELi32ELc84ELc67EKfS1_fEEvlllT_PT11_llS4_llS2_PT12_llPT13_lli,comdat
.Lfunc_end48:
	.size	_ZN12_GLOBAL__N_127rocblas_gemm_batched_kernelIfLi16ELi16ELi32ELi32ELi8ELi32ELi8ELi8ELi32ELc84ELc67EKfS1_fEEvlllT_PT11_llS4_llS2_PT12_llPT13_lli, .Lfunc_end48-_ZN12_GLOBAL__N_127rocblas_gemm_batched_kernelIfLi16ELi16ELi32ELi32ELi8ELi32ELi8ELi8ELi32ELc84ELc67EKfS1_fEEvlllT_PT11_llS4_llS2_PT12_llPT13_lli
                                        ; -- End function
	.section	.AMDGPU.csdata,"",@progbits
; Kernel info:
; codeLenInByte = 1500
; NumSgprs: 28
; NumVgprs: 70
; NumAgprs: 0
; TotalNumVgprs: 70
; ScratchSize: 0
; MemoryBound: 0
; FloatMode: 240
; IeeeMode: 1
; LDSByteSize: 2048 bytes/workgroup (compile time only)
; SGPRBlocks: 3
; VGPRBlocks: 8
; NumSGPRsForWavesPerEU: 28
; NumVGPRsForWavesPerEU: 70
; AccumOffset: 72
; Occupancy: 7
; WaveLimiterHint : 0
; COMPUTE_PGM_RSRC2:SCRATCH_EN: 0
; COMPUTE_PGM_RSRC2:USER_SGPR: 6
; COMPUTE_PGM_RSRC2:TRAP_HANDLER: 0
; COMPUTE_PGM_RSRC2:TGID_X_EN: 1
; COMPUTE_PGM_RSRC2:TGID_Y_EN: 1
; COMPUTE_PGM_RSRC2:TGID_Z_EN: 1
; COMPUTE_PGM_RSRC2:TIDIG_COMP_CNT: 1
; COMPUTE_PGM_RSRC3_GFX90A:ACCUM_OFFSET: 17
; COMPUTE_PGM_RSRC3_GFX90A:TG_SPLIT: 0
	.section	.text._ZN12_GLOBAL__N_135rocblas_gemm_batched_general_kernelIfLi16ELi16ELi32ELi32ELi8ELi32ELi8ELi8ELi32ELc78ELc78EKfS1_fEEvlllT_PT11_llS4_llS2_PT12_llPT13_lli,"axG",@progbits,_ZN12_GLOBAL__N_135rocblas_gemm_batched_general_kernelIfLi16ELi16ELi32ELi32ELi8ELi32ELi8ELi8ELi32ELc78ELc78EKfS1_fEEvlllT_PT11_llS4_llS2_PT12_llPT13_lli,comdat
	.globl	_ZN12_GLOBAL__N_135rocblas_gemm_batched_general_kernelIfLi16ELi16ELi32ELi32ELi8ELi32ELi8ELi8ELi32ELc78ELc78EKfS1_fEEvlllT_PT11_llS4_llS2_PT12_llPT13_lli ; -- Begin function _ZN12_GLOBAL__N_135rocblas_gemm_batched_general_kernelIfLi16ELi16ELi32ELi32ELi8ELi32ELi8ELi8ELi32ELc78ELc78EKfS1_fEEvlllT_PT11_llS4_llS2_PT12_llPT13_lli
	.p2align	8
	.type	_ZN12_GLOBAL__N_135rocblas_gemm_batched_general_kernelIfLi16ELi16ELi32ELi32ELi8ELi32ELi8ELi8ELi32ELc78ELc78EKfS1_fEEvlllT_PT11_llS4_llS2_PT12_llPT13_lli,@function
_ZN12_GLOBAL__N_135rocblas_gemm_batched_general_kernelIfLi16ELi16ELi32ELi32ELi8ELi32ELi8ELi8ELi32ELc78ELc78EKfS1_fEEvlllT_PT11_llS4_llS2_PT12_llPT13_lli: ; @_ZN12_GLOBAL__N_135rocblas_gemm_batched_general_kernelIfLi16ELi16ELi32ELi32ELi8ELi32ELi8ELi8ELi32ELc78ELc78EKfS1_fEEvlllT_PT11_llS4_llS2_PT12_llPT13_lli
; %bb.0:
	s_load_dwordx4 s[20:23], s[4:5], 0x0
	s_load_dwordx2 s[24:25], s[4:5], 0x10
	s_mov_b32 s0, s7
	s_ashr_i32 s1, s0, 31
	s_ashr_i32 s7, s6, 31
	s_lshl_b64 s[28:29], s[0:1], 5
	s_waitcnt lgkmcnt(0)
	v_cmp_lt_i64_e64 s[0:1], s[24:25], 1
	v_mov_b32_e32 v3, 0
	v_and_b32_e32 v14, 0x3ff, v0
	v_bfe_u32 v5, v0, 10, 10
	s_lshl_b64 s[10:11], s[6:7], 5
	s_and_b64 vcc, exec, s[0:1]
	v_mov_b32_e32 v2, v3
	v_mov_b32_e32 v1, v3
	;; [unrolled: 1-line block ×3, first 2 shown]
	s_cbranch_vccnz .LBB49_7
; %bb.1:
	v_lshl_add_u32 v1, v5, 4, v14
	s_load_dwordx8 s[12:19], s[4:5], 0x20
	s_load_dwordx4 s[36:39], s[4:5], 0x40
	v_lshrrev_b32_e32 v4, 5, v1
	v_lshrrev_b32_e32 v10, 3, v1
	v_and_b32_e32 v1, 31, v1
	v_and_b32_e32 v6, 7, v14
	v_mov_b32_e32 v9, s11
	v_or_b32_e32 v8, s10, v1
	v_cmp_gt_i64_e64 s[0:1], s[20:21], v[8:9]
	v_lshlrev_b32_e32 v8, 2, v6
	v_mov_b32_e32 v3, s29
	v_add_co_u32_e32 v2, vcc, s28, v10
	v_lshl_or_b32 v9, v10, 5, v8
	v_addc_co_u32_e32 v3, vcc, 0, v3, vcc
	v_add_u32_e32 v15, 0x400, v9
	v_mov_b32_e32 v9, 0x400
	v_cmp_gt_i64_e64 s[2:3], s[22:23], v[2:3]
	v_lshl_add_u32 v17, v5, 5, v9
	s_waitcnt lgkmcnt(0)
	v_mul_lo_u32 v9, s37, v2
	v_mul_lo_u32 v10, s36, v3
	v_mad_u64_u32 v[2:3], s[26:27], s36, v2, 0
	s_mul_i32 s9, s39, s8
	s_mul_hi_u32 s26, s38, s8
	v_add3_u32 v3, v3, v10, v9
	s_add_i32 s27, s26, s9
	s_mul_i32 s26, s38, s8
	v_lshlrev_b64 v[2:3], 2, v[2:3]
	s_lshl_b64 s[26:27], s[26:27], 2
	v_mov_b32_e32 v9, s27
	v_add_co_u32_e32 v2, vcc, s26, v2
	v_addc_co_u32_e32 v3, vcc, v3, v9, vcc
	v_add_co_u32_e32 v2, vcc, v2, v8
	v_addc_co_u32_e32 v3, vcc, 0, v3, vcc
	v_mov_b32_e32 v9, s19
	v_add_co_u32_e32 v8, vcc, s18, v2
	v_addc_co_u32_e32 v9, vcc, v9, v3, vcc
	v_mad_u64_u32 v[2:3], s[18:19], s14, v4, 0
	s_mul_i32 s9, s17, s8
	s_mul_hi_u32 s17, s16, s8
	v_mov_b32_e32 v10, v3
	s_add_i32 s17, s17, s9
	s_mul_i32 s16, s16, s8
	v_mad_u64_u32 v[10:11], s[18:19], s15, v4, v[10:11]
	s_lshl_b64 s[16:17], s[16:17], 2
	s_lshl_b64 s[6:7], s[6:7], 7
	v_mov_b32_e32 v3, v10
	s_add_u32 s6, s6, s16
	v_lshlrev_b64 v[2:3], 2, v[2:3]
	s_addc_u32 s7, s7, s17
	v_mov_b32_e32 v10, s7
	v_add_co_u32_e32 v2, vcc, s6, v2
	v_lshlrev_b32_e32 v1, 2, v1
	v_addc_co_u32_e32 v3, vcc, v10, v3, vcc
	v_lshl_or_b32 v7, v4, 7, v1
	v_add_co_u32_e32 v1, vcc, v2, v1
	v_addc_co_u32_e32 v2, vcc, 0, v3, vcc
	v_mov_b32_e32 v0, 0
	v_mov_b32_e32 v3, s13
	v_add_co_u32_e32 v10, vcc, s12, v1
	s_lshl_b64 s[6:7], s[14:15], 5
	v_lshlrev_b32_e32 v16, 2, v14
	v_addc_co_u32_e32 v11, vcc, v3, v2, vcc
	s_mov_b64 s[12:13], 0
	v_mov_b32_e32 v18, s7
	v_pk_mov_b32 v[12:13], s[24:25], s[24:25] op_sel:[0,1]
	v_mov_b32_e32 v1, v0
	v_mov_b32_e32 v2, v0
	;; [unrolled: 1-line block ×3, first 2 shown]
	s_branch .LBB49_3
.LBB49_2:                               ;   in Loop: Header=BB49_3 Depth=1
	s_or_b64 exec, exec, s[14:15]
	s_waitcnt vmcnt(0)
	ds_write_b32 v15, v19
	s_waitcnt lgkmcnt(0)
	s_barrier
	ds_read_b128 v[20:23], v17
	ds_read_b128 v[24:27], v17 offset:16
	ds_read2_b32 v[36:37], v16 offset1:16
	ds_read2_b32 v[38:39], v16 offset0:32 offset1:48
	ds_read2_b32 v[40:41], v16 offset0:64 offset1:80
	;; [unrolled: 1-line block ×4, first 2 shown]
	ds_read_b128 v[28:31], v17 offset:512
	ds_read_b128 v[32:35], v17 offset:528
	ds_read2_b32 v[46:47], v16 offset0:160 offset1:176
	ds_read2_b32 v[48:49], v16 offset0:192 offset1:208
	;; [unrolled: 1-line block ×3, first 2 shown]
	s_waitcnt lgkmcnt(9)
	v_pk_fma_f32 v[2:3], v[36:37], v[20:21], v[2:3] op_sel_hi:[1,0,1]
	s_waitcnt lgkmcnt(8)
	v_pk_fma_f32 v[2:3], v[38:39], v[20:21], v[2:3] op_sel:[0,1,0]
	s_waitcnt lgkmcnt(7)
	v_pk_fma_f32 v[2:3], v[40:41], v[22:23], v[2:3] op_sel_hi:[1,0,1]
	v_mov_b32_e32 v20, v23
	s_waitcnt lgkmcnt(6)
	v_pk_fma_f32 v[2:3], v[42:43], v[20:21], v[2:3] op_sel_hi:[1,0,1]
	s_waitcnt lgkmcnt(5)
	v_pk_fma_f32 v[2:3], v[44:45], v[24:25], v[2:3] op_sel_hi:[1,0,1]
	s_waitcnt lgkmcnt(2)
	v_pk_fma_f32 v[2:3], v[46:47], v[24:25], v[2:3] op_sel:[0,1,0]
	v_pk_fma_f32 v[0:1], v[36:37], v[28:29], v[0:1] op_sel_hi:[1,0,1]
	s_waitcnt lgkmcnt(1)
	v_pk_fma_f32 v[2:3], v[48:49], v[26:27], v[2:3] op_sel_hi:[1,0,1]
	v_mov_b32_e32 v20, v27
	v_pk_fma_f32 v[0:1], v[38:39], v[28:29], v[0:1] op_sel:[0,1,0]
	s_waitcnt lgkmcnt(0)
	v_pk_fma_f32 v[2:3], v[50:51], v[20:21], v[2:3] op_sel_hi:[1,0,1]
	v_pk_fma_f32 v[0:1], v[40:41], v[30:31], v[0:1] op_sel_hi:[1,0,1]
	v_mov_b32_e32 v20, v31
	v_add_co_u32_e32 v8, vcc, 32, v8
	v_pk_fma_f32 v[0:1], v[42:43], v[20:21], v[0:1] op_sel_hi:[1,0,1]
	v_addc_co_u32_e32 v9, vcc, 0, v9, vcc
	v_pk_fma_f32 v[0:1], v[44:45], v[32:33], v[0:1] op_sel_hi:[1,0,1]
	s_add_u32 s12, s12, 8
	v_add_co_u32_e32 v10, vcc, s6, v10
	v_pk_fma_f32 v[0:1], v[46:47], v[32:33], v[0:1] op_sel:[0,1,0]
	s_addc_u32 s13, s13, 0
	v_addc_co_u32_e32 v11, vcc, v11, v18, vcc
	v_pk_fma_f32 v[0:1], v[48:49], v[34:35], v[0:1] op_sel_hi:[1,0,1]
	v_mov_b32_e32 v20, v35
	v_cmp_lt_i64_e32 vcc, s[12:13], v[12:13]
	v_pk_fma_f32 v[0:1], v[50:51], v[20:21], v[0:1] op_sel_hi:[1,0,1]
	s_barrier
	s_cbranch_vccz .LBB49_7
.LBB49_3:                               ; =>This Inner Loop Header: Depth=1
	v_mov_b32_e32 v19, s13
	v_add_co_u32_e32 v20, vcc, s12, v4
	v_addc_co_u32_e32 v21, vcc, 0, v19, vcc
	v_cmp_gt_i64_e32 vcc, s[24:25], v[20:21]
	s_and_b64 s[16:17], s[0:1], vcc
	v_mov_b32_e32 v19, 0
	s_and_saveexec_b64 s[14:15], s[16:17]
	s_cbranch_execz .LBB49_5
; %bb.4:                                ;   in Loop: Header=BB49_3 Depth=1
	global_load_dword v19, v[10:11], off
.LBB49_5:                               ;   in Loop: Header=BB49_3 Depth=1
	s_or_b64 exec, exec, s[14:15]
	s_waitcnt vmcnt(0)
	ds_write_b32 v7, v19
	v_mov_b32_e32 v19, s13
	v_add_co_u32_e32 v20, vcc, s12, v6
	v_addc_co_u32_e32 v21, vcc, 0, v19, vcc
	v_cmp_gt_i64_e32 vcc, s[24:25], v[20:21]
	s_and_b64 s[16:17], vcc, s[2:3]
	v_mov_b32_e32 v19, 0
	s_and_saveexec_b64 s[14:15], s[16:17]
	s_cbranch_execz .LBB49_2
; %bb.6:                                ;   in Loop: Header=BB49_3 Depth=1
	global_load_dword v19, v[8:9], off
	s_branch .LBB49_2
.LBB49_7:
	s_load_dwordx4 s[24:27], s[4:5], 0x78
	s_load_dword s9, s[4:5], 0x18
	s_load_dword s30, s[4:5], 0x50
	s_load_dwordx8 s[12:19], s[4:5], 0x58
	v_mov_b32_e32 v6, s29
	s_waitcnt lgkmcnt(0)
	s_mul_i32 s0, s8, s27
	s_mul_hi_u32 s1, s8, s26
	s_add_i32 s1, s1, s0
	s_mul_i32 s0, s8, s26
	s_lshl_b64 s[0:1], s[0:1], 2
	v_add_co_u32_e32 v4, vcc, s28, v5
	s_add_u32 s26, s18, s0
	v_addc_co_u32_e32 v5, vcc, 0, v6, vcc
	v_cmp_neq_f32_e64 s[2:3], s30, 0
	s_addc_u32 s27, s19, s1
	v_cmp_gt_i64_e64 s[0:1], s[22:23], v[4:5]
	s_and_b64 vcc, exec, s[2:3]
	s_cbranch_vccnz .LBB49_20
; %bb.8:
	s_and_saveexec_b64 s[6:7], s[0:1]
	s_cbranch_execz .LBB49_18
; %bb.9:
	v_mov_b32_e32 v6, s11
	v_add_co_u32_e32 v8, vcc, s10, v14
	v_addc_co_u32_e32 v9, vcc, 0, v6, vcc
	v_mul_lo_u32 v10, v5, s24
	v_mul_lo_u32 v11, v4, s25
	v_mad_u64_u32 v[6:7], s[2:3], v4, s24, 0
	v_add3_u32 v7, v7, v11, v10
	v_lshlrev_b64 v[6:7], 2, v[6:7]
	v_mov_b32_e32 v11, s27
	v_add_co_u32_e64 v10, s[2:3], s26, v6
	v_cmp_gt_i64_e32 vcc, s[20:21], v[8:9]
	v_addc_co_u32_e64 v11, s[2:3], v11, v7, s[2:3]
	v_lshlrev_b64 v[6:7], 2, v[8:9]
	s_and_saveexec_b64 s[4:5], vcc
	s_cbranch_execz .LBB49_11
; %bb.10:
	v_add_co_u32_e64 v12, s[2:3], v10, v6
	v_addc_co_u32_e64 v13, s[2:3], v11, v7, s[2:3]
	v_mul_f32_e32 v15, s9, v2
	global_store_dword v[12:13], v15, off
.LBB49_11:
	s_or_b64 exec, exec, s[4:5]
	v_add_co_u32_e64 v8, s[2:3], 16, v8
	v_addc_co_u32_e64 v9, s[2:3], 0, v9, s[2:3]
	v_cmp_gt_i64_e64 s[2:3], s[20:21], v[8:9]
	s_and_saveexec_b64 s[18:19], s[2:3]
	s_cbranch_execz .LBB49_13
; %bb.12:
	v_add_co_u32_e64 v8, s[4:5], v10, v6
	v_addc_co_u32_e64 v9, s[4:5], v11, v7, s[4:5]
	v_mul_f32_e32 v12, s9, v3
	global_store_dword v[8:9], v12, off offset:64
.LBB49_13:
	s_or_b64 exec, exec, s[18:19]
	v_add_co_u32_e64 v8, s[4:5], 16, v4
	v_addc_co_u32_e64 v9, s[4:5], 0, v5, s[4:5]
	v_cmp_gt_i64_e64 s[4:5], s[22:23], v[8:9]
	s_and_b64 exec, exec, s[4:5]
	s_cbranch_execz .LBB49_18
; %bb.14:
	s_lshl_b64 s[4:5], s[24:25], 6
	v_mov_b32_e32 v8, s5
	v_add_co_u32_e64 v9, s[4:5], s4, v10
	v_addc_co_u32_e64 v8, s[4:5], v11, v8, s[4:5]
	v_add_co_u32_e64 v6, s[4:5], v9, v6
	v_addc_co_u32_e64 v7, s[4:5], v8, v7, s[4:5]
	s_and_saveexec_b64 s[4:5], vcc
	s_cbranch_execz .LBB49_16
; %bb.15:
	v_mul_f32_e32 v8, s9, v0
	global_store_dword v[6:7], v8, off
.LBB49_16:
	s_or_b64 exec, exec, s[4:5]
	s_and_b64 exec, exec, s[2:3]
	s_cbranch_execz .LBB49_18
; %bb.17:
	v_mul_f32_e32 v8, s9, v1
	global_store_dword v[6:7], v8, off offset:64
.LBB49_18:
	s_or_b64 exec, exec, s[6:7]
	s_cbranch_execz .LBB49_21
.LBB49_19:
	s_endpgm
.LBB49_20:
.LBB49_21:
	s_and_saveexec_b64 s[2:3], s[0:1]
	s_cbranch_execz .LBB49_19
; %bb.22:
	s_mul_i32 s0, s8, s17
	s_mul_hi_u32 s1, s8, s16
	s_add_i32 s1, s1, s0
	s_mul_i32 s0, s8, s16
	s_lshl_b64 s[0:1], s[0:1], 2
	s_add_u32 s2, s12, s0
	v_mov_b32_e32 v6, s11
	v_add_co_u32_e32 v8, vcc, s10, v14
	s_addc_u32 s3, s13, s1
	v_addc_co_u32_e32 v9, vcc, 0, v6, vcc
	v_mul_lo_u32 v10, v5, s14
	v_mul_lo_u32 v11, v4, s15
	v_mad_u64_u32 v[6:7], s[0:1], v4, s14, 0
	v_add3_u32 v7, v7, v11, v10
	v_mul_lo_u32 v10, v5, s24
	v_mul_lo_u32 v11, v4, s25
	v_mad_u64_u32 v[12:13], s[0:1], v4, s24, 0
	v_lshlrev_b64 v[6:7], 2, v[6:7]
	v_add3_u32 v13, v13, v11, v10
	v_mov_b32_e32 v11, s3
	v_add_co_u32_e64 v10, s[0:1], s2, v6
	v_addc_co_u32_e64 v11, s[0:1], v11, v7, s[0:1]
	v_lshlrev_b64 v[6:7], 2, v[12:13]
	v_mov_b32_e32 v13, s27
	v_add_co_u32_e64 v12, s[0:1], s26, v6
	v_cmp_gt_i64_e32 vcc, s[20:21], v[8:9]
	v_addc_co_u32_e64 v13, s[0:1], v13, v7, s[0:1]
	v_lshlrev_b64 v[6:7], 2, v[8:9]
	s_and_saveexec_b64 s[2:3], vcc
	s_cbranch_execz .LBB49_24
; %bb.23:
	v_add_co_u32_e64 v14, s[0:1], v10, v6
	v_addc_co_u32_e64 v15, s[0:1], v11, v7, s[0:1]
	global_load_dword v14, v[14:15], off
	s_waitcnt vmcnt(0)
	v_mul_f32_e32 v16, s30, v14
	v_add_co_u32_e64 v14, s[0:1], v12, v6
	v_fmac_f32_e32 v16, s9, v2
	v_addc_co_u32_e64 v15, s[0:1], v13, v7, s[0:1]
	global_store_dword v[14:15], v16, off
.LBB49_24:
	s_or_b64 exec, exec, s[2:3]
	v_add_co_u32_e64 v8, s[0:1], 16, v8
	v_addc_co_u32_e64 v9, s[0:1], 0, v9, s[0:1]
	v_cmp_gt_i64_e64 s[0:1], s[20:21], v[8:9]
	s_and_saveexec_b64 s[4:5], s[0:1]
	s_cbranch_execz .LBB49_26
; %bb.25:
	v_add_co_u32_e64 v8, s[2:3], v10, v6
	v_addc_co_u32_e64 v9, s[2:3], v11, v7, s[2:3]
	global_load_dword v2, v[8:9], off offset:64
	s_waitcnt vmcnt(0)
	v_mul_f32_e32 v8, s30, v2
	v_add_co_u32_e64 v2, s[2:3], v12, v6
	v_fmac_f32_e32 v8, s9, v3
	v_addc_co_u32_e64 v3, s[2:3], v13, v7, s[2:3]
	global_store_dword v[2:3], v8, off offset:64
.LBB49_26:
	s_or_b64 exec, exec, s[4:5]
	v_add_co_u32_e64 v2, s[2:3], 16, v4
	v_addc_co_u32_e64 v3, s[2:3], 0, v5, s[2:3]
	v_cmp_gt_i64_e64 s[2:3], s[22:23], v[2:3]
	s_and_b64 exec, exec, s[2:3]
	s_cbranch_execz .LBB49_19
; %bb.27:
	s_lshl_b64 s[2:3], s[14:15], 6
	v_mov_b32_e32 v2, s3
	v_add_co_u32_e64 v3, s[2:3], s2, v10
	v_addc_co_u32_e64 v4, s[2:3], v11, v2, s[2:3]
	s_lshl_b64 s[2:3], s[24:25], 6
	v_mov_b32_e32 v2, s3
	v_add_co_u32_e64 v5, s[2:3], s2, v12
	v_addc_co_u32_e64 v8, s[2:3], v13, v2, s[2:3]
	v_add_co_u32_e64 v2, s[2:3], v3, v6
	v_addc_co_u32_e64 v3, s[2:3], v4, v7, s[2:3]
	;; [unrolled: 2-line block ×3, first 2 shown]
	s_and_saveexec_b64 s[2:3], vcc
	s_cbranch_execz .LBB49_29
; %bb.28:
	global_load_dword v6, v[2:3], off
	s_waitcnt vmcnt(0)
	v_mul_f32_e32 v6, s30, v6
	v_fmac_f32_e32 v6, s9, v0
	global_store_dword v[4:5], v6, off
.LBB49_29:
	s_or_b64 exec, exec, s[2:3]
	s_and_b64 exec, exec, s[0:1]
	s_cbranch_execz .LBB49_19
; %bb.30:
	global_load_dword v0, v[2:3], off offset:64
	s_waitcnt vmcnt(0)
	v_mul_f32_e32 v0, s30, v0
	v_fmac_f32_e32 v0, s9, v1
	global_store_dword v[4:5], v0, off offset:64
	s_endpgm
	.section	.rodata,"a",@progbits
	.p2align	6, 0x0
	.amdhsa_kernel _ZN12_GLOBAL__N_135rocblas_gemm_batched_general_kernelIfLi16ELi16ELi32ELi32ELi8ELi32ELi8ELi8ELi32ELc78ELc78EKfS1_fEEvlllT_PT11_llS4_llS2_PT12_llPT13_lli
		.amdhsa_group_segment_fixed_size 2048
		.amdhsa_private_segment_fixed_size 0
		.amdhsa_kernarg_size 140
		.amdhsa_user_sgpr_count 6
		.amdhsa_user_sgpr_private_segment_buffer 1
		.amdhsa_user_sgpr_dispatch_ptr 0
		.amdhsa_user_sgpr_queue_ptr 0
		.amdhsa_user_sgpr_kernarg_segment_ptr 1
		.amdhsa_user_sgpr_dispatch_id 0
		.amdhsa_user_sgpr_flat_scratch_init 0
		.amdhsa_user_sgpr_kernarg_preload_length 0
		.amdhsa_user_sgpr_kernarg_preload_offset 0
		.amdhsa_user_sgpr_private_segment_size 0
		.amdhsa_uses_dynamic_stack 0
		.amdhsa_system_sgpr_private_segment_wavefront_offset 0
		.amdhsa_system_sgpr_workgroup_id_x 1
		.amdhsa_system_sgpr_workgroup_id_y 1
		.amdhsa_system_sgpr_workgroup_id_z 1
		.amdhsa_system_sgpr_workgroup_info 0
		.amdhsa_system_vgpr_workitem_id 1
		.amdhsa_next_free_vgpr 52
		.amdhsa_next_free_sgpr 40
		.amdhsa_accum_offset 52
		.amdhsa_reserve_vcc 1
		.amdhsa_reserve_flat_scratch 0
		.amdhsa_float_round_mode_32 0
		.amdhsa_float_round_mode_16_64 0
		.amdhsa_float_denorm_mode_32 3
		.amdhsa_float_denorm_mode_16_64 3
		.amdhsa_dx10_clamp 1
		.amdhsa_ieee_mode 1
		.amdhsa_fp16_overflow 0
		.amdhsa_tg_split 0
		.amdhsa_exception_fp_ieee_invalid_op 0
		.amdhsa_exception_fp_denorm_src 0
		.amdhsa_exception_fp_ieee_div_zero 0
		.amdhsa_exception_fp_ieee_overflow 0
		.amdhsa_exception_fp_ieee_underflow 0
		.amdhsa_exception_fp_ieee_inexact 0
		.amdhsa_exception_int_div_zero 0
	.end_amdhsa_kernel
	.section	.text._ZN12_GLOBAL__N_135rocblas_gemm_batched_general_kernelIfLi16ELi16ELi32ELi32ELi8ELi32ELi8ELi8ELi32ELc78ELc78EKfS1_fEEvlllT_PT11_llS4_llS2_PT12_llPT13_lli,"axG",@progbits,_ZN12_GLOBAL__N_135rocblas_gemm_batched_general_kernelIfLi16ELi16ELi32ELi32ELi8ELi32ELi8ELi8ELi32ELc78ELc78EKfS1_fEEvlllT_PT11_llS4_llS2_PT12_llPT13_lli,comdat
.Lfunc_end49:
	.size	_ZN12_GLOBAL__N_135rocblas_gemm_batched_general_kernelIfLi16ELi16ELi32ELi32ELi8ELi32ELi8ELi8ELi32ELc78ELc78EKfS1_fEEvlllT_PT11_llS4_llS2_PT12_llPT13_lli, .Lfunc_end49-_ZN12_GLOBAL__N_135rocblas_gemm_batched_general_kernelIfLi16ELi16ELi32ELi32ELi8ELi32ELi8ELi8ELi32ELc78ELc78EKfS1_fEEvlllT_PT11_llS4_llS2_PT12_llPT13_lli
                                        ; -- End function
	.section	.AMDGPU.csdata,"",@progbits
; Kernel info:
; codeLenInByte = 1844
; NumSgprs: 44
; NumVgprs: 52
; NumAgprs: 0
; TotalNumVgprs: 52
; ScratchSize: 0
; MemoryBound: 0
; FloatMode: 240
; IeeeMode: 1
; LDSByteSize: 2048 bytes/workgroup (compile time only)
; SGPRBlocks: 5
; VGPRBlocks: 6
; NumSGPRsForWavesPerEU: 44
; NumVGPRsForWavesPerEU: 52
; AccumOffset: 52
; Occupancy: 8
; WaveLimiterHint : 0
; COMPUTE_PGM_RSRC2:SCRATCH_EN: 0
; COMPUTE_PGM_RSRC2:USER_SGPR: 6
; COMPUTE_PGM_RSRC2:TRAP_HANDLER: 0
; COMPUTE_PGM_RSRC2:TGID_X_EN: 1
; COMPUTE_PGM_RSRC2:TGID_Y_EN: 1
; COMPUTE_PGM_RSRC2:TGID_Z_EN: 1
; COMPUTE_PGM_RSRC2:TIDIG_COMP_CNT: 1
; COMPUTE_PGM_RSRC3_GFX90A:ACCUM_OFFSET: 12
; COMPUTE_PGM_RSRC3_GFX90A:TG_SPLIT: 0
	.section	.text._ZN12_GLOBAL__N_135rocblas_gemm_batched_general_kernelIfLi16ELi16ELi32ELi32ELi8ELi32ELi8ELi8ELi32ELc84ELc78EKfS1_fEEvlllT_PT11_llS4_llS2_PT12_llPT13_lli,"axG",@progbits,_ZN12_GLOBAL__N_135rocblas_gemm_batched_general_kernelIfLi16ELi16ELi32ELi32ELi8ELi32ELi8ELi8ELi32ELc84ELc78EKfS1_fEEvlllT_PT11_llS4_llS2_PT12_llPT13_lli,comdat
	.globl	_ZN12_GLOBAL__N_135rocblas_gemm_batched_general_kernelIfLi16ELi16ELi32ELi32ELi8ELi32ELi8ELi8ELi32ELc84ELc78EKfS1_fEEvlllT_PT11_llS4_llS2_PT12_llPT13_lli ; -- Begin function _ZN12_GLOBAL__N_135rocblas_gemm_batched_general_kernelIfLi16ELi16ELi32ELi32ELi8ELi32ELi8ELi8ELi32ELc84ELc78EKfS1_fEEvlllT_PT11_llS4_llS2_PT12_llPT13_lli
	.p2align	8
	.type	_ZN12_GLOBAL__N_135rocblas_gemm_batched_general_kernelIfLi16ELi16ELi32ELi32ELi8ELi32ELi8ELi8ELi32ELc84ELc78EKfS1_fEEvlllT_PT11_llS4_llS2_PT12_llPT13_lli,@function
_ZN12_GLOBAL__N_135rocblas_gemm_batched_general_kernelIfLi16ELi16ELi32ELi32ELi8ELi32ELi8ELi8ELi32ELc84ELc78EKfS1_fEEvlllT_PT11_llS4_llS2_PT12_llPT13_lli: ; @_ZN12_GLOBAL__N_135rocblas_gemm_batched_general_kernelIfLi16ELi16ELi32ELi32ELi8ELi32ELi8ELi8ELi32ELc84ELc78EKfS1_fEEvlllT_PT11_llS4_llS2_PT12_llPT13_lli
; %bb.0:
	s_load_dwordx4 s[20:23], s[4:5], 0x0
	s_load_dwordx2 s[24:25], s[4:5], 0x10
	s_mov_b32 s0, s7
	s_ashr_i32 s1, s0, 31
	s_ashr_i32 s7, s6, 31
	s_lshl_b64 s[10:11], s[0:1], 5
	s_waitcnt lgkmcnt(0)
	v_cmp_lt_i64_e64 s[0:1], s[24:25], 1
	v_mov_b32_e32 v3, 0
	v_and_b32_e32 v14, 0x3ff, v0
	v_bfe_u32 v5, v0, 10, 10
	s_lshl_b64 s[6:7], s[6:7], 5
	s_and_b64 vcc, exec, s[0:1]
	v_mov_b32_e32 v2, v3
	v_mov_b32_e32 v1, v3
	;; [unrolled: 1-line block ×3, first 2 shown]
	s_cbranch_vccnz .LBB50_7
; %bb.1:
	v_lshl_add_u32 v1, v5, 4, v14
	s_load_dwordx8 s[12:19], s[4:5], 0x20
	s_load_dwordx4 s[28:31], s[4:5], 0x40
	v_lshrrev_b32_e32 v4, 5, v1
	v_lshrrev_b32_e32 v10, 3, v1
	v_and_b32_e32 v1, 31, v1
	v_and_b32_e32 v6, 7, v14
	v_mov_b32_e32 v9, s7
	v_or_b32_e32 v8, s6, v1
	v_cmp_gt_i64_e64 s[0:1], s[20:21], v[8:9]
	v_lshlrev_b32_e32 v8, 2, v6
	v_mov_b32_e32 v3, s11
	v_add_co_u32_e32 v2, vcc, s10, v10
	v_lshl_or_b32 v9, v10, 5, v8
	v_addc_co_u32_e32 v3, vcc, 0, v3, vcc
	v_add_u32_e32 v15, 0x400, v9
	v_mov_b32_e32 v9, 0x400
	v_cmp_gt_i64_e64 s[2:3], s[22:23], v[2:3]
	v_lshl_add_u32 v17, v5, 5, v9
	s_waitcnt lgkmcnt(0)
	v_mul_lo_u32 v9, s29, v2
	v_mul_lo_u32 v10, s28, v3
	v_mad_u64_u32 v[2:3], s[26:27], s28, v2, 0
	s_mul_i32 s9, s31, s8
	s_mul_hi_u32 s26, s30, s8
	v_add3_u32 v3, v3, v10, v9
	s_add_i32 s27, s26, s9
	s_mul_i32 s26, s30, s8
	v_lshlrev_b64 v[2:3], 2, v[2:3]
	s_lshl_b64 s[26:27], s[26:27], 2
	v_mov_b32_e32 v9, s27
	v_add_co_u32_e32 v2, vcc, s26, v2
	v_addc_co_u32_e32 v3, vcc, v3, v9, vcc
	v_add_co_u32_e32 v2, vcc, v2, v8
	v_addc_co_u32_e32 v3, vcc, 0, v3, vcc
	v_mov_b32_e32 v9, s19
	v_add_co_u32_e32 v8, vcc, s18, v2
	v_addc_co_u32_e32 v9, vcc, v9, v3, vcc
	v_lshlrev_b32_e32 v7, 2, v1
	v_mov_b32_e32 v2, s7
	v_add_co_u32_e32 v1, vcc, s6, v1
	v_addc_co_u32_e32 v2, vcc, 0, v2, vcc
	v_mul_lo_u32 v10, s15, v1
	v_mul_lo_u32 v11, s14, v2
	v_mad_u64_u32 v[2:3], s[14:15], s14, v1, 0
	s_mul_i32 s9, s17, s8
	s_mul_hi_u32 s14, s16, s8
	v_add3_u32 v3, v3, v11, v10
	s_add_i32 s15, s14, s9
	s_mul_i32 s14, s16, s8
	v_lshlrev_b64 v[2:3], 2, v[2:3]
	s_lshl_b64 s[14:15], s[14:15], 2
	v_mov_b32_e32 v1, s15
	v_add_co_u32_e32 v2, vcc, s14, v2
	v_addc_co_u32_e32 v1, vcc, v3, v1, vcc
	v_lshlrev_b32_e32 v3, 2, v4
	v_add_co_u32_e32 v2, vcc, v2, v3
	v_addc_co_u32_e32 v1, vcc, 0, v1, vcc
	v_mov_b32_e32 v0, 0
	v_mov_b32_e32 v3, s13
	v_add_co_u32_e32 v10, vcc, s12, v2
	v_lshl_or_b32 v7, v4, 7, v7
	v_lshlrev_b32_e32 v16, 2, v14
	v_addc_co_u32_e32 v11, vcc, v3, v1, vcc
	s_mov_b64 s[12:13], 0
	v_pk_mov_b32 v[12:13], s[24:25], s[24:25] op_sel:[0,1]
	v_mov_b32_e32 v1, v0
	v_mov_b32_e32 v2, v0
	;; [unrolled: 1-line block ×3, first 2 shown]
	s_branch .LBB50_3
.LBB50_2:                               ;   in Loop: Header=BB50_3 Depth=1
	s_or_b64 exec, exec, s[14:15]
	s_waitcnt vmcnt(0)
	ds_write_b32 v15, v18
	s_waitcnt lgkmcnt(0)
	s_barrier
	ds_read_b128 v[18:21], v17
	ds_read_b128 v[22:25], v17 offset:16
	ds_read2_b32 v[34:35], v16 offset1:16
	ds_read2_b32 v[36:37], v16 offset0:32 offset1:48
	ds_read2_b32 v[38:39], v16 offset0:64 offset1:80
	;; [unrolled: 1-line block ×4, first 2 shown]
	ds_read_b128 v[26:29], v17 offset:512
	ds_read_b128 v[30:33], v17 offset:528
	ds_read2_b32 v[44:45], v16 offset0:160 offset1:176
	ds_read2_b32 v[46:47], v16 offset0:192 offset1:208
	;; [unrolled: 1-line block ×3, first 2 shown]
	s_waitcnt lgkmcnt(9)
	v_pk_fma_f32 v[2:3], v[34:35], v[18:19], v[2:3] op_sel_hi:[1,0,1]
	s_waitcnt lgkmcnt(8)
	v_pk_fma_f32 v[2:3], v[36:37], v[18:19], v[2:3] op_sel:[0,1,0]
	s_waitcnt lgkmcnt(7)
	v_pk_fma_f32 v[2:3], v[38:39], v[20:21], v[2:3] op_sel_hi:[1,0,1]
	v_mov_b32_e32 v18, v21
	s_waitcnt lgkmcnt(6)
	v_pk_fma_f32 v[2:3], v[40:41], v[18:19], v[2:3] op_sel_hi:[1,0,1]
	s_waitcnt lgkmcnt(5)
	v_pk_fma_f32 v[2:3], v[42:43], v[22:23], v[2:3] op_sel_hi:[1,0,1]
	s_waitcnt lgkmcnt(2)
	v_pk_fma_f32 v[2:3], v[44:45], v[22:23], v[2:3] op_sel:[0,1,0]
	v_pk_fma_f32 v[0:1], v[34:35], v[26:27], v[0:1] op_sel_hi:[1,0,1]
	s_waitcnt lgkmcnt(1)
	v_pk_fma_f32 v[2:3], v[46:47], v[24:25], v[2:3] op_sel_hi:[1,0,1]
	v_mov_b32_e32 v18, v25
	v_pk_fma_f32 v[0:1], v[36:37], v[26:27], v[0:1] op_sel:[0,1,0]
	s_waitcnt lgkmcnt(0)
	v_pk_fma_f32 v[2:3], v[48:49], v[18:19], v[2:3] op_sel_hi:[1,0,1]
	v_pk_fma_f32 v[0:1], v[38:39], v[28:29], v[0:1] op_sel_hi:[1,0,1]
	v_mov_b32_e32 v18, v29
	v_add_co_u32_e32 v8, vcc, 32, v8
	v_pk_fma_f32 v[0:1], v[40:41], v[18:19], v[0:1] op_sel_hi:[1,0,1]
	v_addc_co_u32_e32 v9, vcc, 0, v9, vcc
	v_pk_fma_f32 v[0:1], v[42:43], v[30:31], v[0:1] op_sel_hi:[1,0,1]
	s_add_u32 s12, s12, 8
	v_add_co_u32_e32 v10, vcc, 32, v10
	v_pk_fma_f32 v[0:1], v[44:45], v[30:31], v[0:1] op_sel:[0,1,0]
	s_addc_u32 s13, s13, 0
	v_addc_co_u32_e32 v11, vcc, 0, v11, vcc
	v_pk_fma_f32 v[0:1], v[46:47], v[32:33], v[0:1] op_sel_hi:[1,0,1]
	v_mov_b32_e32 v18, v33
	v_cmp_lt_i64_e32 vcc, s[12:13], v[12:13]
	v_pk_fma_f32 v[0:1], v[48:49], v[18:19], v[0:1] op_sel_hi:[1,0,1]
	s_barrier
	s_cbranch_vccz .LBB50_7
.LBB50_3:                               ; =>This Inner Loop Header: Depth=1
	v_mov_b32_e32 v19, s13
	v_add_co_u32_e32 v18, vcc, s12, v4
	v_addc_co_u32_e32 v19, vcc, 0, v19, vcc
	v_cmp_gt_i64_e32 vcc, s[24:25], v[18:19]
	s_and_b64 s[16:17], s[0:1], vcc
	v_mov_b32_e32 v18, 0
	s_and_saveexec_b64 s[14:15], s[16:17]
	s_cbranch_execz .LBB50_5
; %bb.4:                                ;   in Loop: Header=BB50_3 Depth=1
	global_load_dword v18, v[10:11], off
.LBB50_5:                               ;   in Loop: Header=BB50_3 Depth=1
	s_or_b64 exec, exec, s[14:15]
	s_waitcnt vmcnt(0)
	ds_write_b32 v7, v18
	v_mov_b32_e32 v19, s13
	v_add_co_u32_e32 v18, vcc, s12, v6
	v_addc_co_u32_e32 v19, vcc, 0, v19, vcc
	v_cmp_gt_i64_e32 vcc, s[24:25], v[18:19]
	s_and_b64 s[16:17], vcc, s[2:3]
	v_mov_b32_e32 v18, 0
	s_and_saveexec_b64 s[14:15], s[16:17]
	s_cbranch_execz .LBB50_2
; %bb.6:                                ;   in Loop: Header=BB50_3 Depth=1
	global_load_dword v18, v[8:9], off
	s_branch .LBB50_2
.LBB50_7:
	s_load_dwordx4 s[24:27], s[4:5], 0x78
	s_load_dword s9, s[4:5], 0x18
	s_load_dword s28, s[4:5], 0x50
	s_load_dwordx8 s[12:19], s[4:5], 0x58
	v_mov_b32_e32 v6, s11
	s_waitcnt lgkmcnt(0)
	s_mul_i32 s0, s8, s27
	s_mul_hi_u32 s1, s8, s26
	s_add_i32 s1, s1, s0
	s_mul_i32 s0, s8, s26
	s_lshl_b64 s[0:1], s[0:1], 2
	v_add_co_u32_e32 v4, vcc, s10, v5
	s_add_u32 s26, s18, s0
	v_addc_co_u32_e32 v5, vcc, 0, v6, vcc
	v_cmp_neq_f32_e64 s[2:3], s28, 0
	s_addc_u32 s27, s19, s1
	v_cmp_gt_i64_e64 s[0:1], s[22:23], v[4:5]
	s_and_b64 vcc, exec, s[2:3]
	s_cbranch_vccnz .LBB50_20
; %bb.8:
	s_and_saveexec_b64 s[10:11], s[0:1]
	s_cbranch_execz .LBB50_18
; %bb.9:
	v_mov_b32_e32 v6, s7
	v_add_co_u32_e32 v8, vcc, s6, v14
	v_addc_co_u32_e32 v9, vcc, 0, v6, vcc
	v_mul_lo_u32 v10, v5, s24
	v_mul_lo_u32 v11, v4, s25
	v_mad_u64_u32 v[6:7], s[2:3], v4, s24, 0
	v_add3_u32 v7, v7, v11, v10
	v_lshlrev_b64 v[6:7], 2, v[6:7]
	v_mov_b32_e32 v11, s27
	v_add_co_u32_e64 v10, s[2:3], s26, v6
	v_cmp_gt_i64_e32 vcc, s[20:21], v[8:9]
	v_addc_co_u32_e64 v11, s[2:3], v11, v7, s[2:3]
	v_lshlrev_b64 v[6:7], 2, v[8:9]
	s_and_saveexec_b64 s[4:5], vcc
	s_cbranch_execz .LBB50_11
; %bb.10:
	v_add_co_u32_e64 v12, s[2:3], v10, v6
	v_addc_co_u32_e64 v13, s[2:3], v11, v7, s[2:3]
	v_mul_f32_e32 v15, s9, v2
	global_store_dword v[12:13], v15, off
.LBB50_11:
	s_or_b64 exec, exec, s[4:5]
	v_add_co_u32_e64 v8, s[2:3], 16, v8
	v_addc_co_u32_e64 v9, s[2:3], 0, v9, s[2:3]
	v_cmp_gt_i64_e64 s[2:3], s[20:21], v[8:9]
	s_and_saveexec_b64 s[18:19], s[2:3]
	s_cbranch_execz .LBB50_13
; %bb.12:
	v_add_co_u32_e64 v8, s[4:5], v10, v6
	v_addc_co_u32_e64 v9, s[4:5], v11, v7, s[4:5]
	v_mul_f32_e32 v12, s9, v3
	global_store_dword v[8:9], v12, off offset:64
.LBB50_13:
	s_or_b64 exec, exec, s[18:19]
	v_add_co_u32_e64 v8, s[4:5], 16, v4
	v_addc_co_u32_e64 v9, s[4:5], 0, v5, s[4:5]
	v_cmp_gt_i64_e64 s[4:5], s[22:23], v[8:9]
	s_and_b64 exec, exec, s[4:5]
	s_cbranch_execz .LBB50_18
; %bb.14:
	s_lshl_b64 s[4:5], s[24:25], 6
	v_mov_b32_e32 v8, s5
	v_add_co_u32_e64 v9, s[4:5], s4, v10
	v_addc_co_u32_e64 v8, s[4:5], v11, v8, s[4:5]
	v_add_co_u32_e64 v6, s[4:5], v9, v6
	v_addc_co_u32_e64 v7, s[4:5], v8, v7, s[4:5]
	s_and_saveexec_b64 s[4:5], vcc
	s_cbranch_execz .LBB50_16
; %bb.15:
	v_mul_f32_e32 v8, s9, v0
	global_store_dword v[6:7], v8, off
.LBB50_16:
	s_or_b64 exec, exec, s[4:5]
	s_and_b64 exec, exec, s[2:3]
	s_cbranch_execz .LBB50_18
; %bb.17:
	v_mul_f32_e32 v8, s9, v1
	global_store_dword v[6:7], v8, off offset:64
.LBB50_18:
	s_or_b64 exec, exec, s[10:11]
	s_cbranch_execz .LBB50_21
.LBB50_19:
	s_endpgm
.LBB50_20:
.LBB50_21:
	s_and_saveexec_b64 s[2:3], s[0:1]
	s_cbranch_execz .LBB50_19
; %bb.22:
	s_mul_i32 s0, s8, s17
	s_mul_hi_u32 s1, s8, s16
	s_add_i32 s1, s1, s0
	s_mul_i32 s0, s8, s16
	s_lshl_b64 s[0:1], s[0:1], 2
	s_add_u32 s2, s12, s0
	v_mov_b32_e32 v6, s7
	v_add_co_u32_e32 v8, vcc, s6, v14
	s_addc_u32 s3, s13, s1
	v_addc_co_u32_e32 v9, vcc, 0, v6, vcc
	v_mul_lo_u32 v10, v5, s14
	v_mul_lo_u32 v11, v4, s15
	v_mad_u64_u32 v[6:7], s[0:1], v4, s14, 0
	v_add3_u32 v7, v7, v11, v10
	v_mul_lo_u32 v10, v5, s24
	v_mul_lo_u32 v11, v4, s25
	v_mad_u64_u32 v[12:13], s[0:1], v4, s24, 0
	v_lshlrev_b64 v[6:7], 2, v[6:7]
	v_add3_u32 v13, v13, v11, v10
	v_mov_b32_e32 v11, s3
	v_add_co_u32_e64 v10, s[0:1], s2, v6
	v_addc_co_u32_e64 v11, s[0:1], v11, v7, s[0:1]
	v_lshlrev_b64 v[6:7], 2, v[12:13]
	v_mov_b32_e32 v13, s27
	v_add_co_u32_e64 v12, s[0:1], s26, v6
	v_cmp_gt_i64_e32 vcc, s[20:21], v[8:9]
	v_addc_co_u32_e64 v13, s[0:1], v13, v7, s[0:1]
	v_lshlrev_b64 v[6:7], 2, v[8:9]
	s_and_saveexec_b64 s[2:3], vcc
	s_cbranch_execz .LBB50_24
; %bb.23:
	v_add_co_u32_e64 v14, s[0:1], v10, v6
	v_addc_co_u32_e64 v15, s[0:1], v11, v7, s[0:1]
	global_load_dword v14, v[14:15], off
	s_waitcnt vmcnt(0)
	v_mul_f32_e32 v16, s28, v14
	v_add_co_u32_e64 v14, s[0:1], v12, v6
	v_fmac_f32_e32 v16, s9, v2
	v_addc_co_u32_e64 v15, s[0:1], v13, v7, s[0:1]
	global_store_dword v[14:15], v16, off
.LBB50_24:
	s_or_b64 exec, exec, s[2:3]
	v_add_co_u32_e64 v8, s[0:1], 16, v8
	v_addc_co_u32_e64 v9, s[0:1], 0, v9, s[0:1]
	v_cmp_gt_i64_e64 s[0:1], s[20:21], v[8:9]
	s_and_saveexec_b64 s[4:5], s[0:1]
	s_cbranch_execz .LBB50_26
; %bb.25:
	v_add_co_u32_e64 v8, s[2:3], v10, v6
	v_addc_co_u32_e64 v9, s[2:3], v11, v7, s[2:3]
	global_load_dword v2, v[8:9], off offset:64
	s_waitcnt vmcnt(0)
	v_mul_f32_e32 v8, s28, v2
	v_add_co_u32_e64 v2, s[2:3], v12, v6
	v_fmac_f32_e32 v8, s9, v3
	v_addc_co_u32_e64 v3, s[2:3], v13, v7, s[2:3]
	global_store_dword v[2:3], v8, off offset:64
.LBB50_26:
	s_or_b64 exec, exec, s[4:5]
	v_add_co_u32_e64 v2, s[2:3], 16, v4
	v_addc_co_u32_e64 v3, s[2:3], 0, v5, s[2:3]
	v_cmp_gt_i64_e64 s[2:3], s[22:23], v[2:3]
	s_and_b64 exec, exec, s[2:3]
	s_cbranch_execz .LBB50_19
; %bb.27:
	s_lshl_b64 s[2:3], s[14:15], 6
	v_mov_b32_e32 v2, s3
	v_add_co_u32_e64 v3, s[2:3], s2, v10
	v_addc_co_u32_e64 v4, s[2:3], v11, v2, s[2:3]
	s_lshl_b64 s[2:3], s[24:25], 6
	v_mov_b32_e32 v2, s3
	v_add_co_u32_e64 v5, s[2:3], s2, v12
	v_addc_co_u32_e64 v8, s[2:3], v13, v2, s[2:3]
	v_add_co_u32_e64 v2, s[2:3], v3, v6
	v_addc_co_u32_e64 v3, s[2:3], v4, v7, s[2:3]
	;; [unrolled: 2-line block ×3, first 2 shown]
	s_and_saveexec_b64 s[2:3], vcc
	s_cbranch_execz .LBB50_29
; %bb.28:
	global_load_dword v6, v[2:3], off
	s_waitcnt vmcnt(0)
	v_mul_f32_e32 v6, s28, v6
	v_fmac_f32_e32 v6, s9, v0
	global_store_dword v[4:5], v6, off
.LBB50_29:
	s_or_b64 exec, exec, s[2:3]
	s_and_b64 exec, exec, s[0:1]
	s_cbranch_execz .LBB50_19
; %bb.30:
	global_load_dword v0, v[2:3], off offset:64
	s_waitcnt vmcnt(0)
	v_mul_f32_e32 v0, s28, v0
	v_fmac_f32_e32 v0, s9, v1
	global_store_dword v[4:5], v0, off offset:64
	s_endpgm
	.section	.rodata,"a",@progbits
	.p2align	6, 0x0
	.amdhsa_kernel _ZN12_GLOBAL__N_135rocblas_gemm_batched_general_kernelIfLi16ELi16ELi32ELi32ELi8ELi32ELi8ELi8ELi32ELc84ELc78EKfS1_fEEvlllT_PT11_llS4_llS2_PT12_llPT13_lli
		.amdhsa_group_segment_fixed_size 2048
		.amdhsa_private_segment_fixed_size 0
		.amdhsa_kernarg_size 140
		.amdhsa_user_sgpr_count 6
		.amdhsa_user_sgpr_private_segment_buffer 1
		.amdhsa_user_sgpr_dispatch_ptr 0
		.amdhsa_user_sgpr_queue_ptr 0
		.amdhsa_user_sgpr_kernarg_segment_ptr 1
		.amdhsa_user_sgpr_dispatch_id 0
		.amdhsa_user_sgpr_flat_scratch_init 0
		.amdhsa_user_sgpr_kernarg_preload_length 0
		.amdhsa_user_sgpr_kernarg_preload_offset 0
		.amdhsa_user_sgpr_private_segment_size 0
		.amdhsa_uses_dynamic_stack 0
		.amdhsa_system_sgpr_private_segment_wavefront_offset 0
		.amdhsa_system_sgpr_workgroup_id_x 1
		.amdhsa_system_sgpr_workgroup_id_y 1
		.amdhsa_system_sgpr_workgroup_id_z 1
		.amdhsa_system_sgpr_workgroup_info 0
		.amdhsa_system_vgpr_workitem_id 1
		.amdhsa_next_free_vgpr 50
		.amdhsa_next_free_sgpr 32
		.amdhsa_accum_offset 52
		.amdhsa_reserve_vcc 1
		.amdhsa_reserve_flat_scratch 0
		.amdhsa_float_round_mode_32 0
		.amdhsa_float_round_mode_16_64 0
		.amdhsa_float_denorm_mode_32 3
		.amdhsa_float_denorm_mode_16_64 3
		.amdhsa_dx10_clamp 1
		.amdhsa_ieee_mode 1
		.amdhsa_fp16_overflow 0
		.amdhsa_tg_split 0
		.amdhsa_exception_fp_ieee_invalid_op 0
		.amdhsa_exception_fp_denorm_src 0
		.amdhsa_exception_fp_ieee_div_zero 0
		.amdhsa_exception_fp_ieee_overflow 0
		.amdhsa_exception_fp_ieee_underflow 0
		.amdhsa_exception_fp_ieee_inexact 0
		.amdhsa_exception_int_div_zero 0
	.end_amdhsa_kernel
	.section	.text._ZN12_GLOBAL__N_135rocblas_gemm_batched_general_kernelIfLi16ELi16ELi32ELi32ELi8ELi32ELi8ELi8ELi32ELc84ELc78EKfS1_fEEvlllT_PT11_llS4_llS2_PT12_llPT13_lli,"axG",@progbits,_ZN12_GLOBAL__N_135rocblas_gemm_batched_general_kernelIfLi16ELi16ELi32ELi32ELi8ELi32ELi8ELi8ELi32ELc84ELc78EKfS1_fEEvlllT_PT11_llS4_llS2_PT12_llPT13_lli,comdat
.Lfunc_end50:
	.size	_ZN12_GLOBAL__N_135rocblas_gemm_batched_general_kernelIfLi16ELi16ELi32ELi32ELi8ELi32ELi8ELi8ELi32ELc84ELc78EKfS1_fEEvlllT_PT11_llS4_llS2_PT12_llPT13_lli, .Lfunc_end50-_ZN12_GLOBAL__N_135rocblas_gemm_batched_general_kernelIfLi16ELi16ELi32ELi32ELi8ELi32ELi8ELi8ELi32ELc84ELc78EKfS1_fEEvlllT_PT11_llS4_llS2_PT12_llPT13_lli
                                        ; -- End function
	.section	.AMDGPU.csdata,"",@progbits
; Kernel info:
; codeLenInByte = 1848
; NumSgprs: 36
; NumVgprs: 50
; NumAgprs: 0
; TotalNumVgprs: 50
; ScratchSize: 0
; MemoryBound: 0
; FloatMode: 240
; IeeeMode: 1
; LDSByteSize: 2048 bytes/workgroup (compile time only)
; SGPRBlocks: 4
; VGPRBlocks: 6
; NumSGPRsForWavesPerEU: 36
; NumVGPRsForWavesPerEU: 50
; AccumOffset: 52
; Occupancy: 8
; WaveLimiterHint : 0
; COMPUTE_PGM_RSRC2:SCRATCH_EN: 0
; COMPUTE_PGM_RSRC2:USER_SGPR: 6
; COMPUTE_PGM_RSRC2:TRAP_HANDLER: 0
; COMPUTE_PGM_RSRC2:TGID_X_EN: 1
; COMPUTE_PGM_RSRC2:TGID_Y_EN: 1
; COMPUTE_PGM_RSRC2:TGID_Z_EN: 1
; COMPUTE_PGM_RSRC2:TIDIG_COMP_CNT: 1
; COMPUTE_PGM_RSRC3_GFX90A:ACCUM_OFFSET: 12
; COMPUTE_PGM_RSRC3_GFX90A:TG_SPLIT: 0
	.section	.text._ZN12_GLOBAL__N_135rocblas_gemm_batched_general_kernelIfLi16ELi16ELi32ELi32ELi8ELi32ELi8ELi8ELi32ELc78ELc84EKfS1_fEEvlllT_PT11_llS4_llS2_PT12_llPT13_lli,"axG",@progbits,_ZN12_GLOBAL__N_135rocblas_gemm_batched_general_kernelIfLi16ELi16ELi32ELi32ELi8ELi32ELi8ELi8ELi32ELc78ELc84EKfS1_fEEvlllT_PT11_llS4_llS2_PT12_llPT13_lli,comdat
	.globl	_ZN12_GLOBAL__N_135rocblas_gemm_batched_general_kernelIfLi16ELi16ELi32ELi32ELi8ELi32ELi8ELi8ELi32ELc78ELc84EKfS1_fEEvlllT_PT11_llS4_llS2_PT12_llPT13_lli ; -- Begin function _ZN12_GLOBAL__N_135rocblas_gemm_batched_general_kernelIfLi16ELi16ELi32ELi32ELi8ELi32ELi8ELi8ELi32ELc78ELc84EKfS1_fEEvlllT_PT11_llS4_llS2_PT12_llPT13_lli
	.p2align	8
	.type	_ZN12_GLOBAL__N_135rocblas_gemm_batched_general_kernelIfLi16ELi16ELi32ELi32ELi8ELi32ELi8ELi8ELi32ELc78ELc84EKfS1_fEEvlllT_PT11_llS4_llS2_PT12_llPT13_lli,@function
_ZN12_GLOBAL__N_135rocblas_gemm_batched_general_kernelIfLi16ELi16ELi32ELi32ELi8ELi32ELi8ELi8ELi32ELc78ELc84EKfS1_fEEvlllT_PT11_llS4_llS2_PT12_llPT13_lli: ; @_ZN12_GLOBAL__N_135rocblas_gemm_batched_general_kernelIfLi16ELi16ELi32ELi32ELi8ELi32ELi8ELi8ELi32ELc78ELc84EKfS1_fEEvlllT_PT11_llS4_llS2_PT12_llPT13_lli
; %bb.0:
	s_load_dwordx4 s[20:23], s[4:5], 0x0
	s_load_dwordx2 s[30:31], s[4:5], 0x10
	s_mov_b32 s34, s7
	s_ashr_i32 s7, s6, 31
	s_ashr_i32 s35, s34, 31
	v_mov_b32_e32 v3, 0
	s_waitcnt lgkmcnt(0)
	v_cmp_lt_i64_e64 s[0:1], s[30:31], 1
	v_and_b32_e32 v14, 0x3ff, v0
	v_bfe_u32 v5, v0, 10, 10
	s_lshl_b64 s[10:11], s[6:7], 5
	s_lshl_b64 s[28:29], s[34:35], 5
	s_and_b64 vcc, exec, s[0:1]
	v_mov_b32_e32 v2, v3
	v_mov_b32_e32 v1, v3
	;; [unrolled: 1-line block ×3, first 2 shown]
	s_cbranch_vccnz .LBB51_7
; %bb.1:
	v_lshl_add_u32 v1, v5, 4, v14
	v_lshrrev_b32_e32 v10, 3, v1
	s_load_dwordx8 s[12:19], s[4:5], 0x20
	s_load_dwordx4 s[24:27], s[4:5], 0x40
	v_mov_b32_e32 v3, s29
	v_add_co_u32_e32 v2, vcc, s28, v10
	v_and_b32_e32 v6, 7, v14
	v_addc_co_u32_e32 v3, vcc, 0, v3, vcc
	v_cmp_gt_i64_e64 s[2:3], s[22:23], v[2:3]
	v_lshlrev_b32_e32 v2, 2, v6
	v_lshl_or_b32 v2, v10, 5, v2
	v_lshrrev_b32_e32 v4, 5, v1
	v_and_b32_e32 v1, 31, v1
	v_add_u32_e32 v15, 0x400, v2
	v_mov_b32_e32 v2, 0x400
	v_mov_b32_e32 v9, s11
	v_or_b32_e32 v8, s10, v1
	v_lshl_add_u32 v17, v5, 5, v2
	s_waitcnt lgkmcnt(0)
	s_mul_i32 s9, s27, s8
	s_mul_hi_u32 s27, s26, s8
	v_mad_u64_u32 v[2:3], s[36:37], s24, v6, 0
	v_cmp_gt_i64_e64 s[0:1], s[20:21], v[8:9]
	s_add_i32 s27, s27, s9
	s_mul_i32 s26, s26, s8
	v_mov_b32_e32 v8, v3
	s_lshl_b64 s[26:27], s[26:27], 2
	v_mad_u64_u32 v[8:9], s[36:37], s25, v6, v[8:9]
	s_lshl_b64 s[34:35], s[34:35], 7
	v_mov_b32_e32 v3, v8
	s_add_u32 s9, s34, s26
	v_lshlrev_b64 v[2:3], 2, v[2:3]
	s_addc_u32 s26, s35, s27
	v_mov_b32_e32 v8, s26
	v_add_co_u32_e32 v2, vcc, s9, v2
	v_addc_co_u32_e32 v3, vcc, v8, v3, vcc
	v_lshlrev_b32_e32 v8, 2, v10
	v_add_co_u32_e32 v2, vcc, v2, v8
	v_addc_co_u32_e32 v3, vcc, 0, v3, vcc
	v_mov_b32_e32 v9, s19
	v_add_co_u32_e32 v8, vcc, s18, v2
	v_addc_co_u32_e32 v9, vcc, v9, v3, vcc
	s_lshl_b64 s[18:19], s[24:25], 5
	v_mad_u64_u32 v[2:3], s[24:25], s14, v4, 0
	s_mul_i32 s9, s17, s8
	s_mul_hi_u32 s17, s16, s8
	v_mov_b32_e32 v10, v3
	s_add_i32 s17, s17, s9
	s_mul_i32 s16, s16, s8
	v_mad_u64_u32 v[10:11], s[24:25], s15, v4, v[10:11]
	s_lshl_b64 s[16:17], s[16:17], 2
	s_lshl_b64 s[6:7], s[6:7], 7
	v_mov_b32_e32 v3, v10
	s_add_u32 s6, s6, s16
	v_lshlrev_b64 v[2:3], 2, v[2:3]
	s_addc_u32 s7, s7, s17
	v_mov_b32_e32 v10, s7
	v_add_co_u32_e32 v2, vcc, s6, v2
	v_lshlrev_b32_e32 v1, 2, v1
	v_addc_co_u32_e32 v3, vcc, v10, v3, vcc
	v_lshl_or_b32 v7, v4, 7, v1
	v_add_co_u32_e32 v1, vcc, v2, v1
	v_addc_co_u32_e32 v2, vcc, 0, v3, vcc
	v_mov_b32_e32 v0, 0
	v_mov_b32_e32 v3, s13
	v_add_co_u32_e32 v10, vcc, s12, v1
	s_lshl_b64 s[6:7], s[14:15], 5
	v_lshlrev_b32_e32 v16, 2, v14
	v_addc_co_u32_e32 v11, vcc, v3, v2, vcc
	s_mov_b64 s[12:13], 0
	v_mov_b32_e32 v18, s19
	v_mov_b32_e32 v19, s7
	v_pk_mov_b32 v[12:13], s[30:31], s[30:31] op_sel:[0,1]
	v_mov_b32_e32 v1, v0
	v_mov_b32_e32 v2, v0
	;; [unrolled: 1-line block ×3, first 2 shown]
	s_branch .LBB51_3
.LBB51_2:                               ;   in Loop: Header=BB51_3 Depth=1
	s_or_b64 exec, exec, s[14:15]
	s_waitcnt vmcnt(0)
	ds_write_b32 v15, v20
	s_waitcnt lgkmcnt(0)
	s_barrier
	ds_read_b128 v[20:23], v17
	ds_read_b128 v[24:27], v17 offset:16
	ds_read2_b32 v[36:37], v16 offset1:16
	ds_read2_b32 v[38:39], v16 offset0:32 offset1:48
	ds_read2_b32 v[40:41], v16 offset0:64 offset1:80
	;; [unrolled: 1-line block ×4, first 2 shown]
	ds_read_b128 v[28:31], v17 offset:512
	ds_read_b128 v[32:35], v17 offset:528
	ds_read2_b32 v[46:47], v16 offset0:160 offset1:176
	ds_read2_b32 v[48:49], v16 offset0:192 offset1:208
	;; [unrolled: 1-line block ×3, first 2 shown]
	s_waitcnt lgkmcnt(9)
	v_pk_fma_f32 v[2:3], v[36:37], v[20:21], v[2:3] op_sel_hi:[1,0,1]
	s_waitcnt lgkmcnt(8)
	v_pk_fma_f32 v[2:3], v[38:39], v[20:21], v[2:3] op_sel:[0,1,0]
	s_waitcnt lgkmcnt(7)
	v_pk_fma_f32 v[2:3], v[40:41], v[22:23], v[2:3] op_sel_hi:[1,0,1]
	v_mov_b32_e32 v20, v23
	s_waitcnt lgkmcnt(6)
	v_pk_fma_f32 v[2:3], v[42:43], v[20:21], v[2:3] op_sel_hi:[1,0,1]
	s_waitcnt lgkmcnt(5)
	v_pk_fma_f32 v[2:3], v[44:45], v[24:25], v[2:3] op_sel_hi:[1,0,1]
	s_waitcnt lgkmcnt(2)
	v_pk_fma_f32 v[2:3], v[46:47], v[24:25], v[2:3] op_sel:[0,1,0]
	v_pk_fma_f32 v[0:1], v[36:37], v[28:29], v[0:1] op_sel_hi:[1,0,1]
	s_waitcnt lgkmcnt(1)
	v_pk_fma_f32 v[2:3], v[48:49], v[26:27], v[2:3] op_sel_hi:[1,0,1]
	v_mov_b32_e32 v20, v27
	v_pk_fma_f32 v[0:1], v[38:39], v[28:29], v[0:1] op_sel:[0,1,0]
	s_waitcnt lgkmcnt(0)
	v_pk_fma_f32 v[2:3], v[50:51], v[20:21], v[2:3] op_sel_hi:[1,0,1]
	v_pk_fma_f32 v[0:1], v[40:41], v[30:31], v[0:1] op_sel_hi:[1,0,1]
	v_mov_b32_e32 v20, v31
	v_add_co_u32_e32 v8, vcc, s18, v8
	v_pk_fma_f32 v[0:1], v[42:43], v[20:21], v[0:1] op_sel_hi:[1,0,1]
	v_addc_co_u32_e32 v9, vcc, v9, v18, vcc
	v_pk_fma_f32 v[0:1], v[44:45], v[32:33], v[0:1] op_sel_hi:[1,0,1]
	s_add_u32 s12, s12, 8
	v_add_co_u32_e32 v10, vcc, s6, v10
	v_pk_fma_f32 v[0:1], v[46:47], v[32:33], v[0:1] op_sel:[0,1,0]
	s_addc_u32 s13, s13, 0
	v_addc_co_u32_e32 v11, vcc, v11, v19, vcc
	v_pk_fma_f32 v[0:1], v[48:49], v[34:35], v[0:1] op_sel_hi:[1,0,1]
	v_mov_b32_e32 v20, v35
	v_cmp_lt_i64_e32 vcc, s[12:13], v[12:13]
	v_pk_fma_f32 v[0:1], v[50:51], v[20:21], v[0:1] op_sel_hi:[1,0,1]
	s_barrier
	s_cbranch_vccz .LBB51_7
.LBB51_3:                               ; =>This Inner Loop Header: Depth=1
	v_mov_b32_e32 v21, s13
	v_add_co_u32_e32 v20, vcc, s12, v4
	v_addc_co_u32_e32 v21, vcc, 0, v21, vcc
	v_cmp_gt_i64_e32 vcc, s[30:31], v[20:21]
	s_and_b64 s[16:17], s[0:1], vcc
	v_mov_b32_e32 v20, 0
	s_and_saveexec_b64 s[14:15], s[16:17]
	s_cbranch_execz .LBB51_5
; %bb.4:                                ;   in Loop: Header=BB51_3 Depth=1
	global_load_dword v20, v[10:11], off
.LBB51_5:                               ;   in Loop: Header=BB51_3 Depth=1
	s_or_b64 exec, exec, s[14:15]
	s_waitcnt vmcnt(0)
	ds_write_b32 v7, v20
	v_mov_b32_e32 v21, s13
	v_add_co_u32_e32 v20, vcc, s12, v6
	v_addc_co_u32_e32 v21, vcc, 0, v21, vcc
	v_cmp_gt_i64_e32 vcc, s[30:31], v[20:21]
	s_and_b64 s[16:17], vcc, s[2:3]
	v_mov_b32_e32 v20, 0
	s_and_saveexec_b64 s[14:15], s[16:17]
	s_cbranch_execz .LBB51_2
; %bb.6:                                ;   in Loop: Header=BB51_3 Depth=1
	global_load_dword v20, v[8:9], off
	s_branch .LBB51_2
.LBB51_7:
	s_load_dwordx4 s[24:27], s[4:5], 0x78
	s_load_dword s9, s[4:5], 0x18
	s_load_dword s30, s[4:5], 0x50
	s_load_dwordx8 s[12:19], s[4:5], 0x58
	v_mov_b32_e32 v6, s29
	s_waitcnt lgkmcnt(0)
	s_mul_i32 s0, s8, s27
	s_mul_hi_u32 s1, s8, s26
	s_add_i32 s1, s1, s0
	s_mul_i32 s0, s8, s26
	s_lshl_b64 s[0:1], s[0:1], 2
	v_add_co_u32_e32 v4, vcc, s28, v5
	s_add_u32 s26, s18, s0
	v_addc_co_u32_e32 v5, vcc, 0, v6, vcc
	v_cmp_neq_f32_e64 s[2:3], s30, 0
	s_addc_u32 s27, s19, s1
	v_cmp_gt_i64_e64 s[0:1], s[22:23], v[4:5]
	s_and_b64 vcc, exec, s[2:3]
	s_cbranch_vccnz .LBB51_20
; %bb.8:
	s_and_saveexec_b64 s[6:7], s[0:1]
	s_cbranch_execz .LBB51_18
; %bb.9:
	v_mov_b32_e32 v6, s11
	v_add_co_u32_e32 v8, vcc, s10, v14
	v_addc_co_u32_e32 v9, vcc, 0, v6, vcc
	v_mul_lo_u32 v10, v5, s24
	v_mul_lo_u32 v11, v4, s25
	v_mad_u64_u32 v[6:7], s[2:3], v4, s24, 0
	v_add3_u32 v7, v7, v11, v10
	v_lshlrev_b64 v[6:7], 2, v[6:7]
	v_mov_b32_e32 v11, s27
	v_add_co_u32_e64 v10, s[2:3], s26, v6
	v_cmp_gt_i64_e32 vcc, s[20:21], v[8:9]
	v_addc_co_u32_e64 v11, s[2:3], v11, v7, s[2:3]
	v_lshlrev_b64 v[6:7], 2, v[8:9]
	s_and_saveexec_b64 s[4:5], vcc
	s_cbranch_execz .LBB51_11
; %bb.10:
	v_add_co_u32_e64 v12, s[2:3], v10, v6
	v_addc_co_u32_e64 v13, s[2:3], v11, v7, s[2:3]
	v_mul_f32_e32 v15, s9, v2
	global_store_dword v[12:13], v15, off
.LBB51_11:
	s_or_b64 exec, exec, s[4:5]
	v_add_co_u32_e64 v8, s[2:3], 16, v8
	v_addc_co_u32_e64 v9, s[2:3], 0, v9, s[2:3]
	v_cmp_gt_i64_e64 s[2:3], s[20:21], v[8:9]
	s_and_saveexec_b64 s[18:19], s[2:3]
	s_cbranch_execz .LBB51_13
; %bb.12:
	v_add_co_u32_e64 v8, s[4:5], v10, v6
	v_addc_co_u32_e64 v9, s[4:5], v11, v7, s[4:5]
	v_mul_f32_e32 v12, s9, v3
	global_store_dword v[8:9], v12, off offset:64
.LBB51_13:
	s_or_b64 exec, exec, s[18:19]
	v_add_co_u32_e64 v8, s[4:5], 16, v4
	v_addc_co_u32_e64 v9, s[4:5], 0, v5, s[4:5]
	v_cmp_gt_i64_e64 s[4:5], s[22:23], v[8:9]
	s_and_b64 exec, exec, s[4:5]
	s_cbranch_execz .LBB51_18
; %bb.14:
	s_lshl_b64 s[4:5], s[24:25], 6
	v_mov_b32_e32 v8, s5
	v_add_co_u32_e64 v9, s[4:5], s4, v10
	v_addc_co_u32_e64 v8, s[4:5], v11, v8, s[4:5]
	v_add_co_u32_e64 v6, s[4:5], v9, v6
	v_addc_co_u32_e64 v7, s[4:5], v8, v7, s[4:5]
	s_and_saveexec_b64 s[4:5], vcc
	s_cbranch_execz .LBB51_16
; %bb.15:
	v_mul_f32_e32 v8, s9, v0
	global_store_dword v[6:7], v8, off
.LBB51_16:
	s_or_b64 exec, exec, s[4:5]
	s_and_b64 exec, exec, s[2:3]
	s_cbranch_execz .LBB51_18
; %bb.17:
	v_mul_f32_e32 v8, s9, v1
	global_store_dword v[6:7], v8, off offset:64
.LBB51_18:
	s_or_b64 exec, exec, s[6:7]
	s_cbranch_execz .LBB51_21
.LBB51_19:
	s_endpgm
.LBB51_20:
.LBB51_21:
	s_and_saveexec_b64 s[2:3], s[0:1]
	s_cbranch_execz .LBB51_19
; %bb.22:
	s_mul_i32 s0, s8, s17
	s_mul_hi_u32 s1, s8, s16
	s_add_i32 s1, s1, s0
	s_mul_i32 s0, s8, s16
	s_lshl_b64 s[0:1], s[0:1], 2
	s_add_u32 s2, s12, s0
	v_mov_b32_e32 v6, s11
	v_add_co_u32_e32 v8, vcc, s10, v14
	s_addc_u32 s3, s13, s1
	v_addc_co_u32_e32 v9, vcc, 0, v6, vcc
	v_mul_lo_u32 v10, v5, s14
	v_mul_lo_u32 v11, v4, s15
	v_mad_u64_u32 v[6:7], s[0:1], v4, s14, 0
	v_add3_u32 v7, v7, v11, v10
	v_mul_lo_u32 v10, v5, s24
	v_mul_lo_u32 v11, v4, s25
	v_mad_u64_u32 v[12:13], s[0:1], v4, s24, 0
	v_lshlrev_b64 v[6:7], 2, v[6:7]
	v_add3_u32 v13, v13, v11, v10
	v_mov_b32_e32 v11, s3
	v_add_co_u32_e64 v10, s[0:1], s2, v6
	v_addc_co_u32_e64 v11, s[0:1], v11, v7, s[0:1]
	v_lshlrev_b64 v[6:7], 2, v[12:13]
	v_mov_b32_e32 v13, s27
	v_add_co_u32_e64 v12, s[0:1], s26, v6
	v_cmp_gt_i64_e32 vcc, s[20:21], v[8:9]
	v_addc_co_u32_e64 v13, s[0:1], v13, v7, s[0:1]
	v_lshlrev_b64 v[6:7], 2, v[8:9]
	s_and_saveexec_b64 s[2:3], vcc
	s_cbranch_execz .LBB51_24
; %bb.23:
	v_add_co_u32_e64 v14, s[0:1], v10, v6
	v_addc_co_u32_e64 v15, s[0:1], v11, v7, s[0:1]
	global_load_dword v14, v[14:15], off
	s_waitcnt vmcnt(0)
	v_mul_f32_e32 v16, s30, v14
	v_add_co_u32_e64 v14, s[0:1], v12, v6
	v_fmac_f32_e32 v16, s9, v2
	v_addc_co_u32_e64 v15, s[0:1], v13, v7, s[0:1]
	global_store_dword v[14:15], v16, off
.LBB51_24:
	s_or_b64 exec, exec, s[2:3]
	v_add_co_u32_e64 v8, s[0:1], 16, v8
	v_addc_co_u32_e64 v9, s[0:1], 0, v9, s[0:1]
	v_cmp_gt_i64_e64 s[0:1], s[20:21], v[8:9]
	s_and_saveexec_b64 s[4:5], s[0:1]
	s_cbranch_execz .LBB51_26
; %bb.25:
	v_add_co_u32_e64 v8, s[2:3], v10, v6
	v_addc_co_u32_e64 v9, s[2:3], v11, v7, s[2:3]
	global_load_dword v2, v[8:9], off offset:64
	s_waitcnt vmcnt(0)
	v_mul_f32_e32 v8, s30, v2
	v_add_co_u32_e64 v2, s[2:3], v12, v6
	v_fmac_f32_e32 v8, s9, v3
	v_addc_co_u32_e64 v3, s[2:3], v13, v7, s[2:3]
	global_store_dword v[2:3], v8, off offset:64
.LBB51_26:
	s_or_b64 exec, exec, s[4:5]
	v_add_co_u32_e64 v2, s[2:3], 16, v4
	v_addc_co_u32_e64 v3, s[2:3], 0, v5, s[2:3]
	v_cmp_gt_i64_e64 s[2:3], s[22:23], v[2:3]
	s_and_b64 exec, exec, s[2:3]
	s_cbranch_execz .LBB51_19
; %bb.27:
	s_lshl_b64 s[2:3], s[14:15], 6
	v_mov_b32_e32 v2, s3
	v_add_co_u32_e64 v3, s[2:3], s2, v10
	v_addc_co_u32_e64 v4, s[2:3], v11, v2, s[2:3]
	s_lshl_b64 s[2:3], s[24:25], 6
	v_mov_b32_e32 v2, s3
	v_add_co_u32_e64 v5, s[2:3], s2, v12
	v_addc_co_u32_e64 v8, s[2:3], v13, v2, s[2:3]
	v_add_co_u32_e64 v2, s[2:3], v3, v6
	v_addc_co_u32_e64 v3, s[2:3], v4, v7, s[2:3]
	;; [unrolled: 2-line block ×3, first 2 shown]
	s_and_saveexec_b64 s[2:3], vcc
	s_cbranch_execz .LBB51_29
; %bb.28:
	global_load_dword v6, v[2:3], off
	s_waitcnt vmcnt(0)
	v_mul_f32_e32 v6, s30, v6
	v_fmac_f32_e32 v6, s9, v0
	global_store_dword v[4:5], v6, off
.LBB51_29:
	s_or_b64 exec, exec, s[2:3]
	s_and_b64 exec, exec, s[0:1]
	s_cbranch_execz .LBB51_19
; %bb.30:
	global_load_dword v0, v[2:3], off offset:64
	s_waitcnt vmcnt(0)
	v_mul_f32_e32 v0, s30, v0
	v_fmac_f32_e32 v0, s9, v1
	global_store_dword v[4:5], v0, off offset:64
	s_endpgm
	.section	.rodata,"a",@progbits
	.p2align	6, 0x0
	.amdhsa_kernel _ZN12_GLOBAL__N_135rocblas_gemm_batched_general_kernelIfLi16ELi16ELi32ELi32ELi8ELi32ELi8ELi8ELi32ELc78ELc84EKfS1_fEEvlllT_PT11_llS4_llS2_PT12_llPT13_lli
		.amdhsa_group_segment_fixed_size 2048
		.amdhsa_private_segment_fixed_size 0
		.amdhsa_kernarg_size 140
		.amdhsa_user_sgpr_count 6
		.amdhsa_user_sgpr_private_segment_buffer 1
		.amdhsa_user_sgpr_dispatch_ptr 0
		.amdhsa_user_sgpr_queue_ptr 0
		.amdhsa_user_sgpr_kernarg_segment_ptr 1
		.amdhsa_user_sgpr_dispatch_id 0
		.amdhsa_user_sgpr_flat_scratch_init 0
		.amdhsa_user_sgpr_kernarg_preload_length 0
		.amdhsa_user_sgpr_kernarg_preload_offset 0
		.amdhsa_user_sgpr_private_segment_size 0
		.amdhsa_uses_dynamic_stack 0
		.amdhsa_system_sgpr_private_segment_wavefront_offset 0
		.amdhsa_system_sgpr_workgroup_id_x 1
		.amdhsa_system_sgpr_workgroup_id_y 1
		.amdhsa_system_sgpr_workgroup_id_z 1
		.amdhsa_system_sgpr_workgroup_info 0
		.amdhsa_system_vgpr_workitem_id 1
		.amdhsa_next_free_vgpr 52
		.amdhsa_next_free_sgpr 38
		.amdhsa_accum_offset 52
		.amdhsa_reserve_vcc 1
		.amdhsa_reserve_flat_scratch 0
		.amdhsa_float_round_mode_32 0
		.amdhsa_float_round_mode_16_64 0
		.amdhsa_float_denorm_mode_32 3
		.amdhsa_float_denorm_mode_16_64 3
		.amdhsa_dx10_clamp 1
		.amdhsa_ieee_mode 1
		.amdhsa_fp16_overflow 0
		.amdhsa_tg_split 0
		.amdhsa_exception_fp_ieee_invalid_op 0
		.amdhsa_exception_fp_denorm_src 0
		.amdhsa_exception_fp_ieee_div_zero 0
		.amdhsa_exception_fp_ieee_overflow 0
		.amdhsa_exception_fp_ieee_underflow 0
		.amdhsa_exception_fp_ieee_inexact 0
		.amdhsa_exception_int_div_zero 0
	.end_amdhsa_kernel
	.section	.text._ZN12_GLOBAL__N_135rocblas_gemm_batched_general_kernelIfLi16ELi16ELi32ELi32ELi8ELi32ELi8ELi8ELi32ELc78ELc84EKfS1_fEEvlllT_PT11_llS4_llS2_PT12_llPT13_lli,"axG",@progbits,_ZN12_GLOBAL__N_135rocblas_gemm_batched_general_kernelIfLi16ELi16ELi32ELi32ELi8ELi32ELi8ELi8ELi32ELc78ELc84EKfS1_fEEvlllT_PT11_llS4_llS2_PT12_llPT13_lli,comdat
.Lfunc_end51:
	.size	_ZN12_GLOBAL__N_135rocblas_gemm_batched_general_kernelIfLi16ELi16ELi32ELi32ELi8ELi32ELi8ELi8ELi32ELc78ELc84EKfS1_fEEvlllT_PT11_llS4_llS2_PT12_llPT13_lli, .Lfunc_end51-_ZN12_GLOBAL__N_135rocblas_gemm_batched_general_kernelIfLi16ELi16ELi32ELi32ELi8ELi32ELi8ELi8ELi32ELc78ELc84EKfS1_fEEvlllT_PT11_llS4_llS2_PT12_llPT13_lli
                                        ; -- End function
	.section	.AMDGPU.csdata,"",@progbits
; Kernel info:
; codeLenInByte = 1860
; NumSgprs: 42
; NumVgprs: 52
; NumAgprs: 0
; TotalNumVgprs: 52
; ScratchSize: 0
; MemoryBound: 0
; FloatMode: 240
; IeeeMode: 1
; LDSByteSize: 2048 bytes/workgroup (compile time only)
; SGPRBlocks: 5
; VGPRBlocks: 6
; NumSGPRsForWavesPerEU: 42
; NumVGPRsForWavesPerEU: 52
; AccumOffset: 52
; Occupancy: 8
; WaveLimiterHint : 0
; COMPUTE_PGM_RSRC2:SCRATCH_EN: 0
; COMPUTE_PGM_RSRC2:USER_SGPR: 6
; COMPUTE_PGM_RSRC2:TRAP_HANDLER: 0
; COMPUTE_PGM_RSRC2:TGID_X_EN: 1
; COMPUTE_PGM_RSRC2:TGID_Y_EN: 1
; COMPUTE_PGM_RSRC2:TGID_Z_EN: 1
; COMPUTE_PGM_RSRC2:TIDIG_COMP_CNT: 1
; COMPUTE_PGM_RSRC3_GFX90A:ACCUM_OFFSET: 12
; COMPUTE_PGM_RSRC3_GFX90A:TG_SPLIT: 0
	.section	.text._ZN12_GLOBAL__N_135rocblas_gemm_batched_general_kernelIfLi16ELi16ELi32ELi32ELi8ELi32ELi8ELi8ELi32ELc84ELc84EKfS1_fEEvlllT_PT11_llS4_llS2_PT12_llPT13_lli,"axG",@progbits,_ZN12_GLOBAL__N_135rocblas_gemm_batched_general_kernelIfLi16ELi16ELi32ELi32ELi8ELi32ELi8ELi8ELi32ELc84ELc84EKfS1_fEEvlllT_PT11_llS4_llS2_PT12_llPT13_lli,comdat
	.globl	_ZN12_GLOBAL__N_135rocblas_gemm_batched_general_kernelIfLi16ELi16ELi32ELi32ELi8ELi32ELi8ELi8ELi32ELc84ELc84EKfS1_fEEvlllT_PT11_llS4_llS2_PT12_llPT13_lli ; -- Begin function _ZN12_GLOBAL__N_135rocblas_gemm_batched_general_kernelIfLi16ELi16ELi32ELi32ELi8ELi32ELi8ELi8ELi32ELc84ELc84EKfS1_fEEvlllT_PT11_llS4_llS2_PT12_llPT13_lli
	.p2align	8
	.type	_ZN12_GLOBAL__N_135rocblas_gemm_batched_general_kernelIfLi16ELi16ELi32ELi32ELi8ELi32ELi8ELi8ELi32ELc84ELc84EKfS1_fEEvlllT_PT11_llS4_llS2_PT12_llPT13_lli,@function
_ZN12_GLOBAL__N_135rocblas_gemm_batched_general_kernelIfLi16ELi16ELi32ELi32ELi8ELi32ELi8ELi8ELi32ELc84ELc84EKfS1_fEEvlllT_PT11_llS4_llS2_PT12_llPT13_lli: ; @_ZN12_GLOBAL__N_135rocblas_gemm_batched_general_kernelIfLi16ELi16ELi32ELi32ELi8ELi32ELi8ELi8ELi32ELc84ELc84EKfS1_fEEvlllT_PT11_llS4_llS2_PT12_llPT13_lli
; %bb.0:
	s_load_dwordx4 s[20:23], s[4:5], 0x0
	s_load_dwordx2 s[28:29], s[4:5], 0x10
	s_mov_b32 s30, s7
	s_ashr_i32 s7, s6, 31
	s_ashr_i32 s31, s30, 31
	v_mov_b32_e32 v3, 0
	s_waitcnt lgkmcnt(0)
	v_cmp_lt_i64_e64 s[0:1], s[28:29], 1
	v_and_b32_e32 v14, 0x3ff, v0
	v_bfe_u32 v5, v0, 10, 10
	s_lshl_b64 s[6:7], s[6:7], 5
	s_lshl_b64 s[10:11], s[30:31], 5
	s_and_b64 vcc, exec, s[0:1]
	v_mov_b32_e32 v2, v3
	v_mov_b32_e32 v1, v3
	;; [unrolled: 1-line block ×3, first 2 shown]
	s_cbranch_vccnz .LBB52_7
; %bb.1:
	v_lshl_add_u32 v1, v5, 4, v14
	v_lshrrev_b32_e32 v10, 3, v1
	s_load_dwordx8 s[12:19], s[4:5], 0x20
	s_load_dwordx4 s[24:27], s[4:5], 0x40
	v_mov_b32_e32 v3, s11
	v_add_co_u32_e32 v2, vcc, s10, v10
	v_and_b32_e32 v6, 7, v14
	v_addc_co_u32_e32 v3, vcc, 0, v3, vcc
	v_cmp_gt_i64_e64 s[2:3], s[22:23], v[2:3]
	v_lshlrev_b32_e32 v2, 2, v6
	v_lshl_or_b32 v2, v10, 5, v2
	v_lshrrev_b32_e32 v4, 5, v1
	v_and_b32_e32 v1, 31, v1
	v_add_u32_e32 v15, 0x400, v2
	v_mov_b32_e32 v2, 0x400
	v_mov_b32_e32 v9, s7
	v_or_b32_e32 v8, s6, v1
	v_lshl_add_u32 v17, v5, 5, v2
	s_waitcnt lgkmcnt(0)
	s_mul_i32 s9, s27, s8
	s_mul_hi_u32 s27, s26, s8
	v_mad_u64_u32 v[2:3], s[34:35], s24, v6, 0
	v_cmp_gt_i64_e64 s[0:1], s[20:21], v[8:9]
	s_add_i32 s27, s27, s9
	s_mul_i32 s26, s26, s8
	v_mov_b32_e32 v8, v3
	s_lshl_b64 s[26:27], s[26:27], 2
	v_mad_u64_u32 v[8:9], s[34:35], s25, v6, v[8:9]
	s_lshl_b64 s[30:31], s[30:31], 7
	v_mov_b32_e32 v3, v8
	s_add_u32 s9, s30, s26
	v_lshlrev_b64 v[2:3], 2, v[2:3]
	s_addc_u32 s26, s31, s27
	v_mov_b32_e32 v8, s26
	v_add_co_u32_e32 v2, vcc, s9, v2
	v_addc_co_u32_e32 v3, vcc, v8, v3, vcc
	v_lshlrev_b32_e32 v8, 2, v10
	v_add_co_u32_e32 v2, vcc, v2, v8
	v_addc_co_u32_e32 v3, vcc, 0, v3, vcc
	v_mov_b32_e32 v9, s19
	v_add_co_u32_e32 v8, vcc, s18, v2
	v_addc_co_u32_e32 v9, vcc, v9, v3, vcc
	v_lshlrev_b32_e32 v7, 2, v1
	v_mov_b32_e32 v2, s7
	v_add_co_u32_e32 v1, vcc, s6, v1
	v_addc_co_u32_e32 v2, vcc, 0, v2, vcc
	v_mul_lo_u32 v10, s15, v1
	v_mul_lo_u32 v11, s14, v2
	v_mad_u64_u32 v[2:3], s[14:15], s14, v1, 0
	s_mul_i32 s9, s17, s8
	s_mul_hi_u32 s14, s16, s8
	v_add3_u32 v3, v3, v11, v10
	s_add_i32 s15, s14, s9
	s_mul_i32 s14, s16, s8
	v_lshlrev_b64 v[2:3], 2, v[2:3]
	s_lshl_b64 s[14:15], s[14:15], 2
	v_mov_b32_e32 v1, s15
	v_add_co_u32_e32 v2, vcc, s14, v2
	v_addc_co_u32_e32 v1, vcc, v3, v1, vcc
	v_lshlrev_b32_e32 v3, 2, v4
	v_add_co_u32_e32 v2, vcc, v2, v3
	v_addc_co_u32_e32 v1, vcc, 0, v1, vcc
	v_mov_b32_e32 v0, 0
	s_lshl_b64 s[18:19], s[24:25], 5
	v_mov_b32_e32 v3, s13
	v_add_co_u32_e32 v10, vcc, s12, v2
	v_lshl_or_b32 v7, v4, 7, v7
	v_lshlrev_b32_e32 v16, 2, v14
	v_addc_co_u32_e32 v11, vcc, v3, v1, vcc
	s_mov_b64 s[12:13], 0
	v_mov_b32_e32 v18, s19
	v_pk_mov_b32 v[12:13], s[28:29], s[28:29] op_sel:[0,1]
	v_mov_b32_e32 v1, v0
	v_mov_b32_e32 v2, v0
	;; [unrolled: 1-line block ×3, first 2 shown]
	s_branch .LBB52_3
.LBB52_2:                               ;   in Loop: Header=BB52_3 Depth=1
	s_or_b64 exec, exec, s[14:15]
	s_waitcnt vmcnt(0)
	ds_write_b32 v15, v19
	s_waitcnt lgkmcnt(0)
	s_barrier
	ds_read_b128 v[20:23], v17
	ds_read_b128 v[24:27], v17 offset:16
	ds_read2_b32 v[36:37], v16 offset1:16
	ds_read2_b32 v[38:39], v16 offset0:32 offset1:48
	ds_read2_b32 v[40:41], v16 offset0:64 offset1:80
	;; [unrolled: 1-line block ×4, first 2 shown]
	ds_read_b128 v[28:31], v17 offset:512
	ds_read_b128 v[32:35], v17 offset:528
	ds_read2_b32 v[46:47], v16 offset0:160 offset1:176
	ds_read2_b32 v[48:49], v16 offset0:192 offset1:208
	;; [unrolled: 1-line block ×3, first 2 shown]
	s_waitcnt lgkmcnt(9)
	v_pk_fma_f32 v[2:3], v[36:37], v[20:21], v[2:3] op_sel_hi:[1,0,1]
	s_waitcnt lgkmcnt(8)
	v_pk_fma_f32 v[2:3], v[38:39], v[20:21], v[2:3] op_sel:[0,1,0]
	s_waitcnt lgkmcnt(7)
	v_pk_fma_f32 v[2:3], v[40:41], v[22:23], v[2:3] op_sel_hi:[1,0,1]
	v_mov_b32_e32 v20, v23
	s_waitcnt lgkmcnt(6)
	v_pk_fma_f32 v[2:3], v[42:43], v[20:21], v[2:3] op_sel_hi:[1,0,1]
	s_waitcnt lgkmcnt(5)
	v_pk_fma_f32 v[2:3], v[44:45], v[24:25], v[2:3] op_sel_hi:[1,0,1]
	s_waitcnt lgkmcnt(2)
	v_pk_fma_f32 v[2:3], v[46:47], v[24:25], v[2:3] op_sel:[0,1,0]
	v_pk_fma_f32 v[0:1], v[36:37], v[28:29], v[0:1] op_sel_hi:[1,0,1]
	s_waitcnt lgkmcnt(1)
	v_pk_fma_f32 v[2:3], v[48:49], v[26:27], v[2:3] op_sel_hi:[1,0,1]
	v_mov_b32_e32 v20, v27
	v_pk_fma_f32 v[0:1], v[38:39], v[28:29], v[0:1] op_sel:[0,1,0]
	s_waitcnt lgkmcnt(0)
	v_pk_fma_f32 v[2:3], v[50:51], v[20:21], v[2:3] op_sel_hi:[1,0,1]
	v_pk_fma_f32 v[0:1], v[40:41], v[30:31], v[0:1] op_sel_hi:[1,0,1]
	v_mov_b32_e32 v20, v31
	v_add_co_u32_e32 v8, vcc, s18, v8
	v_pk_fma_f32 v[0:1], v[42:43], v[20:21], v[0:1] op_sel_hi:[1,0,1]
	v_addc_co_u32_e32 v9, vcc, v9, v18, vcc
	v_pk_fma_f32 v[0:1], v[44:45], v[32:33], v[0:1] op_sel_hi:[1,0,1]
	s_add_u32 s12, s12, 8
	v_add_co_u32_e32 v10, vcc, 32, v10
	v_pk_fma_f32 v[0:1], v[46:47], v[32:33], v[0:1] op_sel:[0,1,0]
	s_addc_u32 s13, s13, 0
	v_addc_co_u32_e32 v11, vcc, 0, v11, vcc
	v_pk_fma_f32 v[0:1], v[48:49], v[34:35], v[0:1] op_sel_hi:[1,0,1]
	v_mov_b32_e32 v20, v35
	v_cmp_lt_i64_e32 vcc, s[12:13], v[12:13]
	v_pk_fma_f32 v[0:1], v[50:51], v[20:21], v[0:1] op_sel_hi:[1,0,1]
	s_barrier
	s_cbranch_vccz .LBB52_7
.LBB52_3:                               ; =>This Inner Loop Header: Depth=1
	v_mov_b32_e32 v19, s13
	v_add_co_u32_e32 v20, vcc, s12, v4
	v_addc_co_u32_e32 v21, vcc, 0, v19, vcc
	v_cmp_gt_i64_e32 vcc, s[28:29], v[20:21]
	s_and_b64 s[16:17], s[0:1], vcc
	v_mov_b32_e32 v19, 0
	s_and_saveexec_b64 s[14:15], s[16:17]
	s_cbranch_execz .LBB52_5
; %bb.4:                                ;   in Loop: Header=BB52_3 Depth=1
	global_load_dword v19, v[10:11], off
.LBB52_5:                               ;   in Loop: Header=BB52_3 Depth=1
	s_or_b64 exec, exec, s[14:15]
	s_waitcnt vmcnt(0)
	ds_write_b32 v7, v19
	v_mov_b32_e32 v19, s13
	v_add_co_u32_e32 v20, vcc, s12, v6
	v_addc_co_u32_e32 v21, vcc, 0, v19, vcc
	v_cmp_gt_i64_e32 vcc, s[28:29], v[20:21]
	s_and_b64 s[16:17], vcc, s[2:3]
	v_mov_b32_e32 v19, 0
	s_and_saveexec_b64 s[14:15], s[16:17]
	s_cbranch_execz .LBB52_2
; %bb.6:                                ;   in Loop: Header=BB52_3 Depth=1
	global_load_dword v19, v[8:9], off
	s_branch .LBB52_2
.LBB52_7:
	s_load_dwordx4 s[24:27], s[4:5], 0x78
	s_load_dword s9, s[4:5], 0x18
	s_load_dword s28, s[4:5], 0x50
	s_load_dwordx8 s[12:19], s[4:5], 0x58
	v_mov_b32_e32 v6, s11
	s_waitcnt lgkmcnt(0)
	s_mul_i32 s0, s8, s27
	s_mul_hi_u32 s1, s8, s26
	s_add_i32 s1, s1, s0
	s_mul_i32 s0, s8, s26
	s_lshl_b64 s[0:1], s[0:1], 2
	v_add_co_u32_e32 v4, vcc, s10, v5
	s_add_u32 s26, s18, s0
	v_addc_co_u32_e32 v5, vcc, 0, v6, vcc
	v_cmp_neq_f32_e64 s[2:3], s28, 0
	s_addc_u32 s27, s19, s1
	v_cmp_gt_i64_e64 s[0:1], s[22:23], v[4:5]
	s_and_b64 vcc, exec, s[2:3]
	s_cbranch_vccnz .LBB52_20
; %bb.8:
	s_and_saveexec_b64 s[10:11], s[0:1]
	s_cbranch_execz .LBB52_18
; %bb.9:
	v_mov_b32_e32 v6, s7
	v_add_co_u32_e32 v8, vcc, s6, v14
	v_addc_co_u32_e32 v9, vcc, 0, v6, vcc
	v_mul_lo_u32 v10, v5, s24
	v_mul_lo_u32 v11, v4, s25
	v_mad_u64_u32 v[6:7], s[2:3], v4, s24, 0
	v_add3_u32 v7, v7, v11, v10
	v_lshlrev_b64 v[6:7], 2, v[6:7]
	v_mov_b32_e32 v11, s27
	v_add_co_u32_e64 v10, s[2:3], s26, v6
	v_cmp_gt_i64_e32 vcc, s[20:21], v[8:9]
	v_addc_co_u32_e64 v11, s[2:3], v11, v7, s[2:3]
	v_lshlrev_b64 v[6:7], 2, v[8:9]
	s_and_saveexec_b64 s[4:5], vcc
	s_cbranch_execz .LBB52_11
; %bb.10:
	v_add_co_u32_e64 v12, s[2:3], v10, v6
	v_addc_co_u32_e64 v13, s[2:3], v11, v7, s[2:3]
	v_mul_f32_e32 v15, s9, v2
	global_store_dword v[12:13], v15, off
.LBB52_11:
	s_or_b64 exec, exec, s[4:5]
	v_add_co_u32_e64 v8, s[2:3], 16, v8
	v_addc_co_u32_e64 v9, s[2:3], 0, v9, s[2:3]
	v_cmp_gt_i64_e64 s[2:3], s[20:21], v[8:9]
	s_and_saveexec_b64 s[18:19], s[2:3]
	s_cbranch_execz .LBB52_13
; %bb.12:
	v_add_co_u32_e64 v8, s[4:5], v10, v6
	v_addc_co_u32_e64 v9, s[4:5], v11, v7, s[4:5]
	v_mul_f32_e32 v12, s9, v3
	global_store_dword v[8:9], v12, off offset:64
.LBB52_13:
	s_or_b64 exec, exec, s[18:19]
	v_add_co_u32_e64 v8, s[4:5], 16, v4
	v_addc_co_u32_e64 v9, s[4:5], 0, v5, s[4:5]
	v_cmp_gt_i64_e64 s[4:5], s[22:23], v[8:9]
	s_and_b64 exec, exec, s[4:5]
	s_cbranch_execz .LBB52_18
; %bb.14:
	s_lshl_b64 s[4:5], s[24:25], 6
	v_mov_b32_e32 v8, s5
	v_add_co_u32_e64 v9, s[4:5], s4, v10
	v_addc_co_u32_e64 v8, s[4:5], v11, v8, s[4:5]
	v_add_co_u32_e64 v6, s[4:5], v9, v6
	v_addc_co_u32_e64 v7, s[4:5], v8, v7, s[4:5]
	s_and_saveexec_b64 s[4:5], vcc
	s_cbranch_execz .LBB52_16
; %bb.15:
	v_mul_f32_e32 v8, s9, v0
	global_store_dword v[6:7], v8, off
.LBB52_16:
	s_or_b64 exec, exec, s[4:5]
	s_and_b64 exec, exec, s[2:3]
	s_cbranch_execz .LBB52_18
; %bb.17:
	v_mul_f32_e32 v8, s9, v1
	global_store_dword v[6:7], v8, off offset:64
.LBB52_18:
	s_or_b64 exec, exec, s[10:11]
	s_cbranch_execz .LBB52_21
.LBB52_19:
	s_endpgm
.LBB52_20:
.LBB52_21:
	s_and_saveexec_b64 s[2:3], s[0:1]
	s_cbranch_execz .LBB52_19
; %bb.22:
	s_mul_i32 s0, s8, s17
	s_mul_hi_u32 s1, s8, s16
	s_add_i32 s1, s1, s0
	s_mul_i32 s0, s8, s16
	s_lshl_b64 s[0:1], s[0:1], 2
	s_add_u32 s2, s12, s0
	v_mov_b32_e32 v6, s7
	v_add_co_u32_e32 v8, vcc, s6, v14
	s_addc_u32 s3, s13, s1
	v_addc_co_u32_e32 v9, vcc, 0, v6, vcc
	v_mul_lo_u32 v10, v5, s14
	v_mul_lo_u32 v11, v4, s15
	v_mad_u64_u32 v[6:7], s[0:1], v4, s14, 0
	v_add3_u32 v7, v7, v11, v10
	v_mul_lo_u32 v10, v5, s24
	v_mul_lo_u32 v11, v4, s25
	v_mad_u64_u32 v[12:13], s[0:1], v4, s24, 0
	v_lshlrev_b64 v[6:7], 2, v[6:7]
	v_add3_u32 v13, v13, v11, v10
	v_mov_b32_e32 v11, s3
	v_add_co_u32_e64 v10, s[0:1], s2, v6
	v_addc_co_u32_e64 v11, s[0:1], v11, v7, s[0:1]
	v_lshlrev_b64 v[6:7], 2, v[12:13]
	v_mov_b32_e32 v13, s27
	v_add_co_u32_e64 v12, s[0:1], s26, v6
	v_cmp_gt_i64_e32 vcc, s[20:21], v[8:9]
	v_addc_co_u32_e64 v13, s[0:1], v13, v7, s[0:1]
	v_lshlrev_b64 v[6:7], 2, v[8:9]
	s_and_saveexec_b64 s[2:3], vcc
	s_cbranch_execz .LBB52_24
; %bb.23:
	v_add_co_u32_e64 v14, s[0:1], v10, v6
	v_addc_co_u32_e64 v15, s[0:1], v11, v7, s[0:1]
	global_load_dword v14, v[14:15], off
	s_waitcnt vmcnt(0)
	v_mul_f32_e32 v16, s28, v14
	v_add_co_u32_e64 v14, s[0:1], v12, v6
	v_fmac_f32_e32 v16, s9, v2
	v_addc_co_u32_e64 v15, s[0:1], v13, v7, s[0:1]
	global_store_dword v[14:15], v16, off
.LBB52_24:
	s_or_b64 exec, exec, s[2:3]
	v_add_co_u32_e64 v8, s[0:1], 16, v8
	v_addc_co_u32_e64 v9, s[0:1], 0, v9, s[0:1]
	v_cmp_gt_i64_e64 s[0:1], s[20:21], v[8:9]
	s_and_saveexec_b64 s[4:5], s[0:1]
	s_cbranch_execz .LBB52_26
; %bb.25:
	v_add_co_u32_e64 v8, s[2:3], v10, v6
	v_addc_co_u32_e64 v9, s[2:3], v11, v7, s[2:3]
	global_load_dword v2, v[8:9], off offset:64
	s_waitcnt vmcnt(0)
	v_mul_f32_e32 v8, s28, v2
	v_add_co_u32_e64 v2, s[2:3], v12, v6
	v_fmac_f32_e32 v8, s9, v3
	v_addc_co_u32_e64 v3, s[2:3], v13, v7, s[2:3]
	global_store_dword v[2:3], v8, off offset:64
.LBB52_26:
	s_or_b64 exec, exec, s[4:5]
	v_add_co_u32_e64 v2, s[2:3], 16, v4
	v_addc_co_u32_e64 v3, s[2:3], 0, v5, s[2:3]
	v_cmp_gt_i64_e64 s[2:3], s[22:23], v[2:3]
	s_and_b64 exec, exec, s[2:3]
	s_cbranch_execz .LBB52_19
; %bb.27:
	s_lshl_b64 s[2:3], s[14:15], 6
	v_mov_b32_e32 v2, s3
	v_add_co_u32_e64 v3, s[2:3], s2, v10
	v_addc_co_u32_e64 v4, s[2:3], v11, v2, s[2:3]
	s_lshl_b64 s[2:3], s[24:25], 6
	v_mov_b32_e32 v2, s3
	v_add_co_u32_e64 v5, s[2:3], s2, v12
	v_addc_co_u32_e64 v8, s[2:3], v13, v2, s[2:3]
	v_add_co_u32_e64 v2, s[2:3], v3, v6
	v_addc_co_u32_e64 v3, s[2:3], v4, v7, s[2:3]
	;; [unrolled: 2-line block ×3, first 2 shown]
	s_and_saveexec_b64 s[2:3], vcc
	s_cbranch_execz .LBB52_29
; %bb.28:
	global_load_dword v6, v[2:3], off
	s_waitcnt vmcnt(0)
	v_mul_f32_e32 v6, s28, v6
	v_fmac_f32_e32 v6, s9, v0
	global_store_dword v[4:5], v6, off
.LBB52_29:
	s_or_b64 exec, exec, s[2:3]
	s_and_b64 exec, exec, s[0:1]
	s_cbranch_execz .LBB52_19
; %bb.30:
	global_load_dword v0, v[2:3], off offset:64
	s_waitcnt vmcnt(0)
	v_mul_f32_e32 v0, s28, v0
	v_fmac_f32_e32 v0, s9, v1
	global_store_dword v[4:5], v0, off offset:64
	s_endpgm
	.section	.rodata,"a",@progbits
	.p2align	6, 0x0
	.amdhsa_kernel _ZN12_GLOBAL__N_135rocblas_gemm_batched_general_kernelIfLi16ELi16ELi32ELi32ELi8ELi32ELi8ELi8ELi32ELc84ELc84EKfS1_fEEvlllT_PT11_llS4_llS2_PT12_llPT13_lli
		.amdhsa_group_segment_fixed_size 2048
		.amdhsa_private_segment_fixed_size 0
		.amdhsa_kernarg_size 140
		.amdhsa_user_sgpr_count 6
		.amdhsa_user_sgpr_private_segment_buffer 1
		.amdhsa_user_sgpr_dispatch_ptr 0
		.amdhsa_user_sgpr_queue_ptr 0
		.amdhsa_user_sgpr_kernarg_segment_ptr 1
		.amdhsa_user_sgpr_dispatch_id 0
		.amdhsa_user_sgpr_flat_scratch_init 0
		.amdhsa_user_sgpr_kernarg_preload_length 0
		.amdhsa_user_sgpr_kernarg_preload_offset 0
		.amdhsa_user_sgpr_private_segment_size 0
		.amdhsa_uses_dynamic_stack 0
		.amdhsa_system_sgpr_private_segment_wavefront_offset 0
		.amdhsa_system_sgpr_workgroup_id_x 1
		.amdhsa_system_sgpr_workgroup_id_y 1
		.amdhsa_system_sgpr_workgroup_id_z 1
		.amdhsa_system_sgpr_workgroup_info 0
		.amdhsa_system_vgpr_workitem_id 1
		.amdhsa_next_free_vgpr 52
		.amdhsa_next_free_sgpr 36
		.amdhsa_accum_offset 52
		.amdhsa_reserve_vcc 1
		.amdhsa_reserve_flat_scratch 0
		.amdhsa_float_round_mode_32 0
		.amdhsa_float_round_mode_16_64 0
		.amdhsa_float_denorm_mode_32 3
		.amdhsa_float_denorm_mode_16_64 3
		.amdhsa_dx10_clamp 1
		.amdhsa_ieee_mode 1
		.amdhsa_fp16_overflow 0
		.amdhsa_tg_split 0
		.amdhsa_exception_fp_ieee_invalid_op 0
		.amdhsa_exception_fp_denorm_src 0
		.amdhsa_exception_fp_ieee_div_zero 0
		.amdhsa_exception_fp_ieee_overflow 0
		.amdhsa_exception_fp_ieee_underflow 0
		.amdhsa_exception_fp_ieee_inexact 0
		.amdhsa_exception_int_div_zero 0
	.end_amdhsa_kernel
	.section	.text._ZN12_GLOBAL__N_135rocblas_gemm_batched_general_kernelIfLi16ELi16ELi32ELi32ELi8ELi32ELi8ELi8ELi32ELc84ELc84EKfS1_fEEvlllT_PT11_llS4_llS2_PT12_llPT13_lli,"axG",@progbits,_ZN12_GLOBAL__N_135rocblas_gemm_batched_general_kernelIfLi16ELi16ELi32ELi32ELi8ELi32ELi8ELi8ELi32ELc84ELc84EKfS1_fEEvlllT_PT11_llS4_llS2_PT12_llPT13_lli,comdat
.Lfunc_end52:
	.size	_ZN12_GLOBAL__N_135rocblas_gemm_batched_general_kernelIfLi16ELi16ELi32ELi32ELi8ELi32ELi8ELi8ELi32ELc84ELc84EKfS1_fEEvlllT_PT11_llS4_llS2_PT12_llPT13_lli, .Lfunc_end52-_ZN12_GLOBAL__N_135rocblas_gemm_batched_general_kernelIfLi16ELi16ELi32ELi32ELi8ELi32ELi8ELi8ELi32ELc84ELc84EKfS1_fEEvlllT_PT11_llS4_llS2_PT12_llPT13_lli
                                        ; -- End function
	.section	.AMDGPU.csdata,"",@progbits
; Kernel info:
; codeLenInByte = 1864
; NumSgprs: 40
; NumVgprs: 52
; NumAgprs: 0
; TotalNumVgprs: 52
; ScratchSize: 0
; MemoryBound: 0
; FloatMode: 240
; IeeeMode: 1
; LDSByteSize: 2048 bytes/workgroup (compile time only)
; SGPRBlocks: 4
; VGPRBlocks: 6
; NumSGPRsForWavesPerEU: 40
; NumVGPRsForWavesPerEU: 52
; AccumOffset: 52
; Occupancy: 8
; WaveLimiterHint : 0
; COMPUTE_PGM_RSRC2:SCRATCH_EN: 0
; COMPUTE_PGM_RSRC2:USER_SGPR: 6
; COMPUTE_PGM_RSRC2:TRAP_HANDLER: 0
; COMPUTE_PGM_RSRC2:TGID_X_EN: 1
; COMPUTE_PGM_RSRC2:TGID_Y_EN: 1
; COMPUTE_PGM_RSRC2:TGID_Z_EN: 1
; COMPUTE_PGM_RSRC2:TIDIG_COMP_CNT: 1
; COMPUTE_PGM_RSRC3_GFX90A:ACCUM_OFFSET: 12
; COMPUTE_PGM_RSRC3_GFX90A:TG_SPLIT: 0
	.section	.text._ZN12_GLOBAL__N_135rocblas_gemm_batched_general_kernelIfLi16ELi16ELi32ELi32ELi8ELi32ELi8ELi8ELi32ELc67ELc67EKfS1_fEEvlllT_PT11_llS4_llS2_PT12_llPT13_lli,"axG",@progbits,_ZN12_GLOBAL__N_135rocblas_gemm_batched_general_kernelIfLi16ELi16ELi32ELi32ELi8ELi32ELi8ELi8ELi32ELc67ELc67EKfS1_fEEvlllT_PT11_llS4_llS2_PT12_llPT13_lli,comdat
	.globl	_ZN12_GLOBAL__N_135rocblas_gemm_batched_general_kernelIfLi16ELi16ELi32ELi32ELi8ELi32ELi8ELi8ELi32ELc67ELc67EKfS1_fEEvlllT_PT11_llS4_llS2_PT12_llPT13_lli ; -- Begin function _ZN12_GLOBAL__N_135rocblas_gemm_batched_general_kernelIfLi16ELi16ELi32ELi32ELi8ELi32ELi8ELi8ELi32ELc67ELc67EKfS1_fEEvlllT_PT11_llS4_llS2_PT12_llPT13_lli
	.p2align	8
	.type	_ZN12_GLOBAL__N_135rocblas_gemm_batched_general_kernelIfLi16ELi16ELi32ELi32ELi8ELi32ELi8ELi8ELi32ELc67ELc67EKfS1_fEEvlllT_PT11_llS4_llS2_PT12_llPT13_lli,@function
_ZN12_GLOBAL__N_135rocblas_gemm_batched_general_kernelIfLi16ELi16ELi32ELi32ELi8ELi32ELi8ELi8ELi32ELc67ELc67EKfS1_fEEvlllT_PT11_llS4_llS2_PT12_llPT13_lli: ; @_ZN12_GLOBAL__N_135rocblas_gemm_batched_general_kernelIfLi16ELi16ELi32ELi32ELi8ELi32ELi8ELi8ELi32ELc67ELc67EKfS1_fEEvlllT_PT11_llS4_llS2_PT12_llPT13_lli
; %bb.0:
	s_load_dwordx4 s[20:23], s[4:5], 0x0
	s_load_dwordx2 s[28:29], s[4:5], 0x10
	s_mov_b32 s30, s7
	s_ashr_i32 s7, s6, 31
	s_ashr_i32 s31, s30, 31
	v_mov_b32_e32 v3, 0
	s_waitcnt lgkmcnt(0)
	v_cmp_lt_i64_e64 s[0:1], s[28:29], 1
	v_and_b32_e32 v14, 0x3ff, v0
	v_bfe_u32 v5, v0, 10, 10
	s_lshl_b64 s[6:7], s[6:7], 5
	s_lshl_b64 s[10:11], s[30:31], 5
	s_and_b64 vcc, exec, s[0:1]
	v_mov_b32_e32 v2, v3
	v_mov_b32_e32 v1, v3
	;; [unrolled: 1-line block ×3, first 2 shown]
	s_cbranch_vccnz .LBB53_7
; %bb.1:
	v_lshl_add_u32 v1, v5, 4, v14
	v_lshrrev_b32_e32 v10, 3, v1
	s_load_dwordx8 s[12:19], s[4:5], 0x20
	s_load_dwordx4 s[24:27], s[4:5], 0x40
	v_mov_b32_e32 v3, s11
	v_add_co_u32_e32 v2, vcc, s10, v10
	v_and_b32_e32 v6, 7, v14
	v_addc_co_u32_e32 v3, vcc, 0, v3, vcc
	v_cmp_gt_i64_e64 s[2:3], s[22:23], v[2:3]
	v_lshlrev_b32_e32 v2, 2, v6
	v_lshl_or_b32 v2, v10, 5, v2
	v_lshrrev_b32_e32 v4, 5, v1
	v_and_b32_e32 v1, 31, v1
	v_add_u32_e32 v15, 0x400, v2
	v_mov_b32_e32 v2, 0x400
	v_mov_b32_e32 v9, s7
	v_or_b32_e32 v8, s6, v1
	v_lshl_add_u32 v17, v5, 5, v2
	s_waitcnt lgkmcnt(0)
	s_mul_i32 s9, s27, s8
	s_mul_hi_u32 s27, s26, s8
	v_mad_u64_u32 v[2:3], s[34:35], s24, v6, 0
	v_cmp_gt_i64_e64 s[0:1], s[20:21], v[8:9]
	s_add_i32 s27, s27, s9
	s_mul_i32 s26, s26, s8
	v_mov_b32_e32 v8, v3
	s_lshl_b64 s[26:27], s[26:27], 2
	v_mad_u64_u32 v[8:9], s[34:35], s25, v6, v[8:9]
	s_lshl_b64 s[30:31], s[30:31], 7
	v_mov_b32_e32 v3, v8
	s_add_u32 s9, s30, s26
	v_lshlrev_b64 v[2:3], 2, v[2:3]
	s_addc_u32 s26, s31, s27
	v_mov_b32_e32 v8, s26
	v_add_co_u32_e32 v2, vcc, s9, v2
	v_addc_co_u32_e32 v3, vcc, v8, v3, vcc
	v_lshlrev_b32_e32 v8, 2, v10
	v_add_co_u32_e32 v2, vcc, v2, v8
	v_addc_co_u32_e32 v3, vcc, 0, v3, vcc
	v_mov_b32_e32 v9, s19
	v_add_co_u32_e32 v8, vcc, s18, v2
	v_addc_co_u32_e32 v9, vcc, v9, v3, vcc
	v_lshlrev_b32_e32 v7, 2, v1
	v_mov_b32_e32 v2, s7
	v_add_co_u32_e32 v1, vcc, s6, v1
	v_addc_co_u32_e32 v2, vcc, 0, v2, vcc
	v_mul_lo_u32 v10, s15, v1
	v_mul_lo_u32 v11, s14, v2
	v_mad_u64_u32 v[2:3], s[14:15], s14, v1, 0
	s_mul_i32 s9, s17, s8
	s_mul_hi_u32 s14, s16, s8
	v_add3_u32 v3, v3, v11, v10
	s_add_i32 s15, s14, s9
	s_mul_i32 s14, s16, s8
	v_lshlrev_b64 v[2:3], 2, v[2:3]
	s_lshl_b64 s[14:15], s[14:15], 2
	v_mov_b32_e32 v1, s15
	v_add_co_u32_e32 v2, vcc, s14, v2
	v_addc_co_u32_e32 v1, vcc, v3, v1, vcc
	v_lshlrev_b32_e32 v3, 2, v4
	v_add_co_u32_e32 v2, vcc, v2, v3
	v_addc_co_u32_e32 v1, vcc, 0, v1, vcc
	v_mov_b32_e32 v0, 0
	s_lshl_b64 s[18:19], s[24:25], 5
	v_mov_b32_e32 v3, s13
	v_add_co_u32_e32 v10, vcc, s12, v2
	v_lshl_or_b32 v7, v4, 7, v7
	v_lshlrev_b32_e32 v16, 2, v14
	v_addc_co_u32_e32 v11, vcc, v3, v1, vcc
	s_mov_b64 s[12:13], 0
	v_mov_b32_e32 v18, s19
	v_pk_mov_b32 v[12:13], s[28:29], s[28:29] op_sel:[0,1]
	v_mov_b32_e32 v1, v0
	v_mov_b32_e32 v2, v0
	;; [unrolled: 1-line block ×3, first 2 shown]
	s_branch .LBB53_3
.LBB53_2:                               ;   in Loop: Header=BB53_3 Depth=1
	s_or_b64 exec, exec, s[14:15]
	s_waitcnt vmcnt(0)
	ds_write_b32 v15, v19
	s_waitcnt lgkmcnt(0)
	s_barrier
	ds_read_b128 v[20:23], v17
	ds_read_b128 v[24:27], v17 offset:16
	ds_read2_b32 v[36:37], v16 offset1:16
	ds_read2_b32 v[38:39], v16 offset0:32 offset1:48
	ds_read2_b32 v[40:41], v16 offset0:64 offset1:80
	;; [unrolled: 1-line block ×4, first 2 shown]
	ds_read_b128 v[28:31], v17 offset:512
	ds_read_b128 v[32:35], v17 offset:528
	ds_read2_b32 v[46:47], v16 offset0:160 offset1:176
	ds_read2_b32 v[48:49], v16 offset0:192 offset1:208
	;; [unrolled: 1-line block ×3, first 2 shown]
	s_waitcnt lgkmcnt(9)
	v_pk_fma_f32 v[2:3], v[36:37], v[20:21], v[2:3] op_sel_hi:[1,0,1]
	s_waitcnt lgkmcnt(8)
	v_pk_fma_f32 v[2:3], v[38:39], v[20:21], v[2:3] op_sel:[0,1,0]
	s_waitcnt lgkmcnt(7)
	v_pk_fma_f32 v[2:3], v[40:41], v[22:23], v[2:3] op_sel_hi:[1,0,1]
	v_mov_b32_e32 v20, v23
	s_waitcnt lgkmcnt(6)
	v_pk_fma_f32 v[2:3], v[42:43], v[20:21], v[2:3] op_sel_hi:[1,0,1]
	s_waitcnt lgkmcnt(5)
	v_pk_fma_f32 v[2:3], v[44:45], v[24:25], v[2:3] op_sel_hi:[1,0,1]
	s_waitcnt lgkmcnt(2)
	v_pk_fma_f32 v[2:3], v[46:47], v[24:25], v[2:3] op_sel:[0,1,0]
	v_pk_fma_f32 v[0:1], v[36:37], v[28:29], v[0:1] op_sel_hi:[1,0,1]
	s_waitcnt lgkmcnt(1)
	v_pk_fma_f32 v[2:3], v[48:49], v[26:27], v[2:3] op_sel_hi:[1,0,1]
	v_mov_b32_e32 v20, v27
	v_pk_fma_f32 v[0:1], v[38:39], v[28:29], v[0:1] op_sel:[0,1,0]
	s_waitcnt lgkmcnt(0)
	v_pk_fma_f32 v[2:3], v[50:51], v[20:21], v[2:3] op_sel_hi:[1,0,1]
	v_pk_fma_f32 v[0:1], v[40:41], v[30:31], v[0:1] op_sel_hi:[1,0,1]
	v_mov_b32_e32 v20, v31
	v_add_co_u32_e32 v8, vcc, s18, v8
	v_pk_fma_f32 v[0:1], v[42:43], v[20:21], v[0:1] op_sel_hi:[1,0,1]
	v_addc_co_u32_e32 v9, vcc, v9, v18, vcc
	v_pk_fma_f32 v[0:1], v[44:45], v[32:33], v[0:1] op_sel_hi:[1,0,1]
	s_add_u32 s12, s12, 8
	v_add_co_u32_e32 v10, vcc, 32, v10
	v_pk_fma_f32 v[0:1], v[46:47], v[32:33], v[0:1] op_sel:[0,1,0]
	s_addc_u32 s13, s13, 0
	v_addc_co_u32_e32 v11, vcc, 0, v11, vcc
	v_pk_fma_f32 v[0:1], v[48:49], v[34:35], v[0:1] op_sel_hi:[1,0,1]
	v_mov_b32_e32 v20, v35
	v_cmp_lt_i64_e32 vcc, s[12:13], v[12:13]
	v_pk_fma_f32 v[0:1], v[50:51], v[20:21], v[0:1] op_sel_hi:[1,0,1]
	s_barrier
	s_cbranch_vccz .LBB53_7
.LBB53_3:                               ; =>This Inner Loop Header: Depth=1
	v_mov_b32_e32 v19, s13
	v_add_co_u32_e32 v20, vcc, s12, v4
	v_addc_co_u32_e32 v21, vcc, 0, v19, vcc
	v_cmp_gt_i64_e32 vcc, s[28:29], v[20:21]
	s_and_b64 s[16:17], s[0:1], vcc
	v_mov_b32_e32 v19, 0
	s_and_saveexec_b64 s[14:15], s[16:17]
	s_cbranch_execz .LBB53_5
; %bb.4:                                ;   in Loop: Header=BB53_3 Depth=1
	global_load_dword v19, v[10:11], off
.LBB53_5:                               ;   in Loop: Header=BB53_3 Depth=1
	s_or_b64 exec, exec, s[14:15]
	s_waitcnt vmcnt(0)
	ds_write_b32 v7, v19
	v_mov_b32_e32 v19, s13
	v_add_co_u32_e32 v20, vcc, s12, v6
	v_addc_co_u32_e32 v21, vcc, 0, v19, vcc
	v_cmp_gt_i64_e32 vcc, s[28:29], v[20:21]
	s_and_b64 s[16:17], vcc, s[2:3]
	v_mov_b32_e32 v19, 0
	s_and_saveexec_b64 s[14:15], s[16:17]
	s_cbranch_execz .LBB53_2
; %bb.6:                                ;   in Loop: Header=BB53_3 Depth=1
	global_load_dword v19, v[8:9], off
	s_branch .LBB53_2
.LBB53_7:
	s_load_dwordx4 s[24:27], s[4:5], 0x78
	s_load_dword s9, s[4:5], 0x18
	s_load_dword s28, s[4:5], 0x50
	s_load_dwordx8 s[12:19], s[4:5], 0x58
	v_mov_b32_e32 v6, s11
	s_waitcnt lgkmcnt(0)
	s_mul_i32 s0, s8, s27
	s_mul_hi_u32 s1, s8, s26
	s_add_i32 s1, s1, s0
	s_mul_i32 s0, s8, s26
	s_lshl_b64 s[0:1], s[0:1], 2
	v_add_co_u32_e32 v4, vcc, s10, v5
	s_add_u32 s26, s18, s0
	v_addc_co_u32_e32 v5, vcc, 0, v6, vcc
	v_cmp_neq_f32_e64 s[2:3], s28, 0
	s_addc_u32 s27, s19, s1
	v_cmp_gt_i64_e64 s[0:1], s[22:23], v[4:5]
	s_and_b64 vcc, exec, s[2:3]
	s_cbranch_vccnz .LBB53_20
; %bb.8:
	s_and_saveexec_b64 s[10:11], s[0:1]
	s_cbranch_execz .LBB53_18
; %bb.9:
	v_mov_b32_e32 v6, s7
	v_add_co_u32_e32 v8, vcc, s6, v14
	v_addc_co_u32_e32 v9, vcc, 0, v6, vcc
	v_mul_lo_u32 v10, v5, s24
	v_mul_lo_u32 v11, v4, s25
	v_mad_u64_u32 v[6:7], s[2:3], v4, s24, 0
	v_add3_u32 v7, v7, v11, v10
	v_lshlrev_b64 v[6:7], 2, v[6:7]
	v_mov_b32_e32 v11, s27
	v_add_co_u32_e64 v10, s[2:3], s26, v6
	v_cmp_gt_i64_e32 vcc, s[20:21], v[8:9]
	v_addc_co_u32_e64 v11, s[2:3], v11, v7, s[2:3]
	v_lshlrev_b64 v[6:7], 2, v[8:9]
	s_and_saveexec_b64 s[4:5], vcc
	s_cbranch_execz .LBB53_11
; %bb.10:
	v_add_co_u32_e64 v12, s[2:3], v10, v6
	v_addc_co_u32_e64 v13, s[2:3], v11, v7, s[2:3]
	v_mul_f32_e32 v15, s9, v2
	global_store_dword v[12:13], v15, off
.LBB53_11:
	s_or_b64 exec, exec, s[4:5]
	v_add_co_u32_e64 v8, s[2:3], 16, v8
	v_addc_co_u32_e64 v9, s[2:3], 0, v9, s[2:3]
	v_cmp_gt_i64_e64 s[2:3], s[20:21], v[8:9]
	s_and_saveexec_b64 s[18:19], s[2:3]
	s_cbranch_execz .LBB53_13
; %bb.12:
	v_add_co_u32_e64 v8, s[4:5], v10, v6
	v_addc_co_u32_e64 v9, s[4:5], v11, v7, s[4:5]
	v_mul_f32_e32 v12, s9, v3
	global_store_dword v[8:9], v12, off offset:64
.LBB53_13:
	s_or_b64 exec, exec, s[18:19]
	v_add_co_u32_e64 v8, s[4:5], 16, v4
	v_addc_co_u32_e64 v9, s[4:5], 0, v5, s[4:5]
	v_cmp_gt_i64_e64 s[4:5], s[22:23], v[8:9]
	s_and_b64 exec, exec, s[4:5]
	s_cbranch_execz .LBB53_18
; %bb.14:
	s_lshl_b64 s[4:5], s[24:25], 6
	v_mov_b32_e32 v8, s5
	v_add_co_u32_e64 v9, s[4:5], s4, v10
	v_addc_co_u32_e64 v8, s[4:5], v11, v8, s[4:5]
	v_add_co_u32_e64 v6, s[4:5], v9, v6
	v_addc_co_u32_e64 v7, s[4:5], v8, v7, s[4:5]
	s_and_saveexec_b64 s[4:5], vcc
	s_cbranch_execz .LBB53_16
; %bb.15:
	v_mul_f32_e32 v8, s9, v0
	global_store_dword v[6:7], v8, off
.LBB53_16:
	s_or_b64 exec, exec, s[4:5]
	s_and_b64 exec, exec, s[2:3]
	s_cbranch_execz .LBB53_18
; %bb.17:
	v_mul_f32_e32 v8, s9, v1
	global_store_dword v[6:7], v8, off offset:64
.LBB53_18:
	s_or_b64 exec, exec, s[10:11]
	s_cbranch_execz .LBB53_21
.LBB53_19:
	s_endpgm
.LBB53_20:
.LBB53_21:
	s_and_saveexec_b64 s[2:3], s[0:1]
	s_cbranch_execz .LBB53_19
; %bb.22:
	s_mul_i32 s0, s8, s17
	s_mul_hi_u32 s1, s8, s16
	s_add_i32 s1, s1, s0
	s_mul_i32 s0, s8, s16
	s_lshl_b64 s[0:1], s[0:1], 2
	s_add_u32 s2, s12, s0
	v_mov_b32_e32 v6, s7
	v_add_co_u32_e32 v8, vcc, s6, v14
	s_addc_u32 s3, s13, s1
	v_addc_co_u32_e32 v9, vcc, 0, v6, vcc
	v_mul_lo_u32 v10, v5, s14
	v_mul_lo_u32 v11, v4, s15
	v_mad_u64_u32 v[6:7], s[0:1], v4, s14, 0
	v_add3_u32 v7, v7, v11, v10
	v_mul_lo_u32 v10, v5, s24
	v_mul_lo_u32 v11, v4, s25
	v_mad_u64_u32 v[12:13], s[0:1], v4, s24, 0
	v_lshlrev_b64 v[6:7], 2, v[6:7]
	v_add3_u32 v13, v13, v11, v10
	v_mov_b32_e32 v11, s3
	v_add_co_u32_e64 v10, s[0:1], s2, v6
	v_addc_co_u32_e64 v11, s[0:1], v11, v7, s[0:1]
	v_lshlrev_b64 v[6:7], 2, v[12:13]
	v_mov_b32_e32 v13, s27
	v_add_co_u32_e64 v12, s[0:1], s26, v6
	v_cmp_gt_i64_e32 vcc, s[20:21], v[8:9]
	v_addc_co_u32_e64 v13, s[0:1], v13, v7, s[0:1]
	v_lshlrev_b64 v[6:7], 2, v[8:9]
	s_and_saveexec_b64 s[2:3], vcc
	s_cbranch_execz .LBB53_24
; %bb.23:
	v_add_co_u32_e64 v14, s[0:1], v10, v6
	v_addc_co_u32_e64 v15, s[0:1], v11, v7, s[0:1]
	global_load_dword v14, v[14:15], off
	s_waitcnt vmcnt(0)
	v_mul_f32_e32 v16, s28, v14
	v_add_co_u32_e64 v14, s[0:1], v12, v6
	v_fmac_f32_e32 v16, s9, v2
	v_addc_co_u32_e64 v15, s[0:1], v13, v7, s[0:1]
	global_store_dword v[14:15], v16, off
.LBB53_24:
	s_or_b64 exec, exec, s[2:3]
	v_add_co_u32_e64 v8, s[0:1], 16, v8
	v_addc_co_u32_e64 v9, s[0:1], 0, v9, s[0:1]
	v_cmp_gt_i64_e64 s[0:1], s[20:21], v[8:9]
	s_and_saveexec_b64 s[4:5], s[0:1]
	s_cbranch_execz .LBB53_26
; %bb.25:
	v_add_co_u32_e64 v8, s[2:3], v10, v6
	v_addc_co_u32_e64 v9, s[2:3], v11, v7, s[2:3]
	global_load_dword v2, v[8:9], off offset:64
	s_waitcnt vmcnt(0)
	v_mul_f32_e32 v8, s28, v2
	v_add_co_u32_e64 v2, s[2:3], v12, v6
	v_fmac_f32_e32 v8, s9, v3
	v_addc_co_u32_e64 v3, s[2:3], v13, v7, s[2:3]
	global_store_dword v[2:3], v8, off offset:64
.LBB53_26:
	s_or_b64 exec, exec, s[4:5]
	v_add_co_u32_e64 v2, s[2:3], 16, v4
	v_addc_co_u32_e64 v3, s[2:3], 0, v5, s[2:3]
	v_cmp_gt_i64_e64 s[2:3], s[22:23], v[2:3]
	s_and_b64 exec, exec, s[2:3]
	s_cbranch_execz .LBB53_19
; %bb.27:
	s_lshl_b64 s[2:3], s[14:15], 6
	v_mov_b32_e32 v2, s3
	v_add_co_u32_e64 v3, s[2:3], s2, v10
	v_addc_co_u32_e64 v4, s[2:3], v11, v2, s[2:3]
	s_lshl_b64 s[2:3], s[24:25], 6
	v_mov_b32_e32 v2, s3
	v_add_co_u32_e64 v5, s[2:3], s2, v12
	v_addc_co_u32_e64 v8, s[2:3], v13, v2, s[2:3]
	v_add_co_u32_e64 v2, s[2:3], v3, v6
	v_addc_co_u32_e64 v3, s[2:3], v4, v7, s[2:3]
	v_add_co_u32_e64 v4, s[2:3], v5, v6
	v_addc_co_u32_e64 v5, s[2:3], v8, v7, s[2:3]
	s_and_saveexec_b64 s[2:3], vcc
	s_cbranch_execz .LBB53_29
; %bb.28:
	global_load_dword v6, v[2:3], off
	s_waitcnt vmcnt(0)
	v_mul_f32_e32 v6, s28, v6
	v_fmac_f32_e32 v6, s9, v0
	global_store_dword v[4:5], v6, off
.LBB53_29:
	s_or_b64 exec, exec, s[2:3]
	s_and_b64 exec, exec, s[0:1]
	s_cbranch_execz .LBB53_19
; %bb.30:
	global_load_dword v0, v[2:3], off offset:64
	s_waitcnt vmcnt(0)
	v_mul_f32_e32 v0, s28, v0
	v_fmac_f32_e32 v0, s9, v1
	global_store_dword v[4:5], v0, off offset:64
	s_endpgm
	.section	.rodata,"a",@progbits
	.p2align	6, 0x0
	.amdhsa_kernel _ZN12_GLOBAL__N_135rocblas_gemm_batched_general_kernelIfLi16ELi16ELi32ELi32ELi8ELi32ELi8ELi8ELi32ELc67ELc67EKfS1_fEEvlllT_PT11_llS4_llS2_PT12_llPT13_lli
		.amdhsa_group_segment_fixed_size 2048
		.amdhsa_private_segment_fixed_size 0
		.amdhsa_kernarg_size 140
		.amdhsa_user_sgpr_count 6
		.amdhsa_user_sgpr_private_segment_buffer 1
		.amdhsa_user_sgpr_dispatch_ptr 0
		.amdhsa_user_sgpr_queue_ptr 0
		.amdhsa_user_sgpr_kernarg_segment_ptr 1
		.amdhsa_user_sgpr_dispatch_id 0
		.amdhsa_user_sgpr_flat_scratch_init 0
		.amdhsa_user_sgpr_kernarg_preload_length 0
		.amdhsa_user_sgpr_kernarg_preload_offset 0
		.amdhsa_user_sgpr_private_segment_size 0
		.amdhsa_uses_dynamic_stack 0
		.amdhsa_system_sgpr_private_segment_wavefront_offset 0
		.amdhsa_system_sgpr_workgroup_id_x 1
		.amdhsa_system_sgpr_workgroup_id_y 1
		.amdhsa_system_sgpr_workgroup_id_z 1
		.amdhsa_system_sgpr_workgroup_info 0
		.amdhsa_system_vgpr_workitem_id 1
		.amdhsa_next_free_vgpr 52
		.amdhsa_next_free_sgpr 36
		.amdhsa_accum_offset 52
		.amdhsa_reserve_vcc 1
		.amdhsa_reserve_flat_scratch 0
		.amdhsa_float_round_mode_32 0
		.amdhsa_float_round_mode_16_64 0
		.amdhsa_float_denorm_mode_32 3
		.amdhsa_float_denorm_mode_16_64 3
		.amdhsa_dx10_clamp 1
		.amdhsa_ieee_mode 1
		.amdhsa_fp16_overflow 0
		.amdhsa_tg_split 0
		.amdhsa_exception_fp_ieee_invalid_op 0
		.amdhsa_exception_fp_denorm_src 0
		.amdhsa_exception_fp_ieee_div_zero 0
		.amdhsa_exception_fp_ieee_overflow 0
		.amdhsa_exception_fp_ieee_underflow 0
		.amdhsa_exception_fp_ieee_inexact 0
		.amdhsa_exception_int_div_zero 0
	.end_amdhsa_kernel
	.section	.text._ZN12_GLOBAL__N_135rocblas_gemm_batched_general_kernelIfLi16ELi16ELi32ELi32ELi8ELi32ELi8ELi8ELi32ELc67ELc67EKfS1_fEEvlllT_PT11_llS4_llS2_PT12_llPT13_lli,"axG",@progbits,_ZN12_GLOBAL__N_135rocblas_gemm_batched_general_kernelIfLi16ELi16ELi32ELi32ELi8ELi32ELi8ELi8ELi32ELc67ELc67EKfS1_fEEvlllT_PT11_llS4_llS2_PT12_llPT13_lli,comdat
.Lfunc_end53:
	.size	_ZN12_GLOBAL__N_135rocblas_gemm_batched_general_kernelIfLi16ELi16ELi32ELi32ELi8ELi32ELi8ELi8ELi32ELc67ELc67EKfS1_fEEvlllT_PT11_llS4_llS2_PT12_llPT13_lli, .Lfunc_end53-_ZN12_GLOBAL__N_135rocblas_gemm_batched_general_kernelIfLi16ELi16ELi32ELi32ELi8ELi32ELi8ELi8ELi32ELc67ELc67EKfS1_fEEvlllT_PT11_llS4_llS2_PT12_llPT13_lli
                                        ; -- End function
	.section	.AMDGPU.csdata,"",@progbits
; Kernel info:
; codeLenInByte = 1864
; NumSgprs: 40
; NumVgprs: 52
; NumAgprs: 0
; TotalNumVgprs: 52
; ScratchSize: 0
; MemoryBound: 0
; FloatMode: 240
; IeeeMode: 1
; LDSByteSize: 2048 bytes/workgroup (compile time only)
; SGPRBlocks: 4
; VGPRBlocks: 6
; NumSGPRsForWavesPerEU: 40
; NumVGPRsForWavesPerEU: 52
; AccumOffset: 52
; Occupancy: 8
; WaveLimiterHint : 0
; COMPUTE_PGM_RSRC2:SCRATCH_EN: 0
; COMPUTE_PGM_RSRC2:USER_SGPR: 6
; COMPUTE_PGM_RSRC2:TRAP_HANDLER: 0
; COMPUTE_PGM_RSRC2:TGID_X_EN: 1
; COMPUTE_PGM_RSRC2:TGID_Y_EN: 1
; COMPUTE_PGM_RSRC2:TGID_Z_EN: 1
; COMPUTE_PGM_RSRC2:TIDIG_COMP_CNT: 1
; COMPUTE_PGM_RSRC3_GFX90A:ACCUM_OFFSET: 12
; COMPUTE_PGM_RSRC3_GFX90A:TG_SPLIT: 0
	.section	.text._ZN12_GLOBAL__N_135rocblas_gemm_batched_general_kernelIfLi16ELi16ELi32ELi32ELi8ELi32ELi8ELi8ELi32ELc67ELc78EKfS1_fEEvlllT_PT11_llS4_llS2_PT12_llPT13_lli,"axG",@progbits,_ZN12_GLOBAL__N_135rocblas_gemm_batched_general_kernelIfLi16ELi16ELi32ELi32ELi8ELi32ELi8ELi8ELi32ELc67ELc78EKfS1_fEEvlllT_PT11_llS4_llS2_PT12_llPT13_lli,comdat
	.globl	_ZN12_GLOBAL__N_135rocblas_gemm_batched_general_kernelIfLi16ELi16ELi32ELi32ELi8ELi32ELi8ELi8ELi32ELc67ELc78EKfS1_fEEvlllT_PT11_llS4_llS2_PT12_llPT13_lli ; -- Begin function _ZN12_GLOBAL__N_135rocblas_gemm_batched_general_kernelIfLi16ELi16ELi32ELi32ELi8ELi32ELi8ELi8ELi32ELc67ELc78EKfS1_fEEvlllT_PT11_llS4_llS2_PT12_llPT13_lli
	.p2align	8
	.type	_ZN12_GLOBAL__N_135rocblas_gemm_batched_general_kernelIfLi16ELi16ELi32ELi32ELi8ELi32ELi8ELi8ELi32ELc67ELc78EKfS1_fEEvlllT_PT11_llS4_llS2_PT12_llPT13_lli,@function
_ZN12_GLOBAL__N_135rocblas_gemm_batched_general_kernelIfLi16ELi16ELi32ELi32ELi8ELi32ELi8ELi8ELi32ELc67ELc78EKfS1_fEEvlllT_PT11_llS4_llS2_PT12_llPT13_lli: ; @_ZN12_GLOBAL__N_135rocblas_gemm_batched_general_kernelIfLi16ELi16ELi32ELi32ELi8ELi32ELi8ELi8ELi32ELc67ELc78EKfS1_fEEvlllT_PT11_llS4_llS2_PT12_llPT13_lli
; %bb.0:
	s_load_dwordx4 s[20:23], s[4:5], 0x0
	s_load_dwordx2 s[24:25], s[4:5], 0x10
	s_mov_b32 s0, s7
	s_ashr_i32 s1, s0, 31
	s_ashr_i32 s7, s6, 31
	s_lshl_b64 s[10:11], s[0:1], 5
	s_waitcnt lgkmcnt(0)
	v_cmp_lt_i64_e64 s[0:1], s[24:25], 1
	v_mov_b32_e32 v3, 0
	v_and_b32_e32 v14, 0x3ff, v0
	v_bfe_u32 v5, v0, 10, 10
	s_lshl_b64 s[6:7], s[6:7], 5
	s_and_b64 vcc, exec, s[0:1]
	v_mov_b32_e32 v2, v3
	v_mov_b32_e32 v1, v3
	;; [unrolled: 1-line block ×3, first 2 shown]
	s_cbranch_vccnz .LBB54_7
; %bb.1:
	v_lshl_add_u32 v1, v5, 4, v14
	s_load_dwordx8 s[12:19], s[4:5], 0x20
	s_load_dwordx4 s[28:31], s[4:5], 0x40
	v_lshrrev_b32_e32 v4, 5, v1
	v_lshrrev_b32_e32 v10, 3, v1
	v_and_b32_e32 v1, 31, v1
	v_and_b32_e32 v6, 7, v14
	v_mov_b32_e32 v9, s7
	v_or_b32_e32 v8, s6, v1
	v_cmp_gt_i64_e64 s[0:1], s[20:21], v[8:9]
	v_lshlrev_b32_e32 v8, 2, v6
	v_mov_b32_e32 v3, s11
	v_add_co_u32_e32 v2, vcc, s10, v10
	v_lshl_or_b32 v9, v10, 5, v8
	v_addc_co_u32_e32 v3, vcc, 0, v3, vcc
	v_add_u32_e32 v15, 0x400, v9
	v_mov_b32_e32 v9, 0x400
	v_cmp_gt_i64_e64 s[2:3], s[22:23], v[2:3]
	v_lshl_add_u32 v17, v5, 5, v9
	s_waitcnt lgkmcnt(0)
	v_mul_lo_u32 v9, s29, v2
	v_mul_lo_u32 v10, s28, v3
	v_mad_u64_u32 v[2:3], s[26:27], s28, v2, 0
	s_mul_i32 s9, s31, s8
	s_mul_hi_u32 s26, s30, s8
	v_add3_u32 v3, v3, v10, v9
	s_add_i32 s27, s26, s9
	s_mul_i32 s26, s30, s8
	v_lshlrev_b64 v[2:3], 2, v[2:3]
	s_lshl_b64 s[26:27], s[26:27], 2
	v_mov_b32_e32 v9, s27
	v_add_co_u32_e32 v2, vcc, s26, v2
	v_addc_co_u32_e32 v3, vcc, v3, v9, vcc
	v_add_co_u32_e32 v2, vcc, v2, v8
	v_addc_co_u32_e32 v3, vcc, 0, v3, vcc
	v_mov_b32_e32 v9, s19
	v_add_co_u32_e32 v8, vcc, s18, v2
	v_addc_co_u32_e32 v9, vcc, v9, v3, vcc
	v_lshlrev_b32_e32 v7, 2, v1
	v_mov_b32_e32 v2, s7
	v_add_co_u32_e32 v1, vcc, s6, v1
	v_addc_co_u32_e32 v2, vcc, 0, v2, vcc
	v_mul_lo_u32 v10, s15, v1
	v_mul_lo_u32 v11, s14, v2
	v_mad_u64_u32 v[2:3], s[14:15], s14, v1, 0
	s_mul_i32 s9, s17, s8
	s_mul_hi_u32 s14, s16, s8
	v_add3_u32 v3, v3, v11, v10
	s_add_i32 s15, s14, s9
	s_mul_i32 s14, s16, s8
	v_lshlrev_b64 v[2:3], 2, v[2:3]
	s_lshl_b64 s[14:15], s[14:15], 2
	v_mov_b32_e32 v1, s15
	v_add_co_u32_e32 v2, vcc, s14, v2
	v_addc_co_u32_e32 v1, vcc, v3, v1, vcc
	v_lshlrev_b32_e32 v3, 2, v4
	v_add_co_u32_e32 v2, vcc, v2, v3
	v_addc_co_u32_e32 v1, vcc, 0, v1, vcc
	v_mov_b32_e32 v0, 0
	v_mov_b32_e32 v3, s13
	v_add_co_u32_e32 v10, vcc, s12, v2
	v_lshl_or_b32 v7, v4, 7, v7
	v_lshlrev_b32_e32 v16, 2, v14
	v_addc_co_u32_e32 v11, vcc, v3, v1, vcc
	s_mov_b64 s[12:13], 0
	v_pk_mov_b32 v[12:13], s[24:25], s[24:25] op_sel:[0,1]
	v_mov_b32_e32 v1, v0
	v_mov_b32_e32 v2, v0
	;; [unrolled: 1-line block ×3, first 2 shown]
	s_branch .LBB54_3
.LBB54_2:                               ;   in Loop: Header=BB54_3 Depth=1
	s_or_b64 exec, exec, s[14:15]
	s_waitcnt vmcnt(0)
	ds_write_b32 v15, v18
	s_waitcnt lgkmcnt(0)
	s_barrier
	ds_read_b128 v[18:21], v17
	ds_read_b128 v[22:25], v17 offset:16
	ds_read2_b32 v[34:35], v16 offset1:16
	ds_read2_b32 v[36:37], v16 offset0:32 offset1:48
	ds_read2_b32 v[38:39], v16 offset0:64 offset1:80
	;; [unrolled: 1-line block ×4, first 2 shown]
	ds_read_b128 v[26:29], v17 offset:512
	ds_read_b128 v[30:33], v17 offset:528
	ds_read2_b32 v[44:45], v16 offset0:160 offset1:176
	ds_read2_b32 v[46:47], v16 offset0:192 offset1:208
	;; [unrolled: 1-line block ×3, first 2 shown]
	s_waitcnt lgkmcnt(9)
	v_pk_fma_f32 v[2:3], v[34:35], v[18:19], v[2:3] op_sel_hi:[1,0,1]
	s_waitcnt lgkmcnt(8)
	v_pk_fma_f32 v[2:3], v[36:37], v[18:19], v[2:3] op_sel:[0,1,0]
	s_waitcnt lgkmcnt(7)
	v_pk_fma_f32 v[2:3], v[38:39], v[20:21], v[2:3] op_sel_hi:[1,0,1]
	v_mov_b32_e32 v18, v21
	s_waitcnt lgkmcnt(6)
	v_pk_fma_f32 v[2:3], v[40:41], v[18:19], v[2:3] op_sel_hi:[1,0,1]
	s_waitcnt lgkmcnt(5)
	v_pk_fma_f32 v[2:3], v[42:43], v[22:23], v[2:3] op_sel_hi:[1,0,1]
	s_waitcnt lgkmcnt(2)
	v_pk_fma_f32 v[2:3], v[44:45], v[22:23], v[2:3] op_sel:[0,1,0]
	v_pk_fma_f32 v[0:1], v[34:35], v[26:27], v[0:1] op_sel_hi:[1,0,1]
	s_waitcnt lgkmcnt(1)
	v_pk_fma_f32 v[2:3], v[46:47], v[24:25], v[2:3] op_sel_hi:[1,0,1]
	v_mov_b32_e32 v18, v25
	v_pk_fma_f32 v[0:1], v[36:37], v[26:27], v[0:1] op_sel:[0,1,0]
	s_waitcnt lgkmcnt(0)
	v_pk_fma_f32 v[2:3], v[48:49], v[18:19], v[2:3] op_sel_hi:[1,0,1]
	v_pk_fma_f32 v[0:1], v[38:39], v[28:29], v[0:1] op_sel_hi:[1,0,1]
	v_mov_b32_e32 v18, v29
	v_add_co_u32_e32 v8, vcc, 32, v8
	v_pk_fma_f32 v[0:1], v[40:41], v[18:19], v[0:1] op_sel_hi:[1,0,1]
	v_addc_co_u32_e32 v9, vcc, 0, v9, vcc
	v_pk_fma_f32 v[0:1], v[42:43], v[30:31], v[0:1] op_sel_hi:[1,0,1]
	s_add_u32 s12, s12, 8
	v_add_co_u32_e32 v10, vcc, 32, v10
	v_pk_fma_f32 v[0:1], v[44:45], v[30:31], v[0:1] op_sel:[0,1,0]
	s_addc_u32 s13, s13, 0
	v_addc_co_u32_e32 v11, vcc, 0, v11, vcc
	v_pk_fma_f32 v[0:1], v[46:47], v[32:33], v[0:1] op_sel_hi:[1,0,1]
	v_mov_b32_e32 v18, v33
	v_cmp_lt_i64_e32 vcc, s[12:13], v[12:13]
	v_pk_fma_f32 v[0:1], v[48:49], v[18:19], v[0:1] op_sel_hi:[1,0,1]
	s_barrier
	s_cbranch_vccz .LBB54_7
.LBB54_3:                               ; =>This Inner Loop Header: Depth=1
	v_mov_b32_e32 v19, s13
	v_add_co_u32_e32 v18, vcc, s12, v4
	v_addc_co_u32_e32 v19, vcc, 0, v19, vcc
	v_cmp_gt_i64_e32 vcc, s[24:25], v[18:19]
	s_and_b64 s[16:17], s[0:1], vcc
	v_mov_b32_e32 v18, 0
	s_and_saveexec_b64 s[14:15], s[16:17]
	s_cbranch_execz .LBB54_5
; %bb.4:                                ;   in Loop: Header=BB54_3 Depth=1
	global_load_dword v18, v[10:11], off
.LBB54_5:                               ;   in Loop: Header=BB54_3 Depth=1
	s_or_b64 exec, exec, s[14:15]
	s_waitcnt vmcnt(0)
	ds_write_b32 v7, v18
	v_mov_b32_e32 v19, s13
	v_add_co_u32_e32 v18, vcc, s12, v6
	v_addc_co_u32_e32 v19, vcc, 0, v19, vcc
	v_cmp_gt_i64_e32 vcc, s[24:25], v[18:19]
	s_and_b64 s[16:17], vcc, s[2:3]
	v_mov_b32_e32 v18, 0
	s_and_saveexec_b64 s[14:15], s[16:17]
	s_cbranch_execz .LBB54_2
; %bb.6:                                ;   in Loop: Header=BB54_3 Depth=1
	global_load_dword v18, v[8:9], off
	s_branch .LBB54_2
.LBB54_7:
	s_load_dwordx4 s[24:27], s[4:5], 0x78
	s_load_dword s9, s[4:5], 0x18
	s_load_dword s28, s[4:5], 0x50
	s_load_dwordx8 s[12:19], s[4:5], 0x58
	v_mov_b32_e32 v6, s11
	s_waitcnt lgkmcnt(0)
	s_mul_i32 s0, s8, s27
	s_mul_hi_u32 s1, s8, s26
	s_add_i32 s1, s1, s0
	s_mul_i32 s0, s8, s26
	s_lshl_b64 s[0:1], s[0:1], 2
	v_add_co_u32_e32 v4, vcc, s10, v5
	s_add_u32 s26, s18, s0
	v_addc_co_u32_e32 v5, vcc, 0, v6, vcc
	v_cmp_neq_f32_e64 s[2:3], s28, 0
	s_addc_u32 s27, s19, s1
	v_cmp_gt_i64_e64 s[0:1], s[22:23], v[4:5]
	s_and_b64 vcc, exec, s[2:3]
	s_cbranch_vccnz .LBB54_20
; %bb.8:
	s_and_saveexec_b64 s[10:11], s[0:1]
	s_cbranch_execz .LBB54_18
; %bb.9:
	v_mov_b32_e32 v6, s7
	v_add_co_u32_e32 v8, vcc, s6, v14
	v_addc_co_u32_e32 v9, vcc, 0, v6, vcc
	v_mul_lo_u32 v10, v5, s24
	v_mul_lo_u32 v11, v4, s25
	v_mad_u64_u32 v[6:7], s[2:3], v4, s24, 0
	v_add3_u32 v7, v7, v11, v10
	v_lshlrev_b64 v[6:7], 2, v[6:7]
	v_mov_b32_e32 v11, s27
	v_add_co_u32_e64 v10, s[2:3], s26, v6
	v_cmp_gt_i64_e32 vcc, s[20:21], v[8:9]
	v_addc_co_u32_e64 v11, s[2:3], v11, v7, s[2:3]
	v_lshlrev_b64 v[6:7], 2, v[8:9]
	s_and_saveexec_b64 s[4:5], vcc
	s_cbranch_execz .LBB54_11
; %bb.10:
	v_add_co_u32_e64 v12, s[2:3], v10, v6
	v_addc_co_u32_e64 v13, s[2:3], v11, v7, s[2:3]
	v_mul_f32_e32 v15, s9, v2
	global_store_dword v[12:13], v15, off
.LBB54_11:
	s_or_b64 exec, exec, s[4:5]
	v_add_co_u32_e64 v8, s[2:3], 16, v8
	v_addc_co_u32_e64 v9, s[2:3], 0, v9, s[2:3]
	v_cmp_gt_i64_e64 s[2:3], s[20:21], v[8:9]
	s_and_saveexec_b64 s[18:19], s[2:3]
	s_cbranch_execz .LBB54_13
; %bb.12:
	v_add_co_u32_e64 v8, s[4:5], v10, v6
	v_addc_co_u32_e64 v9, s[4:5], v11, v7, s[4:5]
	v_mul_f32_e32 v12, s9, v3
	global_store_dword v[8:9], v12, off offset:64
.LBB54_13:
	s_or_b64 exec, exec, s[18:19]
	v_add_co_u32_e64 v8, s[4:5], 16, v4
	v_addc_co_u32_e64 v9, s[4:5], 0, v5, s[4:5]
	v_cmp_gt_i64_e64 s[4:5], s[22:23], v[8:9]
	s_and_b64 exec, exec, s[4:5]
	s_cbranch_execz .LBB54_18
; %bb.14:
	s_lshl_b64 s[4:5], s[24:25], 6
	v_mov_b32_e32 v8, s5
	v_add_co_u32_e64 v9, s[4:5], s4, v10
	v_addc_co_u32_e64 v8, s[4:5], v11, v8, s[4:5]
	v_add_co_u32_e64 v6, s[4:5], v9, v6
	v_addc_co_u32_e64 v7, s[4:5], v8, v7, s[4:5]
	s_and_saveexec_b64 s[4:5], vcc
	s_cbranch_execz .LBB54_16
; %bb.15:
	v_mul_f32_e32 v8, s9, v0
	global_store_dword v[6:7], v8, off
.LBB54_16:
	s_or_b64 exec, exec, s[4:5]
	s_and_b64 exec, exec, s[2:3]
	s_cbranch_execz .LBB54_18
; %bb.17:
	v_mul_f32_e32 v8, s9, v1
	global_store_dword v[6:7], v8, off offset:64
.LBB54_18:
	s_or_b64 exec, exec, s[10:11]
	s_cbranch_execz .LBB54_21
.LBB54_19:
	s_endpgm
.LBB54_20:
.LBB54_21:
	s_and_saveexec_b64 s[2:3], s[0:1]
	s_cbranch_execz .LBB54_19
; %bb.22:
	s_mul_i32 s0, s8, s17
	s_mul_hi_u32 s1, s8, s16
	s_add_i32 s1, s1, s0
	s_mul_i32 s0, s8, s16
	s_lshl_b64 s[0:1], s[0:1], 2
	s_add_u32 s2, s12, s0
	v_mov_b32_e32 v6, s7
	v_add_co_u32_e32 v8, vcc, s6, v14
	s_addc_u32 s3, s13, s1
	v_addc_co_u32_e32 v9, vcc, 0, v6, vcc
	v_mul_lo_u32 v10, v5, s14
	v_mul_lo_u32 v11, v4, s15
	v_mad_u64_u32 v[6:7], s[0:1], v4, s14, 0
	v_add3_u32 v7, v7, v11, v10
	v_mul_lo_u32 v10, v5, s24
	v_mul_lo_u32 v11, v4, s25
	v_mad_u64_u32 v[12:13], s[0:1], v4, s24, 0
	v_lshlrev_b64 v[6:7], 2, v[6:7]
	v_add3_u32 v13, v13, v11, v10
	v_mov_b32_e32 v11, s3
	v_add_co_u32_e64 v10, s[0:1], s2, v6
	v_addc_co_u32_e64 v11, s[0:1], v11, v7, s[0:1]
	v_lshlrev_b64 v[6:7], 2, v[12:13]
	v_mov_b32_e32 v13, s27
	v_add_co_u32_e64 v12, s[0:1], s26, v6
	v_cmp_gt_i64_e32 vcc, s[20:21], v[8:9]
	v_addc_co_u32_e64 v13, s[0:1], v13, v7, s[0:1]
	v_lshlrev_b64 v[6:7], 2, v[8:9]
	s_and_saveexec_b64 s[2:3], vcc
	s_cbranch_execz .LBB54_24
; %bb.23:
	v_add_co_u32_e64 v14, s[0:1], v10, v6
	v_addc_co_u32_e64 v15, s[0:1], v11, v7, s[0:1]
	global_load_dword v14, v[14:15], off
	s_waitcnt vmcnt(0)
	v_mul_f32_e32 v16, s28, v14
	v_add_co_u32_e64 v14, s[0:1], v12, v6
	v_fmac_f32_e32 v16, s9, v2
	v_addc_co_u32_e64 v15, s[0:1], v13, v7, s[0:1]
	global_store_dword v[14:15], v16, off
.LBB54_24:
	s_or_b64 exec, exec, s[2:3]
	v_add_co_u32_e64 v8, s[0:1], 16, v8
	v_addc_co_u32_e64 v9, s[0:1], 0, v9, s[0:1]
	v_cmp_gt_i64_e64 s[0:1], s[20:21], v[8:9]
	s_and_saveexec_b64 s[4:5], s[0:1]
	s_cbranch_execz .LBB54_26
; %bb.25:
	v_add_co_u32_e64 v8, s[2:3], v10, v6
	v_addc_co_u32_e64 v9, s[2:3], v11, v7, s[2:3]
	global_load_dword v2, v[8:9], off offset:64
	s_waitcnt vmcnt(0)
	v_mul_f32_e32 v8, s28, v2
	v_add_co_u32_e64 v2, s[2:3], v12, v6
	v_fmac_f32_e32 v8, s9, v3
	v_addc_co_u32_e64 v3, s[2:3], v13, v7, s[2:3]
	global_store_dword v[2:3], v8, off offset:64
.LBB54_26:
	s_or_b64 exec, exec, s[4:5]
	v_add_co_u32_e64 v2, s[2:3], 16, v4
	v_addc_co_u32_e64 v3, s[2:3], 0, v5, s[2:3]
	v_cmp_gt_i64_e64 s[2:3], s[22:23], v[2:3]
	s_and_b64 exec, exec, s[2:3]
	s_cbranch_execz .LBB54_19
; %bb.27:
	s_lshl_b64 s[2:3], s[14:15], 6
	v_mov_b32_e32 v2, s3
	v_add_co_u32_e64 v3, s[2:3], s2, v10
	v_addc_co_u32_e64 v4, s[2:3], v11, v2, s[2:3]
	s_lshl_b64 s[2:3], s[24:25], 6
	v_mov_b32_e32 v2, s3
	v_add_co_u32_e64 v5, s[2:3], s2, v12
	v_addc_co_u32_e64 v8, s[2:3], v13, v2, s[2:3]
	v_add_co_u32_e64 v2, s[2:3], v3, v6
	v_addc_co_u32_e64 v3, s[2:3], v4, v7, s[2:3]
	;; [unrolled: 2-line block ×3, first 2 shown]
	s_and_saveexec_b64 s[2:3], vcc
	s_cbranch_execz .LBB54_29
; %bb.28:
	global_load_dword v6, v[2:3], off
	s_waitcnt vmcnt(0)
	v_mul_f32_e32 v6, s28, v6
	v_fmac_f32_e32 v6, s9, v0
	global_store_dword v[4:5], v6, off
.LBB54_29:
	s_or_b64 exec, exec, s[2:3]
	s_and_b64 exec, exec, s[0:1]
	s_cbranch_execz .LBB54_19
; %bb.30:
	global_load_dword v0, v[2:3], off offset:64
	s_waitcnt vmcnt(0)
	v_mul_f32_e32 v0, s28, v0
	v_fmac_f32_e32 v0, s9, v1
	global_store_dword v[4:5], v0, off offset:64
	s_endpgm
	.section	.rodata,"a",@progbits
	.p2align	6, 0x0
	.amdhsa_kernel _ZN12_GLOBAL__N_135rocblas_gemm_batched_general_kernelIfLi16ELi16ELi32ELi32ELi8ELi32ELi8ELi8ELi32ELc67ELc78EKfS1_fEEvlllT_PT11_llS4_llS2_PT12_llPT13_lli
		.amdhsa_group_segment_fixed_size 2048
		.amdhsa_private_segment_fixed_size 0
		.amdhsa_kernarg_size 140
		.amdhsa_user_sgpr_count 6
		.amdhsa_user_sgpr_private_segment_buffer 1
		.amdhsa_user_sgpr_dispatch_ptr 0
		.amdhsa_user_sgpr_queue_ptr 0
		.amdhsa_user_sgpr_kernarg_segment_ptr 1
		.amdhsa_user_sgpr_dispatch_id 0
		.amdhsa_user_sgpr_flat_scratch_init 0
		.amdhsa_user_sgpr_kernarg_preload_length 0
		.amdhsa_user_sgpr_kernarg_preload_offset 0
		.amdhsa_user_sgpr_private_segment_size 0
		.amdhsa_uses_dynamic_stack 0
		.amdhsa_system_sgpr_private_segment_wavefront_offset 0
		.amdhsa_system_sgpr_workgroup_id_x 1
		.amdhsa_system_sgpr_workgroup_id_y 1
		.amdhsa_system_sgpr_workgroup_id_z 1
		.amdhsa_system_sgpr_workgroup_info 0
		.amdhsa_system_vgpr_workitem_id 1
		.amdhsa_next_free_vgpr 50
		.amdhsa_next_free_sgpr 32
		.amdhsa_accum_offset 52
		.amdhsa_reserve_vcc 1
		.amdhsa_reserve_flat_scratch 0
		.amdhsa_float_round_mode_32 0
		.amdhsa_float_round_mode_16_64 0
		.amdhsa_float_denorm_mode_32 3
		.amdhsa_float_denorm_mode_16_64 3
		.amdhsa_dx10_clamp 1
		.amdhsa_ieee_mode 1
		.amdhsa_fp16_overflow 0
		.amdhsa_tg_split 0
		.amdhsa_exception_fp_ieee_invalid_op 0
		.amdhsa_exception_fp_denorm_src 0
		.amdhsa_exception_fp_ieee_div_zero 0
		.amdhsa_exception_fp_ieee_overflow 0
		.amdhsa_exception_fp_ieee_underflow 0
		.amdhsa_exception_fp_ieee_inexact 0
		.amdhsa_exception_int_div_zero 0
	.end_amdhsa_kernel
	.section	.text._ZN12_GLOBAL__N_135rocblas_gemm_batched_general_kernelIfLi16ELi16ELi32ELi32ELi8ELi32ELi8ELi8ELi32ELc67ELc78EKfS1_fEEvlllT_PT11_llS4_llS2_PT12_llPT13_lli,"axG",@progbits,_ZN12_GLOBAL__N_135rocblas_gemm_batched_general_kernelIfLi16ELi16ELi32ELi32ELi8ELi32ELi8ELi8ELi32ELc67ELc78EKfS1_fEEvlllT_PT11_llS4_llS2_PT12_llPT13_lli,comdat
.Lfunc_end54:
	.size	_ZN12_GLOBAL__N_135rocblas_gemm_batched_general_kernelIfLi16ELi16ELi32ELi32ELi8ELi32ELi8ELi8ELi32ELc67ELc78EKfS1_fEEvlllT_PT11_llS4_llS2_PT12_llPT13_lli, .Lfunc_end54-_ZN12_GLOBAL__N_135rocblas_gemm_batched_general_kernelIfLi16ELi16ELi32ELi32ELi8ELi32ELi8ELi8ELi32ELc67ELc78EKfS1_fEEvlllT_PT11_llS4_llS2_PT12_llPT13_lli
                                        ; -- End function
	.section	.AMDGPU.csdata,"",@progbits
; Kernel info:
; codeLenInByte = 1848
; NumSgprs: 36
; NumVgprs: 50
; NumAgprs: 0
; TotalNumVgprs: 50
; ScratchSize: 0
; MemoryBound: 0
; FloatMode: 240
; IeeeMode: 1
; LDSByteSize: 2048 bytes/workgroup (compile time only)
; SGPRBlocks: 4
; VGPRBlocks: 6
; NumSGPRsForWavesPerEU: 36
; NumVGPRsForWavesPerEU: 50
; AccumOffset: 52
; Occupancy: 8
; WaveLimiterHint : 0
; COMPUTE_PGM_RSRC2:SCRATCH_EN: 0
; COMPUTE_PGM_RSRC2:USER_SGPR: 6
; COMPUTE_PGM_RSRC2:TRAP_HANDLER: 0
; COMPUTE_PGM_RSRC2:TGID_X_EN: 1
; COMPUTE_PGM_RSRC2:TGID_Y_EN: 1
; COMPUTE_PGM_RSRC2:TGID_Z_EN: 1
; COMPUTE_PGM_RSRC2:TIDIG_COMP_CNT: 1
; COMPUTE_PGM_RSRC3_GFX90A:ACCUM_OFFSET: 12
; COMPUTE_PGM_RSRC3_GFX90A:TG_SPLIT: 0
	.section	.text._ZN12_GLOBAL__N_135rocblas_gemm_batched_general_kernelIfLi16ELi16ELi32ELi32ELi8ELi32ELi8ELi8ELi32ELc67ELc84EKfS1_fEEvlllT_PT11_llS4_llS2_PT12_llPT13_lli,"axG",@progbits,_ZN12_GLOBAL__N_135rocblas_gemm_batched_general_kernelIfLi16ELi16ELi32ELi32ELi8ELi32ELi8ELi8ELi32ELc67ELc84EKfS1_fEEvlllT_PT11_llS4_llS2_PT12_llPT13_lli,comdat
	.globl	_ZN12_GLOBAL__N_135rocblas_gemm_batched_general_kernelIfLi16ELi16ELi32ELi32ELi8ELi32ELi8ELi8ELi32ELc67ELc84EKfS1_fEEvlllT_PT11_llS4_llS2_PT12_llPT13_lli ; -- Begin function _ZN12_GLOBAL__N_135rocblas_gemm_batched_general_kernelIfLi16ELi16ELi32ELi32ELi8ELi32ELi8ELi8ELi32ELc67ELc84EKfS1_fEEvlllT_PT11_llS4_llS2_PT12_llPT13_lli
	.p2align	8
	.type	_ZN12_GLOBAL__N_135rocblas_gemm_batched_general_kernelIfLi16ELi16ELi32ELi32ELi8ELi32ELi8ELi8ELi32ELc67ELc84EKfS1_fEEvlllT_PT11_llS4_llS2_PT12_llPT13_lli,@function
_ZN12_GLOBAL__N_135rocblas_gemm_batched_general_kernelIfLi16ELi16ELi32ELi32ELi8ELi32ELi8ELi8ELi32ELc67ELc84EKfS1_fEEvlllT_PT11_llS4_llS2_PT12_llPT13_lli: ; @_ZN12_GLOBAL__N_135rocblas_gemm_batched_general_kernelIfLi16ELi16ELi32ELi32ELi8ELi32ELi8ELi8ELi32ELc67ELc84EKfS1_fEEvlllT_PT11_llS4_llS2_PT12_llPT13_lli
; %bb.0:
	s_load_dwordx4 s[20:23], s[4:5], 0x0
	s_load_dwordx2 s[28:29], s[4:5], 0x10
	s_mov_b32 s30, s7
	s_ashr_i32 s7, s6, 31
	s_ashr_i32 s31, s30, 31
	v_mov_b32_e32 v3, 0
	s_waitcnt lgkmcnt(0)
	v_cmp_lt_i64_e64 s[0:1], s[28:29], 1
	v_and_b32_e32 v14, 0x3ff, v0
	v_bfe_u32 v5, v0, 10, 10
	s_lshl_b64 s[6:7], s[6:7], 5
	s_lshl_b64 s[10:11], s[30:31], 5
	s_and_b64 vcc, exec, s[0:1]
	v_mov_b32_e32 v2, v3
	v_mov_b32_e32 v1, v3
	;; [unrolled: 1-line block ×3, first 2 shown]
	s_cbranch_vccnz .LBB55_7
; %bb.1:
	v_lshl_add_u32 v1, v5, 4, v14
	v_lshrrev_b32_e32 v10, 3, v1
	s_load_dwordx8 s[12:19], s[4:5], 0x20
	s_load_dwordx4 s[24:27], s[4:5], 0x40
	v_mov_b32_e32 v3, s11
	v_add_co_u32_e32 v2, vcc, s10, v10
	v_and_b32_e32 v6, 7, v14
	v_addc_co_u32_e32 v3, vcc, 0, v3, vcc
	v_cmp_gt_i64_e64 s[2:3], s[22:23], v[2:3]
	v_lshlrev_b32_e32 v2, 2, v6
	v_lshl_or_b32 v2, v10, 5, v2
	v_lshrrev_b32_e32 v4, 5, v1
	v_and_b32_e32 v1, 31, v1
	v_add_u32_e32 v15, 0x400, v2
	v_mov_b32_e32 v2, 0x400
	v_mov_b32_e32 v9, s7
	v_or_b32_e32 v8, s6, v1
	v_lshl_add_u32 v17, v5, 5, v2
	s_waitcnt lgkmcnt(0)
	s_mul_i32 s9, s27, s8
	s_mul_hi_u32 s27, s26, s8
	v_mad_u64_u32 v[2:3], s[34:35], s24, v6, 0
	v_cmp_gt_i64_e64 s[0:1], s[20:21], v[8:9]
	s_add_i32 s27, s27, s9
	s_mul_i32 s26, s26, s8
	v_mov_b32_e32 v8, v3
	s_lshl_b64 s[26:27], s[26:27], 2
	v_mad_u64_u32 v[8:9], s[34:35], s25, v6, v[8:9]
	s_lshl_b64 s[30:31], s[30:31], 7
	v_mov_b32_e32 v3, v8
	s_add_u32 s9, s30, s26
	v_lshlrev_b64 v[2:3], 2, v[2:3]
	s_addc_u32 s26, s31, s27
	v_mov_b32_e32 v8, s26
	v_add_co_u32_e32 v2, vcc, s9, v2
	v_addc_co_u32_e32 v3, vcc, v8, v3, vcc
	v_lshlrev_b32_e32 v8, 2, v10
	v_add_co_u32_e32 v2, vcc, v2, v8
	v_addc_co_u32_e32 v3, vcc, 0, v3, vcc
	v_mov_b32_e32 v9, s19
	v_add_co_u32_e32 v8, vcc, s18, v2
	v_addc_co_u32_e32 v9, vcc, v9, v3, vcc
	v_lshlrev_b32_e32 v7, 2, v1
	v_mov_b32_e32 v2, s7
	v_add_co_u32_e32 v1, vcc, s6, v1
	v_addc_co_u32_e32 v2, vcc, 0, v2, vcc
	v_mul_lo_u32 v10, s15, v1
	v_mul_lo_u32 v11, s14, v2
	v_mad_u64_u32 v[2:3], s[14:15], s14, v1, 0
	s_mul_i32 s9, s17, s8
	s_mul_hi_u32 s14, s16, s8
	v_add3_u32 v3, v3, v11, v10
	s_add_i32 s15, s14, s9
	s_mul_i32 s14, s16, s8
	v_lshlrev_b64 v[2:3], 2, v[2:3]
	s_lshl_b64 s[14:15], s[14:15], 2
	v_mov_b32_e32 v1, s15
	v_add_co_u32_e32 v2, vcc, s14, v2
	v_addc_co_u32_e32 v1, vcc, v3, v1, vcc
	v_lshlrev_b32_e32 v3, 2, v4
	v_add_co_u32_e32 v2, vcc, v2, v3
	v_addc_co_u32_e32 v1, vcc, 0, v1, vcc
	v_mov_b32_e32 v0, 0
	s_lshl_b64 s[18:19], s[24:25], 5
	v_mov_b32_e32 v3, s13
	v_add_co_u32_e32 v10, vcc, s12, v2
	v_lshl_or_b32 v7, v4, 7, v7
	v_lshlrev_b32_e32 v16, 2, v14
	v_addc_co_u32_e32 v11, vcc, v3, v1, vcc
	s_mov_b64 s[12:13], 0
	v_mov_b32_e32 v18, s19
	v_pk_mov_b32 v[12:13], s[28:29], s[28:29] op_sel:[0,1]
	v_mov_b32_e32 v1, v0
	v_mov_b32_e32 v2, v0
	;; [unrolled: 1-line block ×3, first 2 shown]
	s_branch .LBB55_3
.LBB55_2:                               ;   in Loop: Header=BB55_3 Depth=1
	s_or_b64 exec, exec, s[14:15]
	s_waitcnt vmcnt(0)
	ds_write_b32 v15, v19
	s_waitcnt lgkmcnt(0)
	s_barrier
	ds_read_b128 v[20:23], v17
	ds_read_b128 v[24:27], v17 offset:16
	ds_read2_b32 v[36:37], v16 offset1:16
	ds_read2_b32 v[38:39], v16 offset0:32 offset1:48
	ds_read2_b32 v[40:41], v16 offset0:64 offset1:80
	;; [unrolled: 1-line block ×4, first 2 shown]
	ds_read_b128 v[28:31], v17 offset:512
	ds_read_b128 v[32:35], v17 offset:528
	ds_read2_b32 v[46:47], v16 offset0:160 offset1:176
	ds_read2_b32 v[48:49], v16 offset0:192 offset1:208
	;; [unrolled: 1-line block ×3, first 2 shown]
	s_waitcnt lgkmcnt(9)
	v_pk_fma_f32 v[2:3], v[36:37], v[20:21], v[2:3] op_sel_hi:[1,0,1]
	s_waitcnt lgkmcnt(8)
	v_pk_fma_f32 v[2:3], v[38:39], v[20:21], v[2:3] op_sel:[0,1,0]
	s_waitcnt lgkmcnt(7)
	v_pk_fma_f32 v[2:3], v[40:41], v[22:23], v[2:3] op_sel_hi:[1,0,1]
	v_mov_b32_e32 v20, v23
	s_waitcnt lgkmcnt(6)
	v_pk_fma_f32 v[2:3], v[42:43], v[20:21], v[2:3] op_sel_hi:[1,0,1]
	s_waitcnt lgkmcnt(5)
	v_pk_fma_f32 v[2:3], v[44:45], v[24:25], v[2:3] op_sel_hi:[1,0,1]
	s_waitcnt lgkmcnt(2)
	v_pk_fma_f32 v[2:3], v[46:47], v[24:25], v[2:3] op_sel:[0,1,0]
	v_pk_fma_f32 v[0:1], v[36:37], v[28:29], v[0:1] op_sel_hi:[1,0,1]
	s_waitcnt lgkmcnt(1)
	v_pk_fma_f32 v[2:3], v[48:49], v[26:27], v[2:3] op_sel_hi:[1,0,1]
	v_mov_b32_e32 v20, v27
	v_pk_fma_f32 v[0:1], v[38:39], v[28:29], v[0:1] op_sel:[0,1,0]
	s_waitcnt lgkmcnt(0)
	v_pk_fma_f32 v[2:3], v[50:51], v[20:21], v[2:3] op_sel_hi:[1,0,1]
	v_pk_fma_f32 v[0:1], v[40:41], v[30:31], v[0:1] op_sel_hi:[1,0,1]
	v_mov_b32_e32 v20, v31
	v_add_co_u32_e32 v8, vcc, s18, v8
	v_pk_fma_f32 v[0:1], v[42:43], v[20:21], v[0:1] op_sel_hi:[1,0,1]
	v_addc_co_u32_e32 v9, vcc, v9, v18, vcc
	v_pk_fma_f32 v[0:1], v[44:45], v[32:33], v[0:1] op_sel_hi:[1,0,1]
	s_add_u32 s12, s12, 8
	v_add_co_u32_e32 v10, vcc, 32, v10
	v_pk_fma_f32 v[0:1], v[46:47], v[32:33], v[0:1] op_sel:[0,1,0]
	s_addc_u32 s13, s13, 0
	v_addc_co_u32_e32 v11, vcc, 0, v11, vcc
	v_pk_fma_f32 v[0:1], v[48:49], v[34:35], v[0:1] op_sel_hi:[1,0,1]
	v_mov_b32_e32 v20, v35
	v_cmp_lt_i64_e32 vcc, s[12:13], v[12:13]
	v_pk_fma_f32 v[0:1], v[50:51], v[20:21], v[0:1] op_sel_hi:[1,0,1]
	s_barrier
	s_cbranch_vccz .LBB55_7
.LBB55_3:                               ; =>This Inner Loop Header: Depth=1
	v_mov_b32_e32 v19, s13
	v_add_co_u32_e32 v20, vcc, s12, v4
	v_addc_co_u32_e32 v21, vcc, 0, v19, vcc
	v_cmp_gt_i64_e32 vcc, s[28:29], v[20:21]
	s_and_b64 s[16:17], s[0:1], vcc
	v_mov_b32_e32 v19, 0
	s_and_saveexec_b64 s[14:15], s[16:17]
	s_cbranch_execz .LBB55_5
; %bb.4:                                ;   in Loop: Header=BB55_3 Depth=1
	global_load_dword v19, v[10:11], off
.LBB55_5:                               ;   in Loop: Header=BB55_3 Depth=1
	s_or_b64 exec, exec, s[14:15]
	s_waitcnt vmcnt(0)
	ds_write_b32 v7, v19
	v_mov_b32_e32 v19, s13
	v_add_co_u32_e32 v20, vcc, s12, v6
	v_addc_co_u32_e32 v21, vcc, 0, v19, vcc
	v_cmp_gt_i64_e32 vcc, s[28:29], v[20:21]
	s_and_b64 s[16:17], vcc, s[2:3]
	v_mov_b32_e32 v19, 0
	s_and_saveexec_b64 s[14:15], s[16:17]
	s_cbranch_execz .LBB55_2
; %bb.6:                                ;   in Loop: Header=BB55_3 Depth=1
	global_load_dword v19, v[8:9], off
	s_branch .LBB55_2
.LBB55_7:
	s_load_dwordx4 s[24:27], s[4:5], 0x78
	s_load_dword s9, s[4:5], 0x18
	s_load_dword s28, s[4:5], 0x50
	s_load_dwordx8 s[12:19], s[4:5], 0x58
	v_mov_b32_e32 v6, s11
	s_waitcnt lgkmcnt(0)
	s_mul_i32 s0, s8, s27
	s_mul_hi_u32 s1, s8, s26
	s_add_i32 s1, s1, s0
	s_mul_i32 s0, s8, s26
	s_lshl_b64 s[0:1], s[0:1], 2
	v_add_co_u32_e32 v4, vcc, s10, v5
	s_add_u32 s26, s18, s0
	v_addc_co_u32_e32 v5, vcc, 0, v6, vcc
	v_cmp_neq_f32_e64 s[2:3], s28, 0
	s_addc_u32 s27, s19, s1
	v_cmp_gt_i64_e64 s[0:1], s[22:23], v[4:5]
	s_and_b64 vcc, exec, s[2:3]
	s_cbranch_vccnz .LBB55_20
; %bb.8:
	s_and_saveexec_b64 s[10:11], s[0:1]
	s_cbranch_execz .LBB55_18
; %bb.9:
	v_mov_b32_e32 v6, s7
	v_add_co_u32_e32 v8, vcc, s6, v14
	v_addc_co_u32_e32 v9, vcc, 0, v6, vcc
	v_mul_lo_u32 v10, v5, s24
	v_mul_lo_u32 v11, v4, s25
	v_mad_u64_u32 v[6:7], s[2:3], v4, s24, 0
	v_add3_u32 v7, v7, v11, v10
	v_lshlrev_b64 v[6:7], 2, v[6:7]
	v_mov_b32_e32 v11, s27
	v_add_co_u32_e64 v10, s[2:3], s26, v6
	v_cmp_gt_i64_e32 vcc, s[20:21], v[8:9]
	v_addc_co_u32_e64 v11, s[2:3], v11, v7, s[2:3]
	v_lshlrev_b64 v[6:7], 2, v[8:9]
	s_and_saveexec_b64 s[4:5], vcc
	s_cbranch_execz .LBB55_11
; %bb.10:
	v_add_co_u32_e64 v12, s[2:3], v10, v6
	v_addc_co_u32_e64 v13, s[2:3], v11, v7, s[2:3]
	v_mul_f32_e32 v15, s9, v2
	global_store_dword v[12:13], v15, off
.LBB55_11:
	s_or_b64 exec, exec, s[4:5]
	v_add_co_u32_e64 v8, s[2:3], 16, v8
	v_addc_co_u32_e64 v9, s[2:3], 0, v9, s[2:3]
	v_cmp_gt_i64_e64 s[2:3], s[20:21], v[8:9]
	s_and_saveexec_b64 s[18:19], s[2:3]
	s_cbranch_execz .LBB55_13
; %bb.12:
	v_add_co_u32_e64 v8, s[4:5], v10, v6
	v_addc_co_u32_e64 v9, s[4:5], v11, v7, s[4:5]
	v_mul_f32_e32 v12, s9, v3
	global_store_dword v[8:9], v12, off offset:64
.LBB55_13:
	s_or_b64 exec, exec, s[18:19]
	v_add_co_u32_e64 v8, s[4:5], 16, v4
	v_addc_co_u32_e64 v9, s[4:5], 0, v5, s[4:5]
	v_cmp_gt_i64_e64 s[4:5], s[22:23], v[8:9]
	s_and_b64 exec, exec, s[4:5]
	s_cbranch_execz .LBB55_18
; %bb.14:
	s_lshl_b64 s[4:5], s[24:25], 6
	v_mov_b32_e32 v8, s5
	v_add_co_u32_e64 v9, s[4:5], s4, v10
	v_addc_co_u32_e64 v8, s[4:5], v11, v8, s[4:5]
	v_add_co_u32_e64 v6, s[4:5], v9, v6
	v_addc_co_u32_e64 v7, s[4:5], v8, v7, s[4:5]
	s_and_saveexec_b64 s[4:5], vcc
	s_cbranch_execz .LBB55_16
; %bb.15:
	v_mul_f32_e32 v8, s9, v0
	global_store_dword v[6:7], v8, off
.LBB55_16:
	s_or_b64 exec, exec, s[4:5]
	s_and_b64 exec, exec, s[2:3]
	s_cbranch_execz .LBB55_18
; %bb.17:
	v_mul_f32_e32 v8, s9, v1
	global_store_dword v[6:7], v8, off offset:64
.LBB55_18:
	s_or_b64 exec, exec, s[10:11]
	s_cbranch_execz .LBB55_21
.LBB55_19:
	s_endpgm
.LBB55_20:
.LBB55_21:
	s_and_saveexec_b64 s[2:3], s[0:1]
	s_cbranch_execz .LBB55_19
; %bb.22:
	s_mul_i32 s0, s8, s17
	s_mul_hi_u32 s1, s8, s16
	s_add_i32 s1, s1, s0
	s_mul_i32 s0, s8, s16
	s_lshl_b64 s[0:1], s[0:1], 2
	s_add_u32 s2, s12, s0
	v_mov_b32_e32 v6, s7
	v_add_co_u32_e32 v8, vcc, s6, v14
	s_addc_u32 s3, s13, s1
	v_addc_co_u32_e32 v9, vcc, 0, v6, vcc
	v_mul_lo_u32 v10, v5, s14
	v_mul_lo_u32 v11, v4, s15
	v_mad_u64_u32 v[6:7], s[0:1], v4, s14, 0
	v_add3_u32 v7, v7, v11, v10
	v_mul_lo_u32 v10, v5, s24
	v_mul_lo_u32 v11, v4, s25
	v_mad_u64_u32 v[12:13], s[0:1], v4, s24, 0
	v_lshlrev_b64 v[6:7], 2, v[6:7]
	v_add3_u32 v13, v13, v11, v10
	v_mov_b32_e32 v11, s3
	v_add_co_u32_e64 v10, s[0:1], s2, v6
	v_addc_co_u32_e64 v11, s[0:1], v11, v7, s[0:1]
	v_lshlrev_b64 v[6:7], 2, v[12:13]
	v_mov_b32_e32 v13, s27
	v_add_co_u32_e64 v12, s[0:1], s26, v6
	v_cmp_gt_i64_e32 vcc, s[20:21], v[8:9]
	v_addc_co_u32_e64 v13, s[0:1], v13, v7, s[0:1]
	v_lshlrev_b64 v[6:7], 2, v[8:9]
	s_and_saveexec_b64 s[2:3], vcc
	s_cbranch_execz .LBB55_24
; %bb.23:
	v_add_co_u32_e64 v14, s[0:1], v10, v6
	v_addc_co_u32_e64 v15, s[0:1], v11, v7, s[0:1]
	global_load_dword v14, v[14:15], off
	s_waitcnt vmcnt(0)
	v_mul_f32_e32 v16, s28, v14
	v_add_co_u32_e64 v14, s[0:1], v12, v6
	v_fmac_f32_e32 v16, s9, v2
	v_addc_co_u32_e64 v15, s[0:1], v13, v7, s[0:1]
	global_store_dword v[14:15], v16, off
.LBB55_24:
	s_or_b64 exec, exec, s[2:3]
	v_add_co_u32_e64 v8, s[0:1], 16, v8
	v_addc_co_u32_e64 v9, s[0:1], 0, v9, s[0:1]
	v_cmp_gt_i64_e64 s[0:1], s[20:21], v[8:9]
	s_and_saveexec_b64 s[4:5], s[0:1]
	s_cbranch_execz .LBB55_26
; %bb.25:
	v_add_co_u32_e64 v8, s[2:3], v10, v6
	v_addc_co_u32_e64 v9, s[2:3], v11, v7, s[2:3]
	global_load_dword v2, v[8:9], off offset:64
	s_waitcnt vmcnt(0)
	v_mul_f32_e32 v8, s28, v2
	v_add_co_u32_e64 v2, s[2:3], v12, v6
	v_fmac_f32_e32 v8, s9, v3
	v_addc_co_u32_e64 v3, s[2:3], v13, v7, s[2:3]
	global_store_dword v[2:3], v8, off offset:64
.LBB55_26:
	s_or_b64 exec, exec, s[4:5]
	v_add_co_u32_e64 v2, s[2:3], 16, v4
	v_addc_co_u32_e64 v3, s[2:3], 0, v5, s[2:3]
	v_cmp_gt_i64_e64 s[2:3], s[22:23], v[2:3]
	s_and_b64 exec, exec, s[2:3]
	s_cbranch_execz .LBB55_19
; %bb.27:
	s_lshl_b64 s[2:3], s[14:15], 6
	v_mov_b32_e32 v2, s3
	v_add_co_u32_e64 v3, s[2:3], s2, v10
	v_addc_co_u32_e64 v4, s[2:3], v11, v2, s[2:3]
	s_lshl_b64 s[2:3], s[24:25], 6
	v_mov_b32_e32 v2, s3
	v_add_co_u32_e64 v5, s[2:3], s2, v12
	v_addc_co_u32_e64 v8, s[2:3], v13, v2, s[2:3]
	v_add_co_u32_e64 v2, s[2:3], v3, v6
	v_addc_co_u32_e64 v3, s[2:3], v4, v7, s[2:3]
	v_add_co_u32_e64 v4, s[2:3], v5, v6
	v_addc_co_u32_e64 v5, s[2:3], v8, v7, s[2:3]
	s_and_saveexec_b64 s[2:3], vcc
	s_cbranch_execz .LBB55_29
; %bb.28:
	global_load_dword v6, v[2:3], off
	s_waitcnt vmcnt(0)
	v_mul_f32_e32 v6, s28, v6
	v_fmac_f32_e32 v6, s9, v0
	global_store_dword v[4:5], v6, off
.LBB55_29:
	s_or_b64 exec, exec, s[2:3]
	s_and_b64 exec, exec, s[0:1]
	s_cbranch_execz .LBB55_19
; %bb.30:
	global_load_dword v0, v[2:3], off offset:64
	s_waitcnt vmcnt(0)
	v_mul_f32_e32 v0, s28, v0
	v_fmac_f32_e32 v0, s9, v1
	global_store_dword v[4:5], v0, off offset:64
	s_endpgm
	.section	.rodata,"a",@progbits
	.p2align	6, 0x0
	.amdhsa_kernel _ZN12_GLOBAL__N_135rocblas_gemm_batched_general_kernelIfLi16ELi16ELi32ELi32ELi8ELi32ELi8ELi8ELi32ELc67ELc84EKfS1_fEEvlllT_PT11_llS4_llS2_PT12_llPT13_lli
		.amdhsa_group_segment_fixed_size 2048
		.amdhsa_private_segment_fixed_size 0
		.amdhsa_kernarg_size 140
		.amdhsa_user_sgpr_count 6
		.amdhsa_user_sgpr_private_segment_buffer 1
		.amdhsa_user_sgpr_dispatch_ptr 0
		.amdhsa_user_sgpr_queue_ptr 0
		.amdhsa_user_sgpr_kernarg_segment_ptr 1
		.amdhsa_user_sgpr_dispatch_id 0
		.amdhsa_user_sgpr_flat_scratch_init 0
		.amdhsa_user_sgpr_kernarg_preload_length 0
		.amdhsa_user_sgpr_kernarg_preload_offset 0
		.amdhsa_user_sgpr_private_segment_size 0
		.amdhsa_uses_dynamic_stack 0
		.amdhsa_system_sgpr_private_segment_wavefront_offset 0
		.amdhsa_system_sgpr_workgroup_id_x 1
		.amdhsa_system_sgpr_workgroup_id_y 1
		.amdhsa_system_sgpr_workgroup_id_z 1
		.amdhsa_system_sgpr_workgroup_info 0
		.amdhsa_system_vgpr_workitem_id 1
		.amdhsa_next_free_vgpr 52
		.amdhsa_next_free_sgpr 36
		.amdhsa_accum_offset 52
		.amdhsa_reserve_vcc 1
		.amdhsa_reserve_flat_scratch 0
		.amdhsa_float_round_mode_32 0
		.amdhsa_float_round_mode_16_64 0
		.amdhsa_float_denorm_mode_32 3
		.amdhsa_float_denorm_mode_16_64 3
		.amdhsa_dx10_clamp 1
		.amdhsa_ieee_mode 1
		.amdhsa_fp16_overflow 0
		.amdhsa_tg_split 0
		.amdhsa_exception_fp_ieee_invalid_op 0
		.amdhsa_exception_fp_denorm_src 0
		.amdhsa_exception_fp_ieee_div_zero 0
		.amdhsa_exception_fp_ieee_overflow 0
		.amdhsa_exception_fp_ieee_underflow 0
		.amdhsa_exception_fp_ieee_inexact 0
		.amdhsa_exception_int_div_zero 0
	.end_amdhsa_kernel
	.section	.text._ZN12_GLOBAL__N_135rocblas_gemm_batched_general_kernelIfLi16ELi16ELi32ELi32ELi8ELi32ELi8ELi8ELi32ELc67ELc84EKfS1_fEEvlllT_PT11_llS4_llS2_PT12_llPT13_lli,"axG",@progbits,_ZN12_GLOBAL__N_135rocblas_gemm_batched_general_kernelIfLi16ELi16ELi32ELi32ELi8ELi32ELi8ELi8ELi32ELc67ELc84EKfS1_fEEvlllT_PT11_llS4_llS2_PT12_llPT13_lli,comdat
.Lfunc_end55:
	.size	_ZN12_GLOBAL__N_135rocblas_gemm_batched_general_kernelIfLi16ELi16ELi32ELi32ELi8ELi32ELi8ELi8ELi32ELc67ELc84EKfS1_fEEvlllT_PT11_llS4_llS2_PT12_llPT13_lli, .Lfunc_end55-_ZN12_GLOBAL__N_135rocblas_gemm_batched_general_kernelIfLi16ELi16ELi32ELi32ELi8ELi32ELi8ELi8ELi32ELc67ELc84EKfS1_fEEvlllT_PT11_llS4_llS2_PT12_llPT13_lli
                                        ; -- End function
	.section	.AMDGPU.csdata,"",@progbits
; Kernel info:
; codeLenInByte = 1864
; NumSgprs: 40
; NumVgprs: 52
; NumAgprs: 0
; TotalNumVgprs: 52
; ScratchSize: 0
; MemoryBound: 0
; FloatMode: 240
; IeeeMode: 1
; LDSByteSize: 2048 bytes/workgroup (compile time only)
; SGPRBlocks: 4
; VGPRBlocks: 6
; NumSGPRsForWavesPerEU: 40
; NumVGPRsForWavesPerEU: 52
; AccumOffset: 52
; Occupancy: 8
; WaveLimiterHint : 0
; COMPUTE_PGM_RSRC2:SCRATCH_EN: 0
; COMPUTE_PGM_RSRC2:USER_SGPR: 6
; COMPUTE_PGM_RSRC2:TRAP_HANDLER: 0
; COMPUTE_PGM_RSRC2:TGID_X_EN: 1
; COMPUTE_PGM_RSRC2:TGID_Y_EN: 1
; COMPUTE_PGM_RSRC2:TGID_Z_EN: 1
; COMPUTE_PGM_RSRC2:TIDIG_COMP_CNT: 1
; COMPUTE_PGM_RSRC3_GFX90A:ACCUM_OFFSET: 12
; COMPUTE_PGM_RSRC3_GFX90A:TG_SPLIT: 0
	.section	.text._ZN12_GLOBAL__N_135rocblas_gemm_batched_general_kernelIfLi16ELi16ELi32ELi32ELi8ELi32ELi8ELi8ELi32ELc78ELc67EKfS1_fEEvlllT_PT11_llS4_llS2_PT12_llPT13_lli,"axG",@progbits,_ZN12_GLOBAL__N_135rocblas_gemm_batched_general_kernelIfLi16ELi16ELi32ELi32ELi8ELi32ELi8ELi8ELi32ELc78ELc67EKfS1_fEEvlllT_PT11_llS4_llS2_PT12_llPT13_lli,comdat
	.globl	_ZN12_GLOBAL__N_135rocblas_gemm_batched_general_kernelIfLi16ELi16ELi32ELi32ELi8ELi32ELi8ELi8ELi32ELc78ELc67EKfS1_fEEvlllT_PT11_llS4_llS2_PT12_llPT13_lli ; -- Begin function _ZN12_GLOBAL__N_135rocblas_gemm_batched_general_kernelIfLi16ELi16ELi32ELi32ELi8ELi32ELi8ELi8ELi32ELc78ELc67EKfS1_fEEvlllT_PT11_llS4_llS2_PT12_llPT13_lli
	.p2align	8
	.type	_ZN12_GLOBAL__N_135rocblas_gemm_batched_general_kernelIfLi16ELi16ELi32ELi32ELi8ELi32ELi8ELi8ELi32ELc78ELc67EKfS1_fEEvlllT_PT11_llS4_llS2_PT12_llPT13_lli,@function
_ZN12_GLOBAL__N_135rocblas_gemm_batched_general_kernelIfLi16ELi16ELi32ELi32ELi8ELi32ELi8ELi8ELi32ELc78ELc67EKfS1_fEEvlllT_PT11_llS4_llS2_PT12_llPT13_lli: ; @_ZN12_GLOBAL__N_135rocblas_gemm_batched_general_kernelIfLi16ELi16ELi32ELi32ELi8ELi32ELi8ELi8ELi32ELc78ELc67EKfS1_fEEvlllT_PT11_llS4_llS2_PT12_llPT13_lli
; %bb.0:
	s_load_dwordx4 s[20:23], s[4:5], 0x0
	s_load_dwordx2 s[30:31], s[4:5], 0x10
	s_mov_b32 s34, s7
	s_ashr_i32 s7, s6, 31
	s_ashr_i32 s35, s34, 31
	v_mov_b32_e32 v3, 0
	s_waitcnt lgkmcnt(0)
	v_cmp_lt_i64_e64 s[0:1], s[30:31], 1
	v_and_b32_e32 v14, 0x3ff, v0
	v_bfe_u32 v5, v0, 10, 10
	s_lshl_b64 s[10:11], s[6:7], 5
	s_lshl_b64 s[28:29], s[34:35], 5
	s_and_b64 vcc, exec, s[0:1]
	v_mov_b32_e32 v2, v3
	v_mov_b32_e32 v1, v3
	;; [unrolled: 1-line block ×3, first 2 shown]
	s_cbranch_vccnz .LBB56_7
; %bb.1:
	v_lshl_add_u32 v1, v5, 4, v14
	v_lshrrev_b32_e32 v10, 3, v1
	s_load_dwordx8 s[12:19], s[4:5], 0x20
	s_load_dwordx4 s[24:27], s[4:5], 0x40
	v_mov_b32_e32 v3, s29
	v_add_co_u32_e32 v2, vcc, s28, v10
	v_and_b32_e32 v6, 7, v14
	v_addc_co_u32_e32 v3, vcc, 0, v3, vcc
	v_cmp_gt_i64_e64 s[2:3], s[22:23], v[2:3]
	v_lshlrev_b32_e32 v2, 2, v6
	v_lshl_or_b32 v2, v10, 5, v2
	v_lshrrev_b32_e32 v4, 5, v1
	v_and_b32_e32 v1, 31, v1
	v_add_u32_e32 v15, 0x400, v2
	v_mov_b32_e32 v2, 0x400
	v_mov_b32_e32 v9, s11
	v_or_b32_e32 v8, s10, v1
	v_lshl_add_u32 v17, v5, 5, v2
	s_waitcnt lgkmcnt(0)
	s_mul_i32 s9, s27, s8
	s_mul_hi_u32 s27, s26, s8
	v_mad_u64_u32 v[2:3], s[36:37], s24, v6, 0
	v_cmp_gt_i64_e64 s[0:1], s[20:21], v[8:9]
	s_add_i32 s27, s27, s9
	s_mul_i32 s26, s26, s8
	v_mov_b32_e32 v8, v3
	s_lshl_b64 s[26:27], s[26:27], 2
	v_mad_u64_u32 v[8:9], s[36:37], s25, v6, v[8:9]
	s_lshl_b64 s[34:35], s[34:35], 7
	v_mov_b32_e32 v3, v8
	s_add_u32 s9, s34, s26
	v_lshlrev_b64 v[2:3], 2, v[2:3]
	s_addc_u32 s26, s35, s27
	v_mov_b32_e32 v8, s26
	v_add_co_u32_e32 v2, vcc, s9, v2
	v_addc_co_u32_e32 v3, vcc, v8, v3, vcc
	v_lshlrev_b32_e32 v8, 2, v10
	v_add_co_u32_e32 v2, vcc, v2, v8
	v_addc_co_u32_e32 v3, vcc, 0, v3, vcc
	v_mov_b32_e32 v9, s19
	v_add_co_u32_e32 v8, vcc, s18, v2
	v_addc_co_u32_e32 v9, vcc, v9, v3, vcc
	s_lshl_b64 s[18:19], s[24:25], 5
	v_mad_u64_u32 v[2:3], s[24:25], s14, v4, 0
	s_mul_i32 s9, s17, s8
	s_mul_hi_u32 s17, s16, s8
	v_mov_b32_e32 v10, v3
	s_add_i32 s17, s17, s9
	s_mul_i32 s16, s16, s8
	v_mad_u64_u32 v[10:11], s[24:25], s15, v4, v[10:11]
	s_lshl_b64 s[16:17], s[16:17], 2
	s_lshl_b64 s[6:7], s[6:7], 7
	v_mov_b32_e32 v3, v10
	s_add_u32 s6, s6, s16
	v_lshlrev_b64 v[2:3], 2, v[2:3]
	s_addc_u32 s7, s7, s17
	v_mov_b32_e32 v10, s7
	v_add_co_u32_e32 v2, vcc, s6, v2
	v_lshlrev_b32_e32 v1, 2, v1
	v_addc_co_u32_e32 v3, vcc, v10, v3, vcc
	v_lshl_or_b32 v7, v4, 7, v1
	v_add_co_u32_e32 v1, vcc, v2, v1
	v_addc_co_u32_e32 v2, vcc, 0, v3, vcc
	v_mov_b32_e32 v0, 0
	v_mov_b32_e32 v3, s13
	v_add_co_u32_e32 v10, vcc, s12, v1
	s_lshl_b64 s[6:7], s[14:15], 5
	v_lshlrev_b32_e32 v16, 2, v14
	v_addc_co_u32_e32 v11, vcc, v3, v2, vcc
	s_mov_b64 s[12:13], 0
	v_mov_b32_e32 v18, s19
	v_mov_b32_e32 v19, s7
	v_pk_mov_b32 v[12:13], s[30:31], s[30:31] op_sel:[0,1]
	v_mov_b32_e32 v1, v0
	v_mov_b32_e32 v2, v0
	;; [unrolled: 1-line block ×3, first 2 shown]
	s_branch .LBB56_3
.LBB56_2:                               ;   in Loop: Header=BB56_3 Depth=1
	s_or_b64 exec, exec, s[14:15]
	s_waitcnt vmcnt(0)
	ds_write_b32 v15, v20
	s_waitcnt lgkmcnt(0)
	s_barrier
	ds_read_b128 v[20:23], v17
	ds_read_b128 v[24:27], v17 offset:16
	ds_read2_b32 v[36:37], v16 offset1:16
	ds_read2_b32 v[38:39], v16 offset0:32 offset1:48
	ds_read2_b32 v[40:41], v16 offset0:64 offset1:80
	;; [unrolled: 1-line block ×4, first 2 shown]
	ds_read_b128 v[28:31], v17 offset:512
	ds_read_b128 v[32:35], v17 offset:528
	ds_read2_b32 v[46:47], v16 offset0:160 offset1:176
	ds_read2_b32 v[48:49], v16 offset0:192 offset1:208
	;; [unrolled: 1-line block ×3, first 2 shown]
	s_waitcnt lgkmcnt(9)
	v_pk_fma_f32 v[2:3], v[36:37], v[20:21], v[2:3] op_sel_hi:[1,0,1]
	s_waitcnt lgkmcnt(8)
	v_pk_fma_f32 v[2:3], v[38:39], v[20:21], v[2:3] op_sel:[0,1,0]
	s_waitcnt lgkmcnt(7)
	v_pk_fma_f32 v[2:3], v[40:41], v[22:23], v[2:3] op_sel_hi:[1,0,1]
	v_mov_b32_e32 v20, v23
	s_waitcnt lgkmcnt(6)
	v_pk_fma_f32 v[2:3], v[42:43], v[20:21], v[2:3] op_sel_hi:[1,0,1]
	s_waitcnt lgkmcnt(5)
	v_pk_fma_f32 v[2:3], v[44:45], v[24:25], v[2:3] op_sel_hi:[1,0,1]
	s_waitcnt lgkmcnt(2)
	v_pk_fma_f32 v[2:3], v[46:47], v[24:25], v[2:3] op_sel:[0,1,0]
	v_pk_fma_f32 v[0:1], v[36:37], v[28:29], v[0:1] op_sel_hi:[1,0,1]
	s_waitcnt lgkmcnt(1)
	v_pk_fma_f32 v[2:3], v[48:49], v[26:27], v[2:3] op_sel_hi:[1,0,1]
	v_mov_b32_e32 v20, v27
	v_pk_fma_f32 v[0:1], v[38:39], v[28:29], v[0:1] op_sel:[0,1,0]
	s_waitcnt lgkmcnt(0)
	v_pk_fma_f32 v[2:3], v[50:51], v[20:21], v[2:3] op_sel_hi:[1,0,1]
	v_pk_fma_f32 v[0:1], v[40:41], v[30:31], v[0:1] op_sel_hi:[1,0,1]
	v_mov_b32_e32 v20, v31
	v_add_co_u32_e32 v8, vcc, s18, v8
	v_pk_fma_f32 v[0:1], v[42:43], v[20:21], v[0:1] op_sel_hi:[1,0,1]
	v_addc_co_u32_e32 v9, vcc, v9, v18, vcc
	v_pk_fma_f32 v[0:1], v[44:45], v[32:33], v[0:1] op_sel_hi:[1,0,1]
	s_add_u32 s12, s12, 8
	v_add_co_u32_e32 v10, vcc, s6, v10
	v_pk_fma_f32 v[0:1], v[46:47], v[32:33], v[0:1] op_sel:[0,1,0]
	s_addc_u32 s13, s13, 0
	v_addc_co_u32_e32 v11, vcc, v11, v19, vcc
	v_pk_fma_f32 v[0:1], v[48:49], v[34:35], v[0:1] op_sel_hi:[1,0,1]
	v_mov_b32_e32 v20, v35
	v_cmp_lt_i64_e32 vcc, s[12:13], v[12:13]
	v_pk_fma_f32 v[0:1], v[50:51], v[20:21], v[0:1] op_sel_hi:[1,0,1]
	s_barrier
	s_cbranch_vccz .LBB56_7
.LBB56_3:                               ; =>This Inner Loop Header: Depth=1
	v_mov_b32_e32 v21, s13
	v_add_co_u32_e32 v20, vcc, s12, v4
	v_addc_co_u32_e32 v21, vcc, 0, v21, vcc
	v_cmp_gt_i64_e32 vcc, s[30:31], v[20:21]
	s_and_b64 s[16:17], s[0:1], vcc
	v_mov_b32_e32 v20, 0
	s_and_saveexec_b64 s[14:15], s[16:17]
	s_cbranch_execz .LBB56_5
; %bb.4:                                ;   in Loop: Header=BB56_3 Depth=1
	global_load_dword v20, v[10:11], off
.LBB56_5:                               ;   in Loop: Header=BB56_3 Depth=1
	s_or_b64 exec, exec, s[14:15]
	s_waitcnt vmcnt(0)
	ds_write_b32 v7, v20
	v_mov_b32_e32 v21, s13
	v_add_co_u32_e32 v20, vcc, s12, v6
	v_addc_co_u32_e32 v21, vcc, 0, v21, vcc
	v_cmp_gt_i64_e32 vcc, s[30:31], v[20:21]
	s_and_b64 s[16:17], vcc, s[2:3]
	v_mov_b32_e32 v20, 0
	s_and_saveexec_b64 s[14:15], s[16:17]
	s_cbranch_execz .LBB56_2
; %bb.6:                                ;   in Loop: Header=BB56_3 Depth=1
	global_load_dword v20, v[8:9], off
	s_branch .LBB56_2
.LBB56_7:
	s_load_dwordx4 s[24:27], s[4:5], 0x78
	s_load_dword s9, s[4:5], 0x18
	s_load_dword s30, s[4:5], 0x50
	s_load_dwordx8 s[12:19], s[4:5], 0x58
	v_mov_b32_e32 v6, s29
	s_waitcnt lgkmcnt(0)
	s_mul_i32 s0, s8, s27
	s_mul_hi_u32 s1, s8, s26
	s_add_i32 s1, s1, s0
	s_mul_i32 s0, s8, s26
	s_lshl_b64 s[0:1], s[0:1], 2
	v_add_co_u32_e32 v4, vcc, s28, v5
	s_add_u32 s26, s18, s0
	v_addc_co_u32_e32 v5, vcc, 0, v6, vcc
	v_cmp_neq_f32_e64 s[2:3], s30, 0
	s_addc_u32 s27, s19, s1
	v_cmp_gt_i64_e64 s[0:1], s[22:23], v[4:5]
	s_and_b64 vcc, exec, s[2:3]
	s_cbranch_vccnz .LBB56_20
; %bb.8:
	s_and_saveexec_b64 s[6:7], s[0:1]
	s_cbranch_execz .LBB56_18
; %bb.9:
	v_mov_b32_e32 v6, s11
	v_add_co_u32_e32 v8, vcc, s10, v14
	v_addc_co_u32_e32 v9, vcc, 0, v6, vcc
	v_mul_lo_u32 v10, v5, s24
	v_mul_lo_u32 v11, v4, s25
	v_mad_u64_u32 v[6:7], s[2:3], v4, s24, 0
	v_add3_u32 v7, v7, v11, v10
	v_lshlrev_b64 v[6:7], 2, v[6:7]
	v_mov_b32_e32 v11, s27
	v_add_co_u32_e64 v10, s[2:3], s26, v6
	v_cmp_gt_i64_e32 vcc, s[20:21], v[8:9]
	v_addc_co_u32_e64 v11, s[2:3], v11, v7, s[2:3]
	v_lshlrev_b64 v[6:7], 2, v[8:9]
	s_and_saveexec_b64 s[4:5], vcc
	s_cbranch_execz .LBB56_11
; %bb.10:
	v_add_co_u32_e64 v12, s[2:3], v10, v6
	v_addc_co_u32_e64 v13, s[2:3], v11, v7, s[2:3]
	v_mul_f32_e32 v15, s9, v2
	global_store_dword v[12:13], v15, off
.LBB56_11:
	s_or_b64 exec, exec, s[4:5]
	v_add_co_u32_e64 v8, s[2:3], 16, v8
	v_addc_co_u32_e64 v9, s[2:3], 0, v9, s[2:3]
	v_cmp_gt_i64_e64 s[2:3], s[20:21], v[8:9]
	s_and_saveexec_b64 s[18:19], s[2:3]
	s_cbranch_execz .LBB56_13
; %bb.12:
	v_add_co_u32_e64 v8, s[4:5], v10, v6
	v_addc_co_u32_e64 v9, s[4:5], v11, v7, s[4:5]
	v_mul_f32_e32 v12, s9, v3
	global_store_dword v[8:9], v12, off offset:64
.LBB56_13:
	s_or_b64 exec, exec, s[18:19]
	v_add_co_u32_e64 v8, s[4:5], 16, v4
	v_addc_co_u32_e64 v9, s[4:5], 0, v5, s[4:5]
	v_cmp_gt_i64_e64 s[4:5], s[22:23], v[8:9]
	s_and_b64 exec, exec, s[4:5]
	s_cbranch_execz .LBB56_18
; %bb.14:
	s_lshl_b64 s[4:5], s[24:25], 6
	v_mov_b32_e32 v8, s5
	v_add_co_u32_e64 v9, s[4:5], s4, v10
	v_addc_co_u32_e64 v8, s[4:5], v11, v8, s[4:5]
	v_add_co_u32_e64 v6, s[4:5], v9, v6
	v_addc_co_u32_e64 v7, s[4:5], v8, v7, s[4:5]
	s_and_saveexec_b64 s[4:5], vcc
	s_cbranch_execz .LBB56_16
; %bb.15:
	v_mul_f32_e32 v8, s9, v0
	global_store_dword v[6:7], v8, off
.LBB56_16:
	s_or_b64 exec, exec, s[4:5]
	s_and_b64 exec, exec, s[2:3]
	s_cbranch_execz .LBB56_18
; %bb.17:
	v_mul_f32_e32 v8, s9, v1
	global_store_dword v[6:7], v8, off offset:64
.LBB56_18:
	s_or_b64 exec, exec, s[6:7]
	s_cbranch_execz .LBB56_21
.LBB56_19:
	s_endpgm
.LBB56_20:
.LBB56_21:
	s_and_saveexec_b64 s[2:3], s[0:1]
	s_cbranch_execz .LBB56_19
; %bb.22:
	s_mul_i32 s0, s8, s17
	s_mul_hi_u32 s1, s8, s16
	s_add_i32 s1, s1, s0
	s_mul_i32 s0, s8, s16
	s_lshl_b64 s[0:1], s[0:1], 2
	s_add_u32 s2, s12, s0
	v_mov_b32_e32 v6, s11
	v_add_co_u32_e32 v8, vcc, s10, v14
	s_addc_u32 s3, s13, s1
	v_addc_co_u32_e32 v9, vcc, 0, v6, vcc
	v_mul_lo_u32 v10, v5, s14
	v_mul_lo_u32 v11, v4, s15
	v_mad_u64_u32 v[6:7], s[0:1], v4, s14, 0
	v_add3_u32 v7, v7, v11, v10
	v_mul_lo_u32 v10, v5, s24
	v_mul_lo_u32 v11, v4, s25
	v_mad_u64_u32 v[12:13], s[0:1], v4, s24, 0
	v_lshlrev_b64 v[6:7], 2, v[6:7]
	v_add3_u32 v13, v13, v11, v10
	v_mov_b32_e32 v11, s3
	v_add_co_u32_e64 v10, s[0:1], s2, v6
	v_addc_co_u32_e64 v11, s[0:1], v11, v7, s[0:1]
	v_lshlrev_b64 v[6:7], 2, v[12:13]
	v_mov_b32_e32 v13, s27
	v_add_co_u32_e64 v12, s[0:1], s26, v6
	v_cmp_gt_i64_e32 vcc, s[20:21], v[8:9]
	v_addc_co_u32_e64 v13, s[0:1], v13, v7, s[0:1]
	v_lshlrev_b64 v[6:7], 2, v[8:9]
	s_and_saveexec_b64 s[2:3], vcc
	s_cbranch_execz .LBB56_24
; %bb.23:
	v_add_co_u32_e64 v14, s[0:1], v10, v6
	v_addc_co_u32_e64 v15, s[0:1], v11, v7, s[0:1]
	global_load_dword v14, v[14:15], off
	s_waitcnt vmcnt(0)
	v_mul_f32_e32 v16, s30, v14
	v_add_co_u32_e64 v14, s[0:1], v12, v6
	v_fmac_f32_e32 v16, s9, v2
	v_addc_co_u32_e64 v15, s[0:1], v13, v7, s[0:1]
	global_store_dword v[14:15], v16, off
.LBB56_24:
	s_or_b64 exec, exec, s[2:3]
	v_add_co_u32_e64 v8, s[0:1], 16, v8
	v_addc_co_u32_e64 v9, s[0:1], 0, v9, s[0:1]
	v_cmp_gt_i64_e64 s[0:1], s[20:21], v[8:9]
	s_and_saveexec_b64 s[4:5], s[0:1]
	s_cbranch_execz .LBB56_26
; %bb.25:
	v_add_co_u32_e64 v8, s[2:3], v10, v6
	v_addc_co_u32_e64 v9, s[2:3], v11, v7, s[2:3]
	global_load_dword v2, v[8:9], off offset:64
	s_waitcnt vmcnt(0)
	v_mul_f32_e32 v8, s30, v2
	v_add_co_u32_e64 v2, s[2:3], v12, v6
	v_fmac_f32_e32 v8, s9, v3
	v_addc_co_u32_e64 v3, s[2:3], v13, v7, s[2:3]
	global_store_dword v[2:3], v8, off offset:64
.LBB56_26:
	s_or_b64 exec, exec, s[4:5]
	v_add_co_u32_e64 v2, s[2:3], 16, v4
	v_addc_co_u32_e64 v3, s[2:3], 0, v5, s[2:3]
	v_cmp_gt_i64_e64 s[2:3], s[22:23], v[2:3]
	s_and_b64 exec, exec, s[2:3]
	s_cbranch_execz .LBB56_19
; %bb.27:
	s_lshl_b64 s[2:3], s[14:15], 6
	v_mov_b32_e32 v2, s3
	v_add_co_u32_e64 v3, s[2:3], s2, v10
	v_addc_co_u32_e64 v4, s[2:3], v11, v2, s[2:3]
	s_lshl_b64 s[2:3], s[24:25], 6
	v_mov_b32_e32 v2, s3
	v_add_co_u32_e64 v5, s[2:3], s2, v12
	v_addc_co_u32_e64 v8, s[2:3], v13, v2, s[2:3]
	v_add_co_u32_e64 v2, s[2:3], v3, v6
	v_addc_co_u32_e64 v3, s[2:3], v4, v7, s[2:3]
	;; [unrolled: 2-line block ×3, first 2 shown]
	s_and_saveexec_b64 s[2:3], vcc
	s_cbranch_execz .LBB56_29
; %bb.28:
	global_load_dword v6, v[2:3], off
	s_waitcnt vmcnt(0)
	v_mul_f32_e32 v6, s30, v6
	v_fmac_f32_e32 v6, s9, v0
	global_store_dword v[4:5], v6, off
.LBB56_29:
	s_or_b64 exec, exec, s[2:3]
	s_and_b64 exec, exec, s[0:1]
	s_cbranch_execz .LBB56_19
; %bb.30:
	global_load_dword v0, v[2:3], off offset:64
	s_waitcnt vmcnt(0)
	v_mul_f32_e32 v0, s30, v0
	v_fmac_f32_e32 v0, s9, v1
	global_store_dword v[4:5], v0, off offset:64
	s_endpgm
	.section	.rodata,"a",@progbits
	.p2align	6, 0x0
	.amdhsa_kernel _ZN12_GLOBAL__N_135rocblas_gemm_batched_general_kernelIfLi16ELi16ELi32ELi32ELi8ELi32ELi8ELi8ELi32ELc78ELc67EKfS1_fEEvlllT_PT11_llS4_llS2_PT12_llPT13_lli
		.amdhsa_group_segment_fixed_size 2048
		.amdhsa_private_segment_fixed_size 0
		.amdhsa_kernarg_size 140
		.amdhsa_user_sgpr_count 6
		.amdhsa_user_sgpr_private_segment_buffer 1
		.amdhsa_user_sgpr_dispatch_ptr 0
		.amdhsa_user_sgpr_queue_ptr 0
		.amdhsa_user_sgpr_kernarg_segment_ptr 1
		.amdhsa_user_sgpr_dispatch_id 0
		.amdhsa_user_sgpr_flat_scratch_init 0
		.amdhsa_user_sgpr_kernarg_preload_length 0
		.amdhsa_user_sgpr_kernarg_preload_offset 0
		.amdhsa_user_sgpr_private_segment_size 0
		.amdhsa_uses_dynamic_stack 0
		.amdhsa_system_sgpr_private_segment_wavefront_offset 0
		.amdhsa_system_sgpr_workgroup_id_x 1
		.amdhsa_system_sgpr_workgroup_id_y 1
		.amdhsa_system_sgpr_workgroup_id_z 1
		.amdhsa_system_sgpr_workgroup_info 0
		.amdhsa_system_vgpr_workitem_id 1
		.amdhsa_next_free_vgpr 52
		.amdhsa_next_free_sgpr 38
		.amdhsa_accum_offset 52
		.amdhsa_reserve_vcc 1
		.amdhsa_reserve_flat_scratch 0
		.amdhsa_float_round_mode_32 0
		.amdhsa_float_round_mode_16_64 0
		.amdhsa_float_denorm_mode_32 3
		.amdhsa_float_denorm_mode_16_64 3
		.amdhsa_dx10_clamp 1
		.amdhsa_ieee_mode 1
		.amdhsa_fp16_overflow 0
		.amdhsa_tg_split 0
		.amdhsa_exception_fp_ieee_invalid_op 0
		.amdhsa_exception_fp_denorm_src 0
		.amdhsa_exception_fp_ieee_div_zero 0
		.amdhsa_exception_fp_ieee_overflow 0
		.amdhsa_exception_fp_ieee_underflow 0
		.amdhsa_exception_fp_ieee_inexact 0
		.amdhsa_exception_int_div_zero 0
	.end_amdhsa_kernel
	.section	.text._ZN12_GLOBAL__N_135rocblas_gemm_batched_general_kernelIfLi16ELi16ELi32ELi32ELi8ELi32ELi8ELi8ELi32ELc78ELc67EKfS1_fEEvlllT_PT11_llS4_llS2_PT12_llPT13_lli,"axG",@progbits,_ZN12_GLOBAL__N_135rocblas_gemm_batched_general_kernelIfLi16ELi16ELi32ELi32ELi8ELi32ELi8ELi8ELi32ELc78ELc67EKfS1_fEEvlllT_PT11_llS4_llS2_PT12_llPT13_lli,comdat
.Lfunc_end56:
	.size	_ZN12_GLOBAL__N_135rocblas_gemm_batched_general_kernelIfLi16ELi16ELi32ELi32ELi8ELi32ELi8ELi8ELi32ELc78ELc67EKfS1_fEEvlllT_PT11_llS4_llS2_PT12_llPT13_lli, .Lfunc_end56-_ZN12_GLOBAL__N_135rocblas_gemm_batched_general_kernelIfLi16ELi16ELi32ELi32ELi8ELi32ELi8ELi8ELi32ELc78ELc67EKfS1_fEEvlllT_PT11_llS4_llS2_PT12_llPT13_lli
                                        ; -- End function
	.section	.AMDGPU.csdata,"",@progbits
; Kernel info:
; codeLenInByte = 1860
; NumSgprs: 42
; NumVgprs: 52
; NumAgprs: 0
; TotalNumVgprs: 52
; ScratchSize: 0
; MemoryBound: 0
; FloatMode: 240
; IeeeMode: 1
; LDSByteSize: 2048 bytes/workgroup (compile time only)
; SGPRBlocks: 5
; VGPRBlocks: 6
; NumSGPRsForWavesPerEU: 42
; NumVGPRsForWavesPerEU: 52
; AccumOffset: 52
; Occupancy: 8
; WaveLimiterHint : 0
; COMPUTE_PGM_RSRC2:SCRATCH_EN: 0
; COMPUTE_PGM_RSRC2:USER_SGPR: 6
; COMPUTE_PGM_RSRC2:TRAP_HANDLER: 0
; COMPUTE_PGM_RSRC2:TGID_X_EN: 1
; COMPUTE_PGM_RSRC2:TGID_Y_EN: 1
; COMPUTE_PGM_RSRC2:TGID_Z_EN: 1
; COMPUTE_PGM_RSRC2:TIDIG_COMP_CNT: 1
; COMPUTE_PGM_RSRC3_GFX90A:ACCUM_OFFSET: 12
; COMPUTE_PGM_RSRC3_GFX90A:TG_SPLIT: 0
	.section	.text._ZN12_GLOBAL__N_135rocblas_gemm_batched_general_kernelIfLi16ELi16ELi32ELi32ELi8ELi32ELi8ELi8ELi32ELc84ELc67EKfS1_fEEvlllT_PT11_llS4_llS2_PT12_llPT13_lli,"axG",@progbits,_ZN12_GLOBAL__N_135rocblas_gemm_batched_general_kernelIfLi16ELi16ELi32ELi32ELi8ELi32ELi8ELi8ELi32ELc84ELc67EKfS1_fEEvlllT_PT11_llS4_llS2_PT12_llPT13_lli,comdat
	.globl	_ZN12_GLOBAL__N_135rocblas_gemm_batched_general_kernelIfLi16ELi16ELi32ELi32ELi8ELi32ELi8ELi8ELi32ELc84ELc67EKfS1_fEEvlllT_PT11_llS4_llS2_PT12_llPT13_lli ; -- Begin function _ZN12_GLOBAL__N_135rocblas_gemm_batched_general_kernelIfLi16ELi16ELi32ELi32ELi8ELi32ELi8ELi8ELi32ELc84ELc67EKfS1_fEEvlllT_PT11_llS4_llS2_PT12_llPT13_lli
	.p2align	8
	.type	_ZN12_GLOBAL__N_135rocblas_gemm_batched_general_kernelIfLi16ELi16ELi32ELi32ELi8ELi32ELi8ELi8ELi32ELc84ELc67EKfS1_fEEvlllT_PT11_llS4_llS2_PT12_llPT13_lli,@function
_ZN12_GLOBAL__N_135rocblas_gemm_batched_general_kernelIfLi16ELi16ELi32ELi32ELi8ELi32ELi8ELi8ELi32ELc84ELc67EKfS1_fEEvlllT_PT11_llS4_llS2_PT12_llPT13_lli: ; @_ZN12_GLOBAL__N_135rocblas_gemm_batched_general_kernelIfLi16ELi16ELi32ELi32ELi8ELi32ELi8ELi8ELi32ELc84ELc67EKfS1_fEEvlllT_PT11_llS4_llS2_PT12_llPT13_lli
; %bb.0:
	s_load_dwordx4 s[20:23], s[4:5], 0x0
	s_load_dwordx2 s[28:29], s[4:5], 0x10
	s_mov_b32 s30, s7
	s_ashr_i32 s7, s6, 31
	s_ashr_i32 s31, s30, 31
	v_mov_b32_e32 v3, 0
	s_waitcnt lgkmcnt(0)
	v_cmp_lt_i64_e64 s[0:1], s[28:29], 1
	v_and_b32_e32 v14, 0x3ff, v0
	v_bfe_u32 v5, v0, 10, 10
	s_lshl_b64 s[6:7], s[6:7], 5
	s_lshl_b64 s[10:11], s[30:31], 5
	s_and_b64 vcc, exec, s[0:1]
	v_mov_b32_e32 v2, v3
	v_mov_b32_e32 v1, v3
	;; [unrolled: 1-line block ×3, first 2 shown]
	s_cbranch_vccnz .LBB57_7
; %bb.1:
	v_lshl_add_u32 v1, v5, 4, v14
	v_lshrrev_b32_e32 v10, 3, v1
	s_load_dwordx8 s[12:19], s[4:5], 0x20
	s_load_dwordx4 s[24:27], s[4:5], 0x40
	v_mov_b32_e32 v3, s11
	v_add_co_u32_e32 v2, vcc, s10, v10
	v_and_b32_e32 v6, 7, v14
	v_addc_co_u32_e32 v3, vcc, 0, v3, vcc
	v_cmp_gt_i64_e64 s[2:3], s[22:23], v[2:3]
	v_lshlrev_b32_e32 v2, 2, v6
	v_lshl_or_b32 v2, v10, 5, v2
	v_lshrrev_b32_e32 v4, 5, v1
	v_and_b32_e32 v1, 31, v1
	v_add_u32_e32 v15, 0x400, v2
	v_mov_b32_e32 v2, 0x400
	v_mov_b32_e32 v9, s7
	v_or_b32_e32 v8, s6, v1
	v_lshl_add_u32 v17, v5, 5, v2
	s_waitcnt lgkmcnt(0)
	s_mul_i32 s9, s27, s8
	s_mul_hi_u32 s27, s26, s8
	v_mad_u64_u32 v[2:3], s[34:35], s24, v6, 0
	v_cmp_gt_i64_e64 s[0:1], s[20:21], v[8:9]
	s_add_i32 s27, s27, s9
	s_mul_i32 s26, s26, s8
	v_mov_b32_e32 v8, v3
	s_lshl_b64 s[26:27], s[26:27], 2
	v_mad_u64_u32 v[8:9], s[34:35], s25, v6, v[8:9]
	s_lshl_b64 s[30:31], s[30:31], 7
	v_mov_b32_e32 v3, v8
	s_add_u32 s9, s30, s26
	v_lshlrev_b64 v[2:3], 2, v[2:3]
	s_addc_u32 s26, s31, s27
	v_mov_b32_e32 v8, s26
	v_add_co_u32_e32 v2, vcc, s9, v2
	v_addc_co_u32_e32 v3, vcc, v8, v3, vcc
	v_lshlrev_b32_e32 v8, 2, v10
	v_add_co_u32_e32 v2, vcc, v2, v8
	v_addc_co_u32_e32 v3, vcc, 0, v3, vcc
	v_mov_b32_e32 v9, s19
	v_add_co_u32_e32 v8, vcc, s18, v2
	v_addc_co_u32_e32 v9, vcc, v9, v3, vcc
	v_lshlrev_b32_e32 v7, 2, v1
	v_mov_b32_e32 v2, s7
	v_add_co_u32_e32 v1, vcc, s6, v1
	v_addc_co_u32_e32 v2, vcc, 0, v2, vcc
	v_mul_lo_u32 v10, s15, v1
	v_mul_lo_u32 v11, s14, v2
	v_mad_u64_u32 v[2:3], s[14:15], s14, v1, 0
	s_mul_i32 s9, s17, s8
	s_mul_hi_u32 s14, s16, s8
	v_add3_u32 v3, v3, v11, v10
	s_add_i32 s15, s14, s9
	s_mul_i32 s14, s16, s8
	v_lshlrev_b64 v[2:3], 2, v[2:3]
	s_lshl_b64 s[14:15], s[14:15], 2
	v_mov_b32_e32 v1, s15
	v_add_co_u32_e32 v2, vcc, s14, v2
	v_addc_co_u32_e32 v1, vcc, v3, v1, vcc
	v_lshlrev_b32_e32 v3, 2, v4
	v_add_co_u32_e32 v2, vcc, v2, v3
	v_addc_co_u32_e32 v1, vcc, 0, v1, vcc
	v_mov_b32_e32 v0, 0
	s_lshl_b64 s[18:19], s[24:25], 5
	v_mov_b32_e32 v3, s13
	v_add_co_u32_e32 v10, vcc, s12, v2
	v_lshl_or_b32 v7, v4, 7, v7
	v_lshlrev_b32_e32 v16, 2, v14
	v_addc_co_u32_e32 v11, vcc, v3, v1, vcc
	s_mov_b64 s[12:13], 0
	v_mov_b32_e32 v18, s19
	v_pk_mov_b32 v[12:13], s[28:29], s[28:29] op_sel:[0,1]
	v_mov_b32_e32 v1, v0
	v_mov_b32_e32 v2, v0
	;; [unrolled: 1-line block ×3, first 2 shown]
	s_branch .LBB57_3
.LBB57_2:                               ;   in Loop: Header=BB57_3 Depth=1
	s_or_b64 exec, exec, s[14:15]
	s_waitcnt vmcnt(0)
	ds_write_b32 v15, v19
	s_waitcnt lgkmcnt(0)
	s_barrier
	ds_read_b128 v[20:23], v17
	ds_read_b128 v[24:27], v17 offset:16
	ds_read2_b32 v[36:37], v16 offset1:16
	ds_read2_b32 v[38:39], v16 offset0:32 offset1:48
	ds_read2_b32 v[40:41], v16 offset0:64 offset1:80
	;; [unrolled: 1-line block ×4, first 2 shown]
	ds_read_b128 v[28:31], v17 offset:512
	ds_read_b128 v[32:35], v17 offset:528
	ds_read2_b32 v[46:47], v16 offset0:160 offset1:176
	ds_read2_b32 v[48:49], v16 offset0:192 offset1:208
	;; [unrolled: 1-line block ×3, first 2 shown]
	s_waitcnt lgkmcnt(9)
	v_pk_fma_f32 v[2:3], v[36:37], v[20:21], v[2:3] op_sel_hi:[1,0,1]
	s_waitcnt lgkmcnt(8)
	v_pk_fma_f32 v[2:3], v[38:39], v[20:21], v[2:3] op_sel:[0,1,0]
	s_waitcnt lgkmcnt(7)
	v_pk_fma_f32 v[2:3], v[40:41], v[22:23], v[2:3] op_sel_hi:[1,0,1]
	v_mov_b32_e32 v20, v23
	s_waitcnt lgkmcnt(6)
	v_pk_fma_f32 v[2:3], v[42:43], v[20:21], v[2:3] op_sel_hi:[1,0,1]
	s_waitcnt lgkmcnt(5)
	v_pk_fma_f32 v[2:3], v[44:45], v[24:25], v[2:3] op_sel_hi:[1,0,1]
	s_waitcnt lgkmcnt(2)
	v_pk_fma_f32 v[2:3], v[46:47], v[24:25], v[2:3] op_sel:[0,1,0]
	v_pk_fma_f32 v[0:1], v[36:37], v[28:29], v[0:1] op_sel_hi:[1,0,1]
	s_waitcnt lgkmcnt(1)
	v_pk_fma_f32 v[2:3], v[48:49], v[26:27], v[2:3] op_sel_hi:[1,0,1]
	v_mov_b32_e32 v20, v27
	v_pk_fma_f32 v[0:1], v[38:39], v[28:29], v[0:1] op_sel:[0,1,0]
	s_waitcnt lgkmcnt(0)
	v_pk_fma_f32 v[2:3], v[50:51], v[20:21], v[2:3] op_sel_hi:[1,0,1]
	v_pk_fma_f32 v[0:1], v[40:41], v[30:31], v[0:1] op_sel_hi:[1,0,1]
	v_mov_b32_e32 v20, v31
	v_add_co_u32_e32 v8, vcc, s18, v8
	v_pk_fma_f32 v[0:1], v[42:43], v[20:21], v[0:1] op_sel_hi:[1,0,1]
	v_addc_co_u32_e32 v9, vcc, v9, v18, vcc
	v_pk_fma_f32 v[0:1], v[44:45], v[32:33], v[0:1] op_sel_hi:[1,0,1]
	s_add_u32 s12, s12, 8
	v_add_co_u32_e32 v10, vcc, 32, v10
	v_pk_fma_f32 v[0:1], v[46:47], v[32:33], v[0:1] op_sel:[0,1,0]
	s_addc_u32 s13, s13, 0
	v_addc_co_u32_e32 v11, vcc, 0, v11, vcc
	v_pk_fma_f32 v[0:1], v[48:49], v[34:35], v[0:1] op_sel_hi:[1,0,1]
	v_mov_b32_e32 v20, v35
	v_cmp_lt_i64_e32 vcc, s[12:13], v[12:13]
	v_pk_fma_f32 v[0:1], v[50:51], v[20:21], v[0:1] op_sel_hi:[1,0,1]
	s_barrier
	s_cbranch_vccz .LBB57_7
.LBB57_3:                               ; =>This Inner Loop Header: Depth=1
	v_mov_b32_e32 v19, s13
	v_add_co_u32_e32 v20, vcc, s12, v4
	v_addc_co_u32_e32 v21, vcc, 0, v19, vcc
	v_cmp_gt_i64_e32 vcc, s[28:29], v[20:21]
	s_and_b64 s[16:17], s[0:1], vcc
	v_mov_b32_e32 v19, 0
	s_and_saveexec_b64 s[14:15], s[16:17]
	s_cbranch_execz .LBB57_5
; %bb.4:                                ;   in Loop: Header=BB57_3 Depth=1
	global_load_dword v19, v[10:11], off
.LBB57_5:                               ;   in Loop: Header=BB57_3 Depth=1
	s_or_b64 exec, exec, s[14:15]
	s_waitcnt vmcnt(0)
	ds_write_b32 v7, v19
	v_mov_b32_e32 v19, s13
	v_add_co_u32_e32 v20, vcc, s12, v6
	v_addc_co_u32_e32 v21, vcc, 0, v19, vcc
	v_cmp_gt_i64_e32 vcc, s[28:29], v[20:21]
	s_and_b64 s[16:17], vcc, s[2:3]
	v_mov_b32_e32 v19, 0
	s_and_saveexec_b64 s[14:15], s[16:17]
	s_cbranch_execz .LBB57_2
; %bb.6:                                ;   in Loop: Header=BB57_3 Depth=1
	global_load_dword v19, v[8:9], off
	s_branch .LBB57_2
.LBB57_7:
	s_load_dwordx4 s[24:27], s[4:5], 0x78
	s_load_dword s9, s[4:5], 0x18
	s_load_dword s28, s[4:5], 0x50
	s_load_dwordx8 s[12:19], s[4:5], 0x58
	v_mov_b32_e32 v6, s11
	s_waitcnt lgkmcnt(0)
	s_mul_i32 s0, s8, s27
	s_mul_hi_u32 s1, s8, s26
	s_add_i32 s1, s1, s0
	s_mul_i32 s0, s8, s26
	s_lshl_b64 s[0:1], s[0:1], 2
	v_add_co_u32_e32 v4, vcc, s10, v5
	s_add_u32 s26, s18, s0
	v_addc_co_u32_e32 v5, vcc, 0, v6, vcc
	v_cmp_neq_f32_e64 s[2:3], s28, 0
	s_addc_u32 s27, s19, s1
	v_cmp_gt_i64_e64 s[0:1], s[22:23], v[4:5]
	s_and_b64 vcc, exec, s[2:3]
	s_cbranch_vccnz .LBB57_20
; %bb.8:
	s_and_saveexec_b64 s[10:11], s[0:1]
	s_cbranch_execz .LBB57_18
; %bb.9:
	v_mov_b32_e32 v6, s7
	v_add_co_u32_e32 v8, vcc, s6, v14
	v_addc_co_u32_e32 v9, vcc, 0, v6, vcc
	v_mul_lo_u32 v10, v5, s24
	v_mul_lo_u32 v11, v4, s25
	v_mad_u64_u32 v[6:7], s[2:3], v4, s24, 0
	v_add3_u32 v7, v7, v11, v10
	v_lshlrev_b64 v[6:7], 2, v[6:7]
	v_mov_b32_e32 v11, s27
	v_add_co_u32_e64 v10, s[2:3], s26, v6
	v_cmp_gt_i64_e32 vcc, s[20:21], v[8:9]
	v_addc_co_u32_e64 v11, s[2:3], v11, v7, s[2:3]
	v_lshlrev_b64 v[6:7], 2, v[8:9]
	s_and_saveexec_b64 s[4:5], vcc
	s_cbranch_execz .LBB57_11
; %bb.10:
	v_add_co_u32_e64 v12, s[2:3], v10, v6
	v_addc_co_u32_e64 v13, s[2:3], v11, v7, s[2:3]
	v_mul_f32_e32 v15, s9, v2
	global_store_dword v[12:13], v15, off
.LBB57_11:
	s_or_b64 exec, exec, s[4:5]
	v_add_co_u32_e64 v8, s[2:3], 16, v8
	v_addc_co_u32_e64 v9, s[2:3], 0, v9, s[2:3]
	v_cmp_gt_i64_e64 s[2:3], s[20:21], v[8:9]
	s_and_saveexec_b64 s[18:19], s[2:3]
	s_cbranch_execz .LBB57_13
; %bb.12:
	v_add_co_u32_e64 v8, s[4:5], v10, v6
	v_addc_co_u32_e64 v9, s[4:5], v11, v7, s[4:5]
	v_mul_f32_e32 v12, s9, v3
	global_store_dword v[8:9], v12, off offset:64
.LBB57_13:
	s_or_b64 exec, exec, s[18:19]
	v_add_co_u32_e64 v8, s[4:5], 16, v4
	v_addc_co_u32_e64 v9, s[4:5], 0, v5, s[4:5]
	v_cmp_gt_i64_e64 s[4:5], s[22:23], v[8:9]
	s_and_b64 exec, exec, s[4:5]
	s_cbranch_execz .LBB57_18
; %bb.14:
	s_lshl_b64 s[4:5], s[24:25], 6
	v_mov_b32_e32 v8, s5
	v_add_co_u32_e64 v9, s[4:5], s4, v10
	v_addc_co_u32_e64 v8, s[4:5], v11, v8, s[4:5]
	v_add_co_u32_e64 v6, s[4:5], v9, v6
	v_addc_co_u32_e64 v7, s[4:5], v8, v7, s[4:5]
	s_and_saveexec_b64 s[4:5], vcc
	s_cbranch_execz .LBB57_16
; %bb.15:
	v_mul_f32_e32 v8, s9, v0
	global_store_dword v[6:7], v8, off
.LBB57_16:
	s_or_b64 exec, exec, s[4:5]
	s_and_b64 exec, exec, s[2:3]
	s_cbranch_execz .LBB57_18
; %bb.17:
	v_mul_f32_e32 v8, s9, v1
	global_store_dword v[6:7], v8, off offset:64
.LBB57_18:
	s_or_b64 exec, exec, s[10:11]
	s_cbranch_execz .LBB57_21
.LBB57_19:
	s_endpgm
.LBB57_20:
.LBB57_21:
	s_and_saveexec_b64 s[2:3], s[0:1]
	s_cbranch_execz .LBB57_19
; %bb.22:
	s_mul_i32 s0, s8, s17
	s_mul_hi_u32 s1, s8, s16
	s_add_i32 s1, s1, s0
	s_mul_i32 s0, s8, s16
	s_lshl_b64 s[0:1], s[0:1], 2
	s_add_u32 s2, s12, s0
	v_mov_b32_e32 v6, s7
	v_add_co_u32_e32 v8, vcc, s6, v14
	s_addc_u32 s3, s13, s1
	v_addc_co_u32_e32 v9, vcc, 0, v6, vcc
	v_mul_lo_u32 v10, v5, s14
	v_mul_lo_u32 v11, v4, s15
	v_mad_u64_u32 v[6:7], s[0:1], v4, s14, 0
	v_add3_u32 v7, v7, v11, v10
	v_mul_lo_u32 v10, v5, s24
	v_mul_lo_u32 v11, v4, s25
	v_mad_u64_u32 v[12:13], s[0:1], v4, s24, 0
	v_lshlrev_b64 v[6:7], 2, v[6:7]
	v_add3_u32 v13, v13, v11, v10
	v_mov_b32_e32 v11, s3
	v_add_co_u32_e64 v10, s[0:1], s2, v6
	v_addc_co_u32_e64 v11, s[0:1], v11, v7, s[0:1]
	v_lshlrev_b64 v[6:7], 2, v[12:13]
	v_mov_b32_e32 v13, s27
	v_add_co_u32_e64 v12, s[0:1], s26, v6
	v_cmp_gt_i64_e32 vcc, s[20:21], v[8:9]
	v_addc_co_u32_e64 v13, s[0:1], v13, v7, s[0:1]
	v_lshlrev_b64 v[6:7], 2, v[8:9]
	s_and_saveexec_b64 s[2:3], vcc
	s_cbranch_execz .LBB57_24
; %bb.23:
	v_add_co_u32_e64 v14, s[0:1], v10, v6
	v_addc_co_u32_e64 v15, s[0:1], v11, v7, s[0:1]
	global_load_dword v14, v[14:15], off
	s_waitcnt vmcnt(0)
	v_mul_f32_e32 v16, s28, v14
	v_add_co_u32_e64 v14, s[0:1], v12, v6
	v_fmac_f32_e32 v16, s9, v2
	v_addc_co_u32_e64 v15, s[0:1], v13, v7, s[0:1]
	global_store_dword v[14:15], v16, off
.LBB57_24:
	s_or_b64 exec, exec, s[2:3]
	v_add_co_u32_e64 v8, s[0:1], 16, v8
	v_addc_co_u32_e64 v9, s[0:1], 0, v9, s[0:1]
	v_cmp_gt_i64_e64 s[0:1], s[20:21], v[8:9]
	s_and_saveexec_b64 s[4:5], s[0:1]
	s_cbranch_execz .LBB57_26
; %bb.25:
	v_add_co_u32_e64 v8, s[2:3], v10, v6
	v_addc_co_u32_e64 v9, s[2:3], v11, v7, s[2:3]
	global_load_dword v2, v[8:9], off offset:64
	s_waitcnt vmcnt(0)
	v_mul_f32_e32 v8, s28, v2
	v_add_co_u32_e64 v2, s[2:3], v12, v6
	v_fmac_f32_e32 v8, s9, v3
	v_addc_co_u32_e64 v3, s[2:3], v13, v7, s[2:3]
	global_store_dword v[2:3], v8, off offset:64
.LBB57_26:
	s_or_b64 exec, exec, s[4:5]
	v_add_co_u32_e64 v2, s[2:3], 16, v4
	v_addc_co_u32_e64 v3, s[2:3], 0, v5, s[2:3]
	v_cmp_gt_i64_e64 s[2:3], s[22:23], v[2:3]
	s_and_b64 exec, exec, s[2:3]
	s_cbranch_execz .LBB57_19
; %bb.27:
	s_lshl_b64 s[2:3], s[14:15], 6
	v_mov_b32_e32 v2, s3
	v_add_co_u32_e64 v3, s[2:3], s2, v10
	v_addc_co_u32_e64 v4, s[2:3], v11, v2, s[2:3]
	s_lshl_b64 s[2:3], s[24:25], 6
	v_mov_b32_e32 v2, s3
	v_add_co_u32_e64 v5, s[2:3], s2, v12
	v_addc_co_u32_e64 v8, s[2:3], v13, v2, s[2:3]
	v_add_co_u32_e64 v2, s[2:3], v3, v6
	v_addc_co_u32_e64 v3, s[2:3], v4, v7, s[2:3]
	;; [unrolled: 2-line block ×3, first 2 shown]
	s_and_saveexec_b64 s[2:3], vcc
	s_cbranch_execz .LBB57_29
; %bb.28:
	global_load_dword v6, v[2:3], off
	s_waitcnt vmcnt(0)
	v_mul_f32_e32 v6, s28, v6
	v_fmac_f32_e32 v6, s9, v0
	global_store_dword v[4:5], v6, off
.LBB57_29:
	s_or_b64 exec, exec, s[2:3]
	s_and_b64 exec, exec, s[0:1]
	s_cbranch_execz .LBB57_19
; %bb.30:
	global_load_dword v0, v[2:3], off offset:64
	s_waitcnt vmcnt(0)
	v_mul_f32_e32 v0, s28, v0
	v_fmac_f32_e32 v0, s9, v1
	global_store_dword v[4:5], v0, off offset:64
	s_endpgm
	.section	.rodata,"a",@progbits
	.p2align	6, 0x0
	.amdhsa_kernel _ZN12_GLOBAL__N_135rocblas_gemm_batched_general_kernelIfLi16ELi16ELi32ELi32ELi8ELi32ELi8ELi8ELi32ELc84ELc67EKfS1_fEEvlllT_PT11_llS4_llS2_PT12_llPT13_lli
		.amdhsa_group_segment_fixed_size 2048
		.amdhsa_private_segment_fixed_size 0
		.amdhsa_kernarg_size 140
		.amdhsa_user_sgpr_count 6
		.amdhsa_user_sgpr_private_segment_buffer 1
		.amdhsa_user_sgpr_dispatch_ptr 0
		.amdhsa_user_sgpr_queue_ptr 0
		.amdhsa_user_sgpr_kernarg_segment_ptr 1
		.amdhsa_user_sgpr_dispatch_id 0
		.amdhsa_user_sgpr_flat_scratch_init 0
		.amdhsa_user_sgpr_kernarg_preload_length 0
		.amdhsa_user_sgpr_kernarg_preload_offset 0
		.amdhsa_user_sgpr_private_segment_size 0
		.amdhsa_uses_dynamic_stack 0
		.amdhsa_system_sgpr_private_segment_wavefront_offset 0
		.amdhsa_system_sgpr_workgroup_id_x 1
		.amdhsa_system_sgpr_workgroup_id_y 1
		.amdhsa_system_sgpr_workgroup_id_z 1
		.amdhsa_system_sgpr_workgroup_info 0
		.amdhsa_system_vgpr_workitem_id 1
		.amdhsa_next_free_vgpr 52
		.amdhsa_next_free_sgpr 36
		.amdhsa_accum_offset 52
		.amdhsa_reserve_vcc 1
		.amdhsa_reserve_flat_scratch 0
		.amdhsa_float_round_mode_32 0
		.amdhsa_float_round_mode_16_64 0
		.amdhsa_float_denorm_mode_32 3
		.amdhsa_float_denorm_mode_16_64 3
		.amdhsa_dx10_clamp 1
		.amdhsa_ieee_mode 1
		.amdhsa_fp16_overflow 0
		.amdhsa_tg_split 0
		.amdhsa_exception_fp_ieee_invalid_op 0
		.amdhsa_exception_fp_denorm_src 0
		.amdhsa_exception_fp_ieee_div_zero 0
		.amdhsa_exception_fp_ieee_overflow 0
		.amdhsa_exception_fp_ieee_underflow 0
		.amdhsa_exception_fp_ieee_inexact 0
		.amdhsa_exception_int_div_zero 0
	.end_amdhsa_kernel
	.section	.text._ZN12_GLOBAL__N_135rocblas_gemm_batched_general_kernelIfLi16ELi16ELi32ELi32ELi8ELi32ELi8ELi8ELi32ELc84ELc67EKfS1_fEEvlllT_PT11_llS4_llS2_PT12_llPT13_lli,"axG",@progbits,_ZN12_GLOBAL__N_135rocblas_gemm_batched_general_kernelIfLi16ELi16ELi32ELi32ELi8ELi32ELi8ELi8ELi32ELc84ELc67EKfS1_fEEvlllT_PT11_llS4_llS2_PT12_llPT13_lli,comdat
.Lfunc_end57:
	.size	_ZN12_GLOBAL__N_135rocblas_gemm_batched_general_kernelIfLi16ELi16ELi32ELi32ELi8ELi32ELi8ELi8ELi32ELc84ELc67EKfS1_fEEvlllT_PT11_llS4_llS2_PT12_llPT13_lli, .Lfunc_end57-_ZN12_GLOBAL__N_135rocblas_gemm_batched_general_kernelIfLi16ELi16ELi32ELi32ELi8ELi32ELi8ELi8ELi32ELc84ELc67EKfS1_fEEvlllT_PT11_llS4_llS2_PT12_llPT13_lli
                                        ; -- End function
	.section	.AMDGPU.csdata,"",@progbits
; Kernel info:
; codeLenInByte = 1864
; NumSgprs: 40
; NumVgprs: 52
; NumAgprs: 0
; TotalNumVgprs: 52
; ScratchSize: 0
; MemoryBound: 0
; FloatMode: 240
; IeeeMode: 1
; LDSByteSize: 2048 bytes/workgroup (compile time only)
; SGPRBlocks: 4
; VGPRBlocks: 6
; NumSGPRsForWavesPerEU: 40
; NumVGPRsForWavesPerEU: 52
; AccumOffset: 52
; Occupancy: 8
; WaveLimiterHint : 0
; COMPUTE_PGM_RSRC2:SCRATCH_EN: 0
; COMPUTE_PGM_RSRC2:USER_SGPR: 6
; COMPUTE_PGM_RSRC2:TRAP_HANDLER: 0
; COMPUTE_PGM_RSRC2:TGID_X_EN: 1
; COMPUTE_PGM_RSRC2:TGID_Y_EN: 1
; COMPUTE_PGM_RSRC2:TGID_Z_EN: 1
; COMPUTE_PGM_RSRC2:TIDIG_COMP_CNT: 1
; COMPUTE_PGM_RSRC3_GFX90A:ACCUM_OFFSET: 12
; COMPUTE_PGM_RSRC3_GFX90A:TG_SPLIT: 0
	.section	.text._ZN12_GLOBAL__N_125rocblas_gemm_scale_kernelILi32ELi32EdPdEEviiT1_T2_llli,"axG",@progbits,_ZN12_GLOBAL__N_125rocblas_gemm_scale_kernelILi32ELi32EdPdEEviiT1_T2_llli,comdat
	.globl	_ZN12_GLOBAL__N_125rocblas_gemm_scale_kernelILi32ELi32EdPdEEviiT1_T2_llli ; -- Begin function _ZN12_GLOBAL__N_125rocblas_gemm_scale_kernelILi32ELi32EdPdEEviiT1_T2_llli
	.p2align	8
	.type	_ZN12_GLOBAL__N_125rocblas_gemm_scale_kernelILi32ELi32EdPdEEviiT1_T2_llli,@function
_ZN12_GLOBAL__N_125rocblas_gemm_scale_kernelILi32ELi32EdPdEEviiT1_T2_llli: ; @_ZN12_GLOBAL__N_125rocblas_gemm_scale_kernelILi32ELi32EdPdEEviiT1_T2_llli
; %bb.0:
	s_load_dwordx2 s[0:1], s[4:5], 0x0
	v_and_b32_e32 v1, 0x3ff, v0
	v_bfe_u32 v0, v0, 10, 10
	v_lshl_add_u32 v2, s6, 5, v1
	v_lshl_add_u32 v3, s7, 5, v0
	s_waitcnt lgkmcnt(0)
	v_cmp_gt_u32_e32 vcc, s0, v2
	v_cmp_gt_u32_e64 s[0:1], s1, v3
	s_and_b64 s[0:1], vcc, s[0:1]
	s_and_saveexec_b64 s[2:3], s[0:1]
	s_cbranch_execz .LBB58_4
; %bb.1:
	s_load_dwordx2 s[0:1], s[4:5], 0x28
	s_load_dwordx8 s[12:19], s[4:5], 0x8
	v_pk_mov_b32 v[0:1], 0, 0
	s_waitcnt lgkmcnt(0)
	s_mul_i32 s1, s8, s1
	s_mul_hi_u32 s2, s8, s0
	s_mul_i32 s0, s8, s0
	s_add_i32 s1, s2, s1
	s_lshl_b64 s[0:1], s[0:1], 3
	s_add_u32 s2, s14, s0
	v_mad_u64_u32 v[4:5], s[4:5], v3, s18, 0
	s_addc_u32 s3, s15, s1
	s_lshl_b64 s[0:1], s[16:17], 3
	v_mov_b32_e32 v6, v5
	s_add_u32 s0, s2, s0
	v_mad_u64_u32 v[6:7], s[4:5], v3, s19, v[6:7]
	s_addc_u32 s1, s3, s1
	v_cmp_eq_f64_e64 s[2:3], s[12:13], 0
	v_mov_b32_e32 v5, v6
	v_mov_b32_e32 v3, 0
	s_and_b64 vcc, exec, s[2:3]
	v_lshlrev_b64 v[4:5], 3, v[4:5]
	v_lshlrev_b64 v[2:3], 3, v[2:3]
	s_cbranch_vccnz .LBB58_3
; %bb.2:
	v_mov_b32_e32 v0, s1
	v_add_co_u32_e32 v1, vcc, s0, v4
	v_addc_co_u32_e32 v6, vcc, v0, v5, vcc
	v_add_co_u32_e32 v0, vcc, v1, v2
	v_addc_co_u32_e32 v1, vcc, v6, v3, vcc
	global_load_dwordx2 v[0:1], v[0:1], off
	s_waitcnt vmcnt(0)
	v_mul_f64 v[0:1], v[0:1], s[12:13]
.LBB58_3:
	v_mov_b32_e32 v6, s1
	v_add_co_u32_e32 v4, vcc, s0, v4
	v_addc_co_u32_e32 v5, vcc, v6, v5, vcc
	v_add_co_u32_e32 v2, vcc, v4, v2
	v_addc_co_u32_e32 v3, vcc, v5, v3, vcc
	global_store_dwordx2 v[2:3], v[0:1], off
.LBB58_4:
	s_endpgm
	.section	.rodata,"a",@progbits
	.p2align	6, 0x0
	.amdhsa_kernel _ZN12_GLOBAL__N_125rocblas_gemm_scale_kernelILi32ELi32EdPdEEviiT1_T2_llli
		.amdhsa_group_segment_fixed_size 0
		.amdhsa_private_segment_fixed_size 0
		.amdhsa_kernarg_size 52
		.amdhsa_user_sgpr_count 6
		.amdhsa_user_sgpr_private_segment_buffer 1
		.amdhsa_user_sgpr_dispatch_ptr 0
		.amdhsa_user_sgpr_queue_ptr 0
		.amdhsa_user_sgpr_kernarg_segment_ptr 1
		.amdhsa_user_sgpr_dispatch_id 0
		.amdhsa_user_sgpr_flat_scratch_init 0
		.amdhsa_user_sgpr_kernarg_preload_length 0
		.amdhsa_user_sgpr_kernarg_preload_offset 0
		.amdhsa_user_sgpr_private_segment_size 0
		.amdhsa_uses_dynamic_stack 0
		.amdhsa_system_sgpr_private_segment_wavefront_offset 0
		.amdhsa_system_sgpr_workgroup_id_x 1
		.amdhsa_system_sgpr_workgroup_id_y 1
		.amdhsa_system_sgpr_workgroup_id_z 1
		.amdhsa_system_sgpr_workgroup_info 0
		.amdhsa_system_vgpr_workitem_id 1
		.amdhsa_next_free_vgpr 8
		.amdhsa_next_free_sgpr 20
		.amdhsa_accum_offset 8
		.amdhsa_reserve_vcc 1
		.amdhsa_reserve_flat_scratch 0
		.amdhsa_float_round_mode_32 0
		.amdhsa_float_round_mode_16_64 0
		.amdhsa_float_denorm_mode_32 3
		.amdhsa_float_denorm_mode_16_64 3
		.amdhsa_dx10_clamp 1
		.amdhsa_ieee_mode 1
		.amdhsa_fp16_overflow 0
		.amdhsa_tg_split 0
		.amdhsa_exception_fp_ieee_invalid_op 0
		.amdhsa_exception_fp_denorm_src 0
		.amdhsa_exception_fp_ieee_div_zero 0
		.amdhsa_exception_fp_ieee_overflow 0
		.amdhsa_exception_fp_ieee_underflow 0
		.amdhsa_exception_fp_ieee_inexact 0
		.amdhsa_exception_int_div_zero 0
	.end_amdhsa_kernel
	.section	.text._ZN12_GLOBAL__N_125rocblas_gemm_scale_kernelILi32ELi32EdPdEEviiT1_T2_llli,"axG",@progbits,_ZN12_GLOBAL__N_125rocblas_gemm_scale_kernelILi32ELi32EdPdEEviiT1_T2_llli,comdat
.Lfunc_end58:
	.size	_ZN12_GLOBAL__N_125rocblas_gemm_scale_kernelILi32ELi32EdPdEEviiT1_T2_llli, .Lfunc_end58-_ZN12_GLOBAL__N_125rocblas_gemm_scale_kernelILi32ELi32EdPdEEviiT1_T2_llli
                                        ; -- End function
	.section	.AMDGPU.csdata,"",@progbits
; Kernel info:
; codeLenInByte = 268
; NumSgprs: 24
; NumVgprs: 8
; NumAgprs: 0
; TotalNumVgprs: 8
; ScratchSize: 0
; MemoryBound: 0
; FloatMode: 240
; IeeeMode: 1
; LDSByteSize: 0 bytes/workgroup (compile time only)
; SGPRBlocks: 2
; VGPRBlocks: 0
; NumSGPRsForWavesPerEU: 24
; NumVGPRsForWavesPerEU: 8
; AccumOffset: 8
; Occupancy: 8
; WaveLimiterHint : 0
; COMPUTE_PGM_RSRC2:SCRATCH_EN: 0
; COMPUTE_PGM_RSRC2:USER_SGPR: 6
; COMPUTE_PGM_RSRC2:TRAP_HANDLER: 0
; COMPUTE_PGM_RSRC2:TGID_X_EN: 1
; COMPUTE_PGM_RSRC2:TGID_Y_EN: 1
; COMPUTE_PGM_RSRC2:TGID_Z_EN: 1
; COMPUTE_PGM_RSRC2:TIDIG_COMP_CNT: 1
; COMPUTE_PGM_RSRC3_GFX90A:ACCUM_OFFSET: 1
; COMPUTE_PGM_RSRC3_GFX90A:TG_SPLIT: 0
	.section	.text._ZN12_GLOBAL__N_120gemm_ex_scale_kernelILi32ELi32EdPKdPdEEviiT1_T2_lllT3_llli,"axG",@progbits,_ZN12_GLOBAL__N_120gemm_ex_scale_kernelILi32ELi32EdPKdPdEEviiT1_T2_lllT3_llli,comdat
	.globl	_ZN12_GLOBAL__N_120gemm_ex_scale_kernelILi32ELi32EdPKdPdEEviiT1_T2_lllT3_llli ; -- Begin function _ZN12_GLOBAL__N_120gemm_ex_scale_kernelILi32ELi32EdPKdPdEEviiT1_T2_lllT3_llli
	.p2align	8
	.type	_ZN12_GLOBAL__N_120gemm_ex_scale_kernelILi32ELi32EdPKdPdEEviiT1_T2_lllT3_llli,@function
_ZN12_GLOBAL__N_120gemm_ex_scale_kernelILi32ELi32EdPKdPdEEviiT1_T2_lllT3_llli: ; @_ZN12_GLOBAL__N_120gemm_ex_scale_kernelILi32ELi32EdPKdPdEEviiT1_T2_lllT3_llli
; %bb.0:
	s_load_dwordx2 s[0:1], s[4:5], 0x0
	v_and_b32_e32 v1, 0x3ff, v0
	v_bfe_u32 v0, v0, 10, 10
	v_lshl_add_u32 v2, s6, 5, v1
	v_lshl_add_u32 v4, s7, 5, v0
	s_waitcnt lgkmcnt(0)
	v_cmp_gt_u32_e32 vcc, s0, v2
	v_cmp_gt_u32_e64 s[0:1], s1, v4
	s_and_b64 s[0:1], vcc, s[0:1]
	s_and_saveexec_b64 s[2:3], s[0:1]
	s_cbranch_execz .LBB59_5
; %bb.1:
	s_load_dwordx16 s[12:27], s[4:5], 0x8
	s_mov_b64 s[0:1], 0
	s_waitcnt lgkmcnt(0)
	v_cmp_neq_f64_e64 s[2:3], s[12:13], 0
	s_and_b64 vcc, exec, s[2:3]
	s_cbranch_vccnz .LBB59_6
; %bb.2:
	v_mov_b32_e32 v3, 0
	s_mov_b64 s[2:3], 0
	s_andn2_b64 vcc, exec, s[0:1]
	v_pk_mov_b32 v[0:1], s[2:3], s[2:3] op_sel:[0,1]
	s_cbranch_vccnz .LBB59_4
.LBB59_3:
	s_mul_i32 s0, s8, s21
	s_mul_hi_u32 s1, s8, s20
	s_add_i32 s1, s1, s0
	s_mul_i32 s0, s8, s20
	s_lshl_b64 s[0:1], s[0:1], 3
	s_add_u32 s2, s14, s0
	s_addc_u32 s3, s15, s1
	s_lshl_b64 s[0:1], s[16:17], 3
	s_add_u32 s2, s2, s0
	s_addc_u32 s3, s3, s1
	v_mad_u64_u32 v[0:1], s[0:1], v4, s18, 0
	v_mov_b32_e32 v6, v1
	v_mad_u64_u32 v[6:7], s[0:1], v4, s19, v[6:7]
	v_mov_b32_e32 v1, v6
	v_lshlrev_b64 v[0:1], 3, v[0:1]
	v_mov_b32_e32 v3, 0
	v_mov_b32_e32 v5, s3
	v_add_co_u32_e32 v6, vcc, s2, v0
	v_addc_co_u32_e32 v5, vcc, v5, v1, vcc
	v_lshlrev_b64 v[0:1], 3, v[2:3]
	v_add_co_u32_e32 v0, vcc, v6, v0
	v_addc_co_u32_e32 v1, vcc, v5, v1, vcc
	global_load_dwordx2 v[0:1], v[0:1], off
	s_waitcnt vmcnt(0)
	v_mul_f64 v[0:1], v[0:1], s[12:13]
.LBB59_4:
	s_load_dwordx2 s[0:1], s[4:5], 0x48
	v_lshlrev_b64 v[2:3], 3, v[2:3]
	s_waitcnt lgkmcnt(0)
	s_mul_i32 s1, s8, s1
	s_mul_hi_u32 s2, s8, s0
	s_mul_i32 s0, s8, s0
	s_add_i32 s1, s2, s1
	s_lshl_b64 s[0:1], s[0:1], 3
	s_add_u32 s2, s22, s0
	s_addc_u32 s3, s23, s1
	s_lshl_b64 s[0:1], s[24:25], 3
	s_add_u32 s2, s2, s0
	s_addc_u32 s3, s3, s1
	v_mad_u64_u32 v[6:7], s[0:1], v4, s26, 0
	v_mov_b32_e32 v8, v7
	v_mad_u64_u32 v[4:5], s[0:1], v4, s27, v[8:9]
	v_mov_b32_e32 v7, v4
	v_lshlrev_b64 v[4:5], 3, v[6:7]
	v_mov_b32_e32 v6, s3
	v_add_co_u32_e32 v4, vcc, s2, v4
	v_addc_co_u32_e32 v5, vcc, v6, v5, vcc
	v_add_co_u32_e32 v2, vcc, v4, v2
	v_addc_co_u32_e32 v3, vcc, v5, v3, vcc
	global_store_dwordx2 v[2:3], v[0:1], off
.LBB59_5:
	s_endpgm
.LBB59_6:
                                        ; implicit-def: $sgpr2_sgpr3
	v_pk_mov_b32 v[0:1], s[2:3], s[2:3] op_sel:[0,1]
	s_branch .LBB59_3
	.section	.rodata,"a",@progbits
	.p2align	6, 0x0
	.amdhsa_kernel _ZN12_GLOBAL__N_120gemm_ex_scale_kernelILi32ELi32EdPKdPdEEviiT1_T2_lllT3_llli
		.amdhsa_group_segment_fixed_size 0
		.amdhsa_private_segment_fixed_size 0
		.amdhsa_kernarg_size 84
		.amdhsa_user_sgpr_count 6
		.amdhsa_user_sgpr_private_segment_buffer 1
		.amdhsa_user_sgpr_dispatch_ptr 0
		.amdhsa_user_sgpr_queue_ptr 0
		.amdhsa_user_sgpr_kernarg_segment_ptr 1
		.amdhsa_user_sgpr_dispatch_id 0
		.amdhsa_user_sgpr_flat_scratch_init 0
		.amdhsa_user_sgpr_kernarg_preload_length 0
		.amdhsa_user_sgpr_kernarg_preload_offset 0
		.amdhsa_user_sgpr_private_segment_size 0
		.amdhsa_uses_dynamic_stack 0
		.amdhsa_system_sgpr_private_segment_wavefront_offset 0
		.amdhsa_system_sgpr_workgroup_id_x 1
		.amdhsa_system_sgpr_workgroup_id_y 1
		.amdhsa_system_sgpr_workgroup_id_z 1
		.amdhsa_system_sgpr_workgroup_info 0
		.amdhsa_system_vgpr_workitem_id 1
		.amdhsa_next_free_vgpr 10
		.amdhsa_next_free_sgpr 28
		.amdhsa_accum_offset 12
		.amdhsa_reserve_vcc 1
		.amdhsa_reserve_flat_scratch 0
		.amdhsa_float_round_mode_32 0
		.amdhsa_float_round_mode_16_64 0
		.amdhsa_float_denorm_mode_32 3
		.amdhsa_float_denorm_mode_16_64 3
		.amdhsa_dx10_clamp 1
		.amdhsa_ieee_mode 1
		.amdhsa_fp16_overflow 0
		.amdhsa_tg_split 0
		.amdhsa_exception_fp_ieee_invalid_op 0
		.amdhsa_exception_fp_denorm_src 0
		.amdhsa_exception_fp_ieee_div_zero 0
		.amdhsa_exception_fp_ieee_overflow 0
		.amdhsa_exception_fp_ieee_underflow 0
		.amdhsa_exception_fp_ieee_inexact 0
		.amdhsa_exception_int_div_zero 0
	.end_amdhsa_kernel
	.section	.text._ZN12_GLOBAL__N_120gemm_ex_scale_kernelILi32ELi32EdPKdPdEEviiT1_T2_lllT3_llli,"axG",@progbits,_ZN12_GLOBAL__N_120gemm_ex_scale_kernelILi32ELi32EdPKdPdEEviiT1_T2_lllT3_llli,comdat
.Lfunc_end59:
	.size	_ZN12_GLOBAL__N_120gemm_ex_scale_kernelILi32ELi32EdPKdPdEEviiT1_T2_lllT3_llli, .Lfunc_end59-_ZN12_GLOBAL__N_120gemm_ex_scale_kernelILi32ELi32EdPKdPdEEviiT1_T2_lllT3_llli
                                        ; -- End function
	.section	.AMDGPU.csdata,"",@progbits
; Kernel info:
; codeLenInByte = 384
; NumSgprs: 32
; NumVgprs: 10
; NumAgprs: 0
; TotalNumVgprs: 10
; ScratchSize: 0
; MemoryBound: 0
; FloatMode: 240
; IeeeMode: 1
; LDSByteSize: 0 bytes/workgroup (compile time only)
; SGPRBlocks: 3
; VGPRBlocks: 1
; NumSGPRsForWavesPerEU: 32
; NumVGPRsForWavesPerEU: 10
; AccumOffset: 12
; Occupancy: 8
; WaveLimiterHint : 0
; COMPUTE_PGM_RSRC2:SCRATCH_EN: 0
; COMPUTE_PGM_RSRC2:USER_SGPR: 6
; COMPUTE_PGM_RSRC2:TRAP_HANDLER: 0
; COMPUTE_PGM_RSRC2:TGID_X_EN: 1
; COMPUTE_PGM_RSRC2:TGID_Y_EN: 1
; COMPUTE_PGM_RSRC2:TGID_Z_EN: 1
; COMPUTE_PGM_RSRC2:TIDIG_COMP_CNT: 1
; COMPUTE_PGM_RSRC3_GFX90A:ACCUM_OFFSET: 2
; COMPUTE_PGM_RSRC3_GFX90A:TG_SPLIT: 0
	.section	.text._ZN12_GLOBAL__N_127rocblas_gemm_batched_kernelIdLi16ELi16ELi64ELi64ELi4ELi64ELi4ELi4ELi64ELc78ELc78EKdS1_dEEvlllT_PT11_llS4_llS2_PT12_llPT13_lli,"axG",@progbits,_ZN12_GLOBAL__N_127rocblas_gemm_batched_kernelIdLi16ELi16ELi64ELi64ELi4ELi64ELi4ELi4ELi64ELc78ELc78EKdS1_dEEvlllT_PT11_llS4_llS2_PT12_llPT13_lli,comdat
	.globl	_ZN12_GLOBAL__N_127rocblas_gemm_batched_kernelIdLi16ELi16ELi64ELi64ELi4ELi64ELi4ELi4ELi64ELc78ELc78EKdS1_dEEvlllT_PT11_llS4_llS2_PT12_llPT13_lli ; -- Begin function _ZN12_GLOBAL__N_127rocblas_gemm_batched_kernelIdLi16ELi16ELi64ELi64ELi4ELi64ELi4ELi4ELi64ELc78ELc78EKdS1_dEEvlllT_PT11_llS4_llS2_PT12_llPT13_lli
	.p2align	8
	.type	_ZN12_GLOBAL__N_127rocblas_gemm_batched_kernelIdLi16ELi16ELi64ELi64ELi4ELi64ELi4ELi4ELi64ELc78ELc78EKdS1_dEEvlllT_PT11_llS4_llS2_PT12_llPT13_lli,@function
_ZN12_GLOBAL__N_127rocblas_gemm_batched_kernelIdLi16ELi16ELi64ELi64ELi4ELi64ELi4ELi4ELi64ELc78ELc78EKdS1_dEEvlllT_PT11_llS4_llS2_PT12_llPT13_lli: ; @_ZN12_GLOBAL__N_127rocblas_gemm_batched_kernelIdLi16ELi16ELi64ELi64ELi4ELi64ELi4ELi4ELi64ELc78ELc78EKdS1_dEEvlllT_PT11_llS4_llS2_PT12_llPT13_lli
; %bb.0:
	s_load_dwordx16 s[12:27], s[4:5], 0x10
	s_mov_b32 s2, s7
	s_ashr_i32 s7, s6, 31
	s_ashr_i32 s3, s2, 31
	v_bfe_u32 v43, v0, 10, 10
	s_waitcnt lgkmcnt(0)
	v_cmp_lt_i64_e64 s[10:11], s[12:13], 1
	v_and_b32_e32 v42, 0x3ff, v0
	s_lshl_b64 s[0:1], s[6:7], 6
	s_lshl_b64 s[2:3], s[2:3], 6
	s_mov_b64 s[6:7], 0
	s_and_b64 vcc, exec, s[10:11]
	s_cbranch_vccnz .LBB60_3
; %bb.1:
	v_lshl_add_u32 v0, v43, 4, v42
	v_and_b32_e32 v4, 3, v42
	v_and_b32_e32 v5, 63, v0
	v_lshrrev_b32_e32 v1, 2, v0
	v_lshrrev_b32_e32 v6, 6, v0
	v_lshlrev_b32_e32 v0, 3, v5
	v_lshlrev_b32_e32 v4, 3, v4
	v_lshl_or_b32 v44, v6, 9, v0
	v_lshl_or_b32 v0, v1, 5, v4
	v_mov_b32_e32 v2, s3
	v_add_co_u32_e32 v3, vcc, s2, v1
	v_add_u32_e32 v45, 0x800, v0
	v_mov_b32_e32 v0, 0x800
	v_addc_co_u32_e32 v2, vcc, 0, v2, vcc
	v_lshl_add_u32 v47, v43, 5, v0
	v_mad_u64_u32 v[0:1], s[10:11], s24, v3, 0
	v_mul_lo_u32 v7, s25, v3
	v_mul_lo_u32 v2, s24, v2
	s_mul_i32 s9, s27, s8
	s_mul_hi_u32 s10, s26, s8
	v_add3_u32 v1, v1, v2, v7
	s_add_i32 s11, s10, s9
	s_mul_i32 s10, s26, s8
	v_lshlrev_b64 v[0:1], 3, v[0:1]
	s_lshl_b64 s[10:11], s[10:11], 3
	v_mov_b32_e32 v2, s11
	v_add_co_u32_e32 v0, vcc, s10, v0
	v_addc_co_u32_e32 v1, vcc, v1, v2, vcc
	v_add_co_u32_e32 v0, vcc, v0, v4
	v_addc_co_u32_e32 v1, vcc, 0, v1, vcc
	v_mov_b32_e32 v2, s23
	v_add_co_u32_e32 v32, vcc, s22, v0
	v_addc_co_u32_e32 v33, vcc, v2, v1, vcc
	s_mul_i32 s9, s21, s8
	s_mul_hi_u32 s10, s20, s8
	v_pk_mov_b32 v[0:1], s[0:1], s[0:1] op_sel:[0,1]
	s_add_i32 s11, s10, s9
	s_mul_i32 s10, s20, s8
	v_mad_u64_u32 v[0:1], s[20:21], v6, s18, v[0:1]
	v_mov_b32_e32 v2, v1
	v_mad_u64_u32 v[2:3], s[20:21], v6, s19, v[2:3]
	s_lshl_b64 s[10:11], s[10:11], 3
	v_mov_b32_e32 v1, v2
	v_add_co_u32_e32 v0, vcc, v0, v5
	v_addc_co_u32_e32 v1, vcc, 0, v1, vcc
	s_add_u32 s9, s16, s10
	v_lshlrev_b64 v[0:1], 3, v[0:1]
	s_addc_u32 s10, s17, s11
	v_mov_b32_e32 v2, s10
	v_add_co_u32_e32 v34, vcc, s9, v0
	s_lshl_b64 s[10:11], s[18:19], 5
	v_lshlrev_b32_e32 v46, 3, v42
	v_addc_co_u32_e32 v35, vcc, v2, v1, vcc
	v_pk_mov_b32 v[0:1], 0, 0
	v_mov_b32_e32 v48, s11
	v_pk_mov_b32 v[36:37], s[12:13], s[12:13] op_sel:[0,1]
	v_pk_mov_b32 v[2:3], 0, 0
	v_pk_mov_b32 v[4:5], 0, 0
	;; [unrolled: 1-line block ×15, first 2 shown]
.LBB60_2:                               ; =>This Inner Loop Header: Depth=1
	global_load_dwordx2 v[38:39], v[34:35], off
	global_load_dwordx2 v[40:41], v[32:33], off
	v_add_co_u32_e32 v32, vcc, 32, v32
	v_addc_co_u32_e32 v33, vcc, 0, v33, vcc
	s_add_u32 s6, s6, 4
	v_add_co_u32_e32 v34, vcc, s10, v34
	v_addc_co_u32_e32 v35, vcc, v35, v48, vcc
	s_addc_u32 s7, s7, 0
	v_cmp_lt_i64_e32 vcc, s[6:7], v[36:37]
	s_and_b64 vcc, exec, vcc
	s_waitcnt vmcnt(1)
	ds_write_b64 v44, v[38:39]
	s_waitcnt vmcnt(0)
	ds_write_b64 v45, v[40:41]
	s_waitcnt lgkmcnt(0)
	s_barrier
	ds_read2_b64 v[38:41], v46 offset1:16
	ds_read_b128 v[50:53], v47
	ds_read_b128 v[54:57], v47 offset:16
	ds_read_b128 v[58:61], v47 offset:512
	;; [unrolled: 1-line block ×6, first 2 shown]
	s_waitcnt lgkmcnt(6)
	v_fmac_f64_e32 v[30:31], v[38:39], v[50:51]
	v_fmac_f64_e32 v[28:29], v[40:41], v[50:51]
	s_waitcnt lgkmcnt(4)
	v_fmac_f64_e32 v[22:23], v[38:39], v[58:59]
	v_fmac_f64_e32 v[20:21], v[40:41], v[58:59]
	;; [unrolled: 3-line block ×4, first 2 shown]
	ds_read2_b64 v[38:41], v46 offset0:32 offset1:48
	ds_read2_b64 v[82:85], v46 offset0:96 offset1:112
	ds_read_b128 v[78:81], v47 offset:1552
	s_waitcnt lgkmcnt(2)
	v_fmac_f64_e32 v[26:27], v[38:39], v[50:51]
	v_fmac_f64_e32 v[24:25], v[40:41], v[50:51]
	;; [unrolled: 1-line block ×8, first 2 shown]
	ds_read2_b64 v[38:41], v46 offset0:64 offset1:80
	s_waitcnt lgkmcnt(2)
	v_fmac_f64_e32 v[26:27], v[82:83], v[52:53]
	v_fmac_f64_e32 v[24:25], v[84:85], v[52:53]
	;; [unrolled: 1-line block ×4, first 2 shown]
	s_waitcnt lgkmcnt(0)
	v_fmac_f64_e32 v[30:31], v[38:39], v[52:53]
	v_fmac_f64_e32 v[28:29], v[40:41], v[52:53]
	;; [unrolled: 1-line block ×6, first 2 shown]
	ds_read2_b64 v[50:53], v46 offset0:128 offset1:144
	v_fmac_f64_e32 v[6:7], v[38:39], v[76:77]
	v_fmac_f64_e32 v[4:5], v[40:41], v[76:77]
	ds_read2_b64 v[38:41], v46 offset0:160 offset1:176
	v_fmac_f64_e32 v[10:11], v[82:83], v[68:69]
	v_fmac_f64_e32 v[8:9], v[84:85], v[68:69]
	ds_read2_b64 v[58:61], v46 offset0:192 offset1:208
	ds_read2_b64 v[66:69], v46 offset0:224 offset1:240
	v_fmac_f64_e32 v[2:3], v[82:83], v[76:77]
	v_fmac_f64_e32 v[0:1], v[84:85], v[76:77]
	s_waitcnt lgkmcnt(3)
	v_fmac_f64_e32 v[30:31], v[50:51], v[54:55]
	v_fmac_f64_e32 v[28:29], v[52:53], v[54:55]
	;; [unrolled: 1-line block ×8, first 2 shown]
	s_waitcnt lgkmcnt(2)
	v_fmac_f64_e32 v[26:27], v[38:39], v[54:55]
	v_fmac_f64_e32 v[24:25], v[40:41], v[54:55]
	;; [unrolled: 1-line block ×8, first 2 shown]
	s_waitcnt lgkmcnt(1)
	v_fmac_f64_e32 v[30:31], v[58:59], v[56:57]
	v_fmac_f64_e32 v[28:29], v[60:61], v[56:57]
	s_waitcnt lgkmcnt(0)
	v_fmac_f64_e32 v[26:27], v[66:67], v[56:57]
	v_fmac_f64_e32 v[24:25], v[68:69], v[56:57]
	;; [unrolled: 1-line block ×14, first 2 shown]
	s_barrier
	s_cbranch_vccnz .LBB60_2
	s_branch .LBB60_4
.LBB60_3:
	v_pk_mov_b32 v[30:31], 0, 0
	v_pk_mov_b32 v[28:29], 0, 0
	;; [unrolled: 1-line block ×16, first 2 shown]
.LBB60_4:
	s_load_dwordx8 s[24:31], s[4:5], 0x70
	s_load_dwordx8 s[16:23], s[4:5], 0x50
	v_mov_b32_e32 v32, s3
	v_add_co_u32_e32 v34, vcc, s2, v43
	s_waitcnt lgkmcnt(0)
	s_mul_i32 s3, s8, s29
	s_mul_hi_u32 s5, s8, s28
	s_mul_i32 s4, s8, s28
	s_add_i32 s5, s5, s3
	v_addc_co_u32_e32 v37, vcc, 0, v32, vcc
	s_lshl_b64 s[4:5], s[4:5], 3
	v_mov_b32_e32 v33, s1
	v_add_co_u32_e32 v32, vcc, s0, v42
	s_add_u32 s4, s24, s4
	v_cmp_neq_f64_e64 s[6:7], s[16:17], 0
	v_addc_co_u32_e32 v33, vcc, 0, v33, vcc
	s_addc_u32 s5, s25, s5
	s_mov_b64 s[2:3], 0
	s_and_b64 vcc, exec, s[6:7]
	v_mul_lo_u32 v35, v37, s26
	v_mul_lo_u32 v36, v34, s27
	v_lshlrev_b64 v[32:33], 3, v[32:33]
	s_cbranch_vccnz .LBB60_8
; %bb.5:
	v_mad_u64_u32 v[38:39], s[0:1], v34, s26, 0
	v_add3_u32 v39, v39, v36, v35
	v_lshlrev_b64 v[38:39], 3, v[38:39]
	v_mov_b32_e32 v40, s5
	v_add_co_u32_e32 v41, vcc, s4, v38
	v_addc_co_u32_e32 v42, vcc, v40, v39, vcc
	v_add_co_u32_e32 v40, vcc, v41, v32
	v_mul_f64 v[38:39], v[30:31], s[14:15]
	v_addc_co_u32_e32 v41, vcc, v42, v33, vcc
	global_store_dwordx2 v[40:41], v[38:39], off
	v_mul_f64 v[38:39], v[28:29], s[14:15]
	global_store_dwordx2 v[40:41], v[38:39], off offset:128
	v_mul_f64 v[38:39], v[26:27], s[14:15]
	global_store_dwordx2 v[40:41], v[38:39], off offset:256
	v_mul_f64 v[38:39], v[24:25], s[14:15]
	s_lshl_b64 s[0:1], s[26:27], 7
	global_store_dwordx2 v[40:41], v[38:39], off offset:384
	v_mov_b32_e32 v42, s1
	v_add_co_u32_e32 v40, vcc, s0, v40
	v_mul_f64 v[38:39], v[22:23], s[14:15]
	v_addc_co_u32_e32 v41, vcc, v41, v42, vcc
	global_store_dwordx2 v[40:41], v[38:39], off
	v_mul_f64 v[38:39], v[20:21], s[14:15]
	global_store_dwordx2 v[40:41], v[38:39], off offset:128
	v_mul_f64 v[38:39], v[18:19], s[14:15]
	global_store_dwordx2 v[40:41], v[38:39], off offset:256
	v_mul_f64 v[38:39], v[16:17], s[14:15]
	global_store_dwordx2 v[40:41], v[38:39], off offset:384
	v_add_co_u32_e32 v40, vcc, s0, v40
	v_mul_f64 v[38:39], v[14:15], s[14:15]
	v_addc_co_u32_e32 v41, vcc, v41, v42, vcc
	global_store_dwordx2 v[40:41], v[38:39], off
	v_mul_f64 v[38:39], v[12:13], s[14:15]
	global_store_dwordx2 v[40:41], v[38:39], off offset:128
	v_mul_f64 v[38:39], v[10:11], s[14:15]
	global_store_dwordx2 v[40:41], v[38:39], off offset:256
	v_mul_f64 v[38:39], v[8:9], s[14:15]
	global_store_dwordx2 v[40:41], v[38:39], off offset:384
	;; [unrolled: 10-line block ×3, first 2 shown]
	s_andn2_b64 vcc, exec, s[2:3]
	s_cbranch_vccnz .LBB60_7
.LBB60_6:
	s_mul_i32 s0, s8, s23
	s_mul_hi_u32 s1, s8, s22
	s_add_i32 s1, s1, s0
	s_mul_i32 s0, s8, s22
	s_lshl_b64 s[0:1], s[0:1], 3
	s_add_u32 s2, s18, s0
	s_addc_u32 s3, s19, s1
	v_mul_lo_u32 v37, v37, s20
	v_mul_lo_u32 v40, v34, s21
	v_mad_u64_u32 v[38:39], s[0:1], v34, s20, 0
	v_add3_u32 v39, v39, v40, v37
	v_lshlrev_b64 v[38:39], 3, v[38:39]
	v_mov_b32_e32 v37, s3
	v_add_co_u32_e32 v38, vcc, s2, v38
	v_addc_co_u32_e32 v37, vcc, v37, v39, vcc
	v_add_co_u32_e32 v38, vcc, v38, v32
	v_addc_co_u32_e32 v39, vcc, v37, v33, vcc
	global_load_dwordx2 v[40:41], v[38:39], off
	v_mad_u64_u32 v[42:43], s[0:1], v34, s26, 0
	v_add3_u32 v43, v43, v36, v35
	v_lshlrev_b64 v[34:35], 3, v[42:43]
	v_mov_b32_e32 v37, s5
	v_add_co_u32_e32 v34, vcc, s4, v34
	v_addc_co_u32_e32 v35, vcc, v37, v35, vcc
	v_add_co_u32_e32 v32, vcc, v34, v32
	v_addc_co_u32_e32 v33, vcc, v35, v33, vcc
	s_lshl_b64 s[0:1], s[20:21], 7
	s_lshl_b64 s[2:3], s[26:27], 7
	s_waitcnt vmcnt(0)
	v_mul_f64 v[34:35], v[40:41], s[16:17]
	v_fmac_f64_e32 v[34:35], s[14:15], v[30:31]
	global_store_dwordx2 v[32:33], v[34:35], off
	global_load_dwordx2 v[30:31], v[38:39], off offset:128
	s_waitcnt vmcnt(0)
	v_mul_f64 v[30:31], v[30:31], s[16:17]
	v_fmac_f64_e32 v[30:31], s[14:15], v[28:29]
	global_store_dwordx2 v[32:33], v[30:31], off offset:128
	global_load_dwordx2 v[28:29], v[38:39], off offset:256
	v_mov_b32_e32 v30, s1
	v_mov_b32_e32 v31, s3
	s_waitcnt vmcnt(0)
	v_mul_f64 v[28:29], v[28:29], s[16:17]
	v_fmac_f64_e32 v[28:29], s[14:15], v[26:27]
	global_store_dwordx2 v[32:33], v[28:29], off offset:256
	global_load_dwordx2 v[26:27], v[38:39], off offset:384
	v_add_co_u32_e32 v28, vcc, s0, v38
	v_addc_co_u32_e32 v29, vcc, v39, v30, vcc
	s_waitcnt vmcnt(0)
	v_mul_f64 v[26:27], v[26:27], s[16:17]
	v_fmac_f64_e32 v[26:27], s[14:15], v[24:25]
	global_store_dwordx2 v[32:33], v[26:27], off offset:384
	global_load_dwordx2 v[24:25], v[28:29], off
	v_add_co_u32_e32 v26, vcc, s2, v32
	v_addc_co_u32_e32 v27, vcc, v33, v31, vcc
	s_waitcnt vmcnt(0)
	v_mul_f64 v[24:25], v[24:25], s[16:17]
	v_fmac_f64_e32 v[24:25], s[14:15], v[22:23]
	global_store_dwordx2 v[26:27], v[24:25], off
	global_load_dwordx2 v[22:23], v[28:29], off offset:128
	s_waitcnt vmcnt(0)
	v_mul_f64 v[22:23], v[22:23], s[16:17]
	v_fmac_f64_e32 v[22:23], s[14:15], v[20:21]
	global_store_dwordx2 v[26:27], v[22:23], off offset:128
	global_load_dwordx2 v[20:21], v[28:29], off offset:256
	s_waitcnt vmcnt(0)
	v_mul_f64 v[20:21], v[20:21], s[16:17]
	v_fmac_f64_e32 v[20:21], s[14:15], v[18:19]
	global_store_dwordx2 v[26:27], v[20:21], off offset:256
	global_load_dwordx2 v[18:19], v[28:29], off offset:384
	v_add_co_u32_e32 v20, vcc, s0, v28
	v_addc_co_u32_e32 v21, vcc, v29, v30, vcc
	s_waitcnt vmcnt(0)
	v_mul_f64 v[18:19], v[18:19], s[16:17]
	v_fmac_f64_e32 v[18:19], s[14:15], v[16:17]
	global_store_dwordx2 v[26:27], v[18:19], off offset:384
	global_load_dwordx2 v[16:17], v[20:21], off
	v_add_co_u32_e32 v18, vcc, s2, v26
	v_addc_co_u32_e32 v19, vcc, v27, v31, vcc
	s_waitcnt vmcnt(0)
	v_mul_f64 v[16:17], v[16:17], s[16:17]
	v_fmac_f64_e32 v[16:17], s[14:15], v[14:15]
	global_store_dwordx2 v[18:19], v[16:17], off
	global_load_dwordx2 v[14:15], v[20:21], off offset:128
	s_waitcnt vmcnt(0)
	v_mul_f64 v[14:15], v[14:15], s[16:17]
	v_fmac_f64_e32 v[14:15], s[14:15], v[12:13]
	global_store_dwordx2 v[18:19], v[14:15], off offset:128
	global_load_dwordx2 v[12:13], v[20:21], off offset:256
	s_waitcnt vmcnt(0)
	v_mul_f64 v[12:13], v[12:13], s[16:17]
	v_fmac_f64_e32 v[12:13], s[14:15], v[10:11]
	global_store_dwordx2 v[18:19], v[12:13], off offset:256
	global_load_dwordx2 v[10:11], v[20:21], off offset:384
	v_add_co_u32_e32 v12, vcc, s0, v20
	v_addc_co_u32_e32 v13, vcc, v21, v30, vcc
	s_waitcnt vmcnt(0)
	v_mul_f64 v[10:11], v[10:11], s[16:17]
	v_fmac_f64_e32 v[10:11], s[14:15], v[8:9]
	global_store_dwordx2 v[18:19], v[10:11], off offset:384
	global_load_dwordx2 v[8:9], v[12:13], off
	s_waitcnt vmcnt(0)
	v_mul_f64 v[8:9], v[8:9], s[16:17]
	v_fmac_f64_e32 v[8:9], s[14:15], v[6:7]
	v_add_co_u32_e32 v6, vcc, s2, v18
	v_addc_co_u32_e32 v7, vcc, v19, v31, vcc
	global_store_dwordx2 v[6:7], v[8:9], off
	global_load_dwordx2 v[8:9], v[12:13], off offset:128
	s_waitcnt vmcnt(0)
	v_mul_f64 v[8:9], v[8:9], s[16:17]
	v_fmac_f64_e32 v[8:9], s[14:15], v[4:5]
	global_store_dwordx2 v[6:7], v[8:9], off offset:128
	global_load_dwordx2 v[4:5], v[12:13], off offset:256
	s_waitcnt vmcnt(0)
	v_mul_f64 v[4:5], v[4:5], s[16:17]
	v_fmac_f64_e32 v[4:5], s[14:15], v[2:3]
	global_store_dwordx2 v[6:7], v[4:5], off offset:256
	;; [unrolled: 5-line block ×3, first 2 shown]
.LBB60_7:
	s_endpgm
.LBB60_8:
	s_branch .LBB60_6
	.section	.rodata,"a",@progbits
	.p2align	6, 0x0
	.amdhsa_kernel _ZN12_GLOBAL__N_127rocblas_gemm_batched_kernelIdLi16ELi16ELi64ELi64ELi4ELi64ELi4ELi4ELi64ELc78ELc78EKdS1_dEEvlllT_PT11_llS4_llS2_PT12_llPT13_lli
		.amdhsa_group_segment_fixed_size 4096
		.amdhsa_private_segment_fixed_size 0
		.amdhsa_kernarg_size 140
		.amdhsa_user_sgpr_count 6
		.amdhsa_user_sgpr_private_segment_buffer 1
		.amdhsa_user_sgpr_dispatch_ptr 0
		.amdhsa_user_sgpr_queue_ptr 0
		.amdhsa_user_sgpr_kernarg_segment_ptr 1
		.amdhsa_user_sgpr_dispatch_id 0
		.amdhsa_user_sgpr_flat_scratch_init 0
		.amdhsa_user_sgpr_kernarg_preload_length 0
		.amdhsa_user_sgpr_kernarg_preload_offset 0
		.amdhsa_user_sgpr_private_segment_size 0
		.amdhsa_uses_dynamic_stack 0
		.amdhsa_system_sgpr_private_segment_wavefront_offset 0
		.amdhsa_system_sgpr_workgroup_id_x 1
		.amdhsa_system_sgpr_workgroup_id_y 1
		.amdhsa_system_sgpr_workgroup_id_z 1
		.amdhsa_system_sgpr_workgroup_info 0
		.amdhsa_system_vgpr_workitem_id 1
		.amdhsa_next_free_vgpr 86
		.amdhsa_next_free_sgpr 32
		.amdhsa_accum_offset 88
		.amdhsa_reserve_vcc 1
		.amdhsa_reserve_flat_scratch 0
		.amdhsa_float_round_mode_32 0
		.amdhsa_float_round_mode_16_64 0
		.amdhsa_float_denorm_mode_32 3
		.amdhsa_float_denorm_mode_16_64 3
		.amdhsa_dx10_clamp 1
		.amdhsa_ieee_mode 1
		.amdhsa_fp16_overflow 0
		.amdhsa_tg_split 0
		.amdhsa_exception_fp_ieee_invalid_op 0
		.amdhsa_exception_fp_denorm_src 0
		.amdhsa_exception_fp_ieee_div_zero 0
		.amdhsa_exception_fp_ieee_overflow 0
		.amdhsa_exception_fp_ieee_underflow 0
		.amdhsa_exception_fp_ieee_inexact 0
		.amdhsa_exception_int_div_zero 0
	.end_amdhsa_kernel
	.section	.text._ZN12_GLOBAL__N_127rocblas_gemm_batched_kernelIdLi16ELi16ELi64ELi64ELi4ELi64ELi4ELi4ELi64ELc78ELc78EKdS1_dEEvlllT_PT11_llS4_llS2_PT12_llPT13_lli,"axG",@progbits,_ZN12_GLOBAL__N_127rocblas_gemm_batched_kernelIdLi16ELi16ELi64ELi64ELi4ELi64ELi4ELi4ELi64ELc78ELc78EKdS1_dEEvlllT_PT11_llS4_llS2_PT12_llPT13_lli,comdat
.Lfunc_end60:
	.size	_ZN12_GLOBAL__N_127rocblas_gemm_batched_kernelIdLi16ELi16ELi64ELi64ELi4ELi64ELi4ELi4ELi64ELc78ELc78EKdS1_dEEvlllT_PT11_llS4_llS2_PT12_llPT13_lli, .Lfunc_end60-_ZN12_GLOBAL__N_127rocblas_gemm_batched_kernelIdLi16ELi16ELi64ELi64ELi4ELi64ELi4ELi4ELi64ELc78ELc78EKdS1_dEEvlllT_PT11_llS4_llS2_PT12_llPT13_lli
                                        ; -- End function
	.section	.AMDGPU.csdata,"",@progbits
; Kernel info:
; codeLenInByte = 2300
; NumSgprs: 36
; NumVgprs: 86
; NumAgprs: 0
; TotalNumVgprs: 86
; ScratchSize: 0
; MemoryBound: 0
; FloatMode: 240
; IeeeMode: 1
; LDSByteSize: 4096 bytes/workgroup (compile time only)
; SGPRBlocks: 4
; VGPRBlocks: 10
; NumSGPRsForWavesPerEU: 36
; NumVGPRsForWavesPerEU: 86
; AccumOffset: 88
; Occupancy: 5
; WaveLimiterHint : 1
; COMPUTE_PGM_RSRC2:SCRATCH_EN: 0
; COMPUTE_PGM_RSRC2:USER_SGPR: 6
; COMPUTE_PGM_RSRC2:TRAP_HANDLER: 0
; COMPUTE_PGM_RSRC2:TGID_X_EN: 1
; COMPUTE_PGM_RSRC2:TGID_Y_EN: 1
; COMPUTE_PGM_RSRC2:TGID_Z_EN: 1
; COMPUTE_PGM_RSRC2:TIDIG_COMP_CNT: 1
; COMPUTE_PGM_RSRC3_GFX90A:ACCUM_OFFSET: 21
; COMPUTE_PGM_RSRC3_GFX90A:TG_SPLIT: 0
	.section	.text._ZN12_GLOBAL__N_127rocblas_gemm_batched_kernelIdLi16ELi16ELi64ELi64ELi4ELi64ELi4ELi4ELi64ELc84ELc78EKdS1_dEEvlllT_PT11_llS4_llS2_PT12_llPT13_lli,"axG",@progbits,_ZN12_GLOBAL__N_127rocblas_gemm_batched_kernelIdLi16ELi16ELi64ELi64ELi4ELi64ELi4ELi4ELi64ELc84ELc78EKdS1_dEEvlllT_PT11_llS4_llS2_PT12_llPT13_lli,comdat
	.globl	_ZN12_GLOBAL__N_127rocblas_gemm_batched_kernelIdLi16ELi16ELi64ELi64ELi4ELi64ELi4ELi4ELi64ELc84ELc78EKdS1_dEEvlllT_PT11_llS4_llS2_PT12_llPT13_lli ; -- Begin function _ZN12_GLOBAL__N_127rocblas_gemm_batched_kernelIdLi16ELi16ELi64ELi64ELi4ELi64ELi4ELi4ELi64ELc84ELc78EKdS1_dEEvlllT_PT11_llS4_llS2_PT12_llPT13_lli
	.p2align	8
	.type	_ZN12_GLOBAL__N_127rocblas_gemm_batched_kernelIdLi16ELi16ELi64ELi64ELi4ELi64ELi4ELi4ELi64ELc84ELc78EKdS1_dEEvlllT_PT11_llS4_llS2_PT12_llPT13_lli,@function
_ZN12_GLOBAL__N_127rocblas_gemm_batched_kernelIdLi16ELi16ELi64ELi64ELi4ELi64ELi4ELi4ELi64ELc84ELc78EKdS1_dEEvlllT_PT11_llS4_llS2_PT12_llPT13_lli: ; @_ZN12_GLOBAL__N_127rocblas_gemm_batched_kernelIdLi16ELi16ELi64ELi64ELi4ELi64ELi4ELi4ELi64ELc84ELc78EKdS1_dEEvlllT_PT11_llS4_llS2_PT12_llPT13_lli
; %bb.0:
	s_load_dwordx16 s[12:27], s[4:5], 0x10
	s_mov_b32 s2, s7
	s_ashr_i32 s7, s6, 31
	s_ashr_i32 s3, s2, 31
	v_bfe_u32 v39, v0, 10, 10
	s_waitcnt lgkmcnt(0)
	v_cmp_lt_i64_e64 s[10:11], s[12:13], 1
	v_and_b32_e32 v38, 0x3ff, v0
	s_lshl_b64 s[0:1], s[6:7], 6
	s_lshl_b64 s[2:3], s[2:3], 6
	s_mov_b64 s[6:7], 0
	s_and_b64 vcc, exec, s[10:11]
	s_cbranch_vccnz .LBB61_3
; %bb.1:
	v_lshl_add_u32 v0, v39, 4, v38
	v_and_b32_e32 v4, 3, v38
	v_and_b32_e32 v5, 63, v0
	v_lshrrev_b32_e32 v1, 2, v0
	v_lshrrev_b32_e32 v6, 6, v0
	v_lshlrev_b32_e32 v0, 3, v5
	v_lshlrev_b32_e32 v4, 3, v4
	v_lshl_or_b32 v40, v6, 9, v0
	v_lshl_or_b32 v0, v1, 5, v4
	v_mov_b32_e32 v2, s3
	v_add_co_u32_e32 v3, vcc, s2, v1
	v_add_u32_e32 v41, 0x800, v0
	v_mov_b32_e32 v0, 0x800
	v_addc_co_u32_e32 v2, vcc, 0, v2, vcc
	v_lshl_add_u32 v43, v39, 5, v0
	v_mad_u64_u32 v[0:1], s[10:11], s24, v3, 0
	v_mul_lo_u32 v7, s25, v3
	v_mul_lo_u32 v2, s24, v2
	s_mul_i32 s9, s27, s8
	s_mul_hi_u32 s10, s26, s8
	v_add3_u32 v1, v1, v2, v7
	s_add_i32 s11, s10, s9
	s_mul_i32 s10, s26, s8
	v_lshlrev_b64 v[0:1], 3, v[0:1]
	s_lshl_b64 s[10:11], s[10:11], 3
	v_mov_b32_e32 v2, s11
	v_add_co_u32_e32 v0, vcc, s10, v0
	v_addc_co_u32_e32 v1, vcc, v1, v2, vcc
	v_add_co_u32_e32 v0, vcc, v0, v4
	v_addc_co_u32_e32 v1, vcc, 0, v1, vcc
	v_mov_b32_e32 v2, s23
	v_add_co_u32_e32 v32, vcc, s22, v0
	v_addc_co_u32_e32 v33, vcc, v2, v1, vcc
	v_mov_b32_e32 v0, s1
	v_add_co_u32_e32 v1, vcc, s0, v5
	v_addc_co_u32_e32 v0, vcc, 0, v0, vcc
	v_mul_lo_u32 v2, s19, v1
	v_mul_lo_u32 v3, s18, v0
	v_mad_u64_u32 v[0:1], s[10:11], s18, v1, 0
	s_mul_i32 s9, s21, s8
	s_mul_hi_u32 s10, s20, s8
	v_add3_u32 v1, v1, v3, v2
	s_add_i32 s11, s10, s9
	s_mul_i32 s10, s20, s8
	v_lshlrev_b64 v[0:1], 3, v[0:1]
	s_lshl_b64 s[10:11], s[10:11], 3
	v_mov_b32_e32 v2, s11
	v_add_co_u32_e32 v0, vcc, s10, v0
	v_addc_co_u32_e32 v1, vcc, v1, v2, vcc
	v_lshlrev_b32_e32 v2, 3, v6
	v_add_co_u32_e32 v0, vcc, v0, v2
	v_addc_co_u32_e32 v1, vcc, 0, v1, vcc
	v_mov_b32_e32 v2, s17
	v_add_co_u32_e32 v34, vcc, s16, v0
	v_lshlrev_b32_e32 v42, 3, v38
	v_addc_co_u32_e32 v35, vcc, v2, v1, vcc
	v_pk_mov_b32 v[0:1], 0, 0
	v_pk_mov_b32 v[36:37], s[12:13], s[12:13] op_sel:[0,1]
	v_pk_mov_b32 v[2:3], 0, 0
	v_pk_mov_b32 v[4:5], 0, 0
	;; [unrolled: 1-line block ×15, first 2 shown]
.LBB61_2:                               ; =>This Inner Loop Header: Depth=1
	global_load_dwordx2 v[44:45], v[34:35], off
	global_load_dwordx2 v[46:47], v[32:33], off
	v_add_co_u32_e32 v32, vcc, 32, v32
	v_addc_co_u32_e32 v33, vcc, 0, v33, vcc
	s_add_u32 s6, s6, 4
	v_add_co_u32_e32 v34, vcc, 32, v34
	v_addc_co_u32_e32 v35, vcc, 0, v35, vcc
	s_addc_u32 s7, s7, 0
	v_cmp_lt_i64_e32 vcc, s[6:7], v[36:37]
	s_and_b64 vcc, exec, vcc
	s_waitcnt vmcnt(1)
	ds_write_b64 v40, v[44:45]
	s_waitcnt vmcnt(0)
	ds_write_b64 v41, v[46:47]
	s_waitcnt lgkmcnt(0)
	s_barrier
	ds_read2_b64 v[44:47], v42 offset1:16
	ds_read_b128 v[48:51], v43
	ds_read_b128 v[52:55], v43 offset:16
	ds_read_b128 v[56:59], v43 offset:512
	;; [unrolled: 1-line block ×7, first 2 shown]
	s_waitcnt lgkmcnt(7)
	v_fmac_f64_e32 v[30:31], v[44:45], v[48:49]
	v_fmac_f64_e32 v[28:29], v[46:47], v[48:49]
	s_waitcnt lgkmcnt(5)
	v_fmac_f64_e32 v[22:23], v[44:45], v[56:57]
	v_fmac_f64_e32 v[20:21], v[46:47], v[56:57]
	;; [unrolled: 3-line block ×4, first 2 shown]
	ds_read2_b64 v[44:47], v42 offset0:32 offset1:48
	ds_read2_b64 v[80:83], v42 offset0:96 offset1:112
	s_waitcnt lgkmcnt(1)
	v_fmac_f64_e32 v[26:27], v[44:45], v[48:49]
	v_fmac_f64_e32 v[24:25], v[46:47], v[48:49]
	;; [unrolled: 1-line block ×8, first 2 shown]
	ds_read2_b64 v[44:47], v42 offset0:64 offset1:80
	s_waitcnt lgkmcnt(1)
	v_fmac_f64_e32 v[26:27], v[80:81], v[50:51]
	v_fmac_f64_e32 v[24:25], v[82:83], v[50:51]
	;; [unrolled: 1-line block ×4, first 2 shown]
	s_waitcnt lgkmcnt(0)
	v_fmac_f64_e32 v[30:31], v[44:45], v[50:51]
	v_fmac_f64_e32 v[28:29], v[46:47], v[50:51]
	;; [unrolled: 1-line block ×8, first 2 shown]
	ds_read2_b64 v[44:47], v42 offset0:128 offset1:144
	ds_read2_b64 v[48:51], v42 offset0:160 offset1:176
	v_fmac_f64_e32 v[10:11], v[80:81], v[66:67]
	v_fmac_f64_e32 v[8:9], v[82:83], v[66:67]
	;; [unrolled: 1-line block ×4, first 2 shown]
	s_waitcnt lgkmcnt(1)
	v_fmac_f64_e32 v[30:31], v[44:45], v[52:53]
	v_fmac_f64_e32 v[28:29], v[46:47], v[52:53]
	;; [unrolled: 1-line block ×8, first 2 shown]
	ds_read2_b64 v[44:47], v42 offset0:192 offset1:208
	s_waitcnt lgkmcnt(1)
	v_fmac_f64_e32 v[26:27], v[48:49], v[52:53]
	v_fmac_f64_e32 v[24:25], v[50:51], v[52:53]
	;; [unrolled: 1-line block ×8, first 2 shown]
	ds_read2_b64 v[48:51], v42 offset0:224 offset1:240
	s_waitcnt lgkmcnt(1)
	v_fmac_f64_e32 v[30:31], v[44:45], v[54:55]
	v_fmac_f64_e32 v[28:29], v[46:47], v[54:55]
	;; [unrolled: 1-line block ×4, first 2 shown]
	s_waitcnt lgkmcnt(0)
	v_fmac_f64_e32 v[26:27], v[48:49], v[54:55]
	v_fmac_f64_e32 v[24:25], v[50:51], v[54:55]
	;; [unrolled: 1-line block ×12, first 2 shown]
	s_barrier
	s_cbranch_vccnz .LBB61_2
	s_branch .LBB61_4
.LBB61_3:
	v_pk_mov_b32 v[30:31], 0, 0
	v_pk_mov_b32 v[28:29], 0, 0
	;; [unrolled: 1-line block ×16, first 2 shown]
.LBB61_4:
	s_load_dwordx8 s[24:31], s[4:5], 0x70
	s_load_dwordx8 s[16:23], s[4:5], 0x50
	v_mov_b32_e32 v32, s3
	v_add_co_u32_e32 v34, vcc, s2, v39
	s_waitcnt lgkmcnt(0)
	s_mul_i32 s3, s8, s29
	s_mul_hi_u32 s5, s8, s28
	s_mul_i32 s4, s8, s28
	s_add_i32 s5, s5, s3
	v_addc_co_u32_e32 v37, vcc, 0, v32, vcc
	s_lshl_b64 s[4:5], s[4:5], 3
	v_mov_b32_e32 v33, s1
	v_add_co_u32_e32 v32, vcc, s0, v38
	s_add_u32 s4, s24, s4
	v_cmp_neq_f64_e64 s[6:7], s[16:17], 0
	v_addc_co_u32_e32 v33, vcc, 0, v33, vcc
	s_addc_u32 s5, s25, s5
	s_mov_b64 s[2:3], 0
	s_and_b64 vcc, exec, s[6:7]
	v_mul_lo_u32 v35, v37, s26
	v_mul_lo_u32 v36, v34, s27
	v_lshlrev_b64 v[32:33], 3, v[32:33]
	s_cbranch_vccnz .LBB61_8
; %bb.5:
	v_mad_u64_u32 v[38:39], s[0:1], v34, s26, 0
	v_add3_u32 v39, v39, v36, v35
	v_lshlrev_b64 v[38:39], 3, v[38:39]
	v_mov_b32_e32 v40, s5
	v_add_co_u32_e32 v41, vcc, s4, v38
	v_addc_co_u32_e32 v42, vcc, v40, v39, vcc
	v_add_co_u32_e32 v40, vcc, v41, v32
	v_mul_f64 v[38:39], v[30:31], s[14:15]
	v_addc_co_u32_e32 v41, vcc, v42, v33, vcc
	global_store_dwordx2 v[40:41], v[38:39], off
	v_mul_f64 v[38:39], v[28:29], s[14:15]
	global_store_dwordx2 v[40:41], v[38:39], off offset:128
	v_mul_f64 v[38:39], v[26:27], s[14:15]
	global_store_dwordx2 v[40:41], v[38:39], off offset:256
	v_mul_f64 v[38:39], v[24:25], s[14:15]
	s_lshl_b64 s[0:1], s[26:27], 7
	global_store_dwordx2 v[40:41], v[38:39], off offset:384
	v_mov_b32_e32 v42, s1
	v_add_co_u32_e32 v40, vcc, s0, v40
	v_mul_f64 v[38:39], v[22:23], s[14:15]
	v_addc_co_u32_e32 v41, vcc, v41, v42, vcc
	global_store_dwordx2 v[40:41], v[38:39], off
	v_mul_f64 v[38:39], v[20:21], s[14:15]
	global_store_dwordx2 v[40:41], v[38:39], off offset:128
	v_mul_f64 v[38:39], v[18:19], s[14:15]
	global_store_dwordx2 v[40:41], v[38:39], off offset:256
	v_mul_f64 v[38:39], v[16:17], s[14:15]
	global_store_dwordx2 v[40:41], v[38:39], off offset:384
	v_add_co_u32_e32 v40, vcc, s0, v40
	v_mul_f64 v[38:39], v[14:15], s[14:15]
	v_addc_co_u32_e32 v41, vcc, v41, v42, vcc
	global_store_dwordx2 v[40:41], v[38:39], off
	v_mul_f64 v[38:39], v[12:13], s[14:15]
	global_store_dwordx2 v[40:41], v[38:39], off offset:128
	v_mul_f64 v[38:39], v[10:11], s[14:15]
	global_store_dwordx2 v[40:41], v[38:39], off offset:256
	v_mul_f64 v[38:39], v[8:9], s[14:15]
	global_store_dwordx2 v[40:41], v[38:39], off offset:384
	;; [unrolled: 10-line block ×3, first 2 shown]
	s_andn2_b64 vcc, exec, s[2:3]
	s_cbranch_vccnz .LBB61_7
.LBB61_6:
	s_mul_i32 s0, s8, s23
	s_mul_hi_u32 s1, s8, s22
	s_add_i32 s1, s1, s0
	s_mul_i32 s0, s8, s22
	s_lshl_b64 s[0:1], s[0:1], 3
	s_add_u32 s2, s18, s0
	s_addc_u32 s3, s19, s1
	v_mul_lo_u32 v37, v37, s20
	v_mul_lo_u32 v40, v34, s21
	v_mad_u64_u32 v[38:39], s[0:1], v34, s20, 0
	v_add3_u32 v39, v39, v40, v37
	v_lshlrev_b64 v[38:39], 3, v[38:39]
	v_mov_b32_e32 v37, s3
	v_add_co_u32_e32 v38, vcc, s2, v38
	v_addc_co_u32_e32 v37, vcc, v37, v39, vcc
	v_add_co_u32_e32 v38, vcc, v38, v32
	v_addc_co_u32_e32 v39, vcc, v37, v33, vcc
	global_load_dwordx2 v[40:41], v[38:39], off
	v_mad_u64_u32 v[42:43], s[0:1], v34, s26, 0
	v_add3_u32 v43, v43, v36, v35
	v_lshlrev_b64 v[34:35], 3, v[42:43]
	v_mov_b32_e32 v37, s5
	v_add_co_u32_e32 v34, vcc, s4, v34
	v_addc_co_u32_e32 v35, vcc, v37, v35, vcc
	v_add_co_u32_e32 v32, vcc, v34, v32
	v_addc_co_u32_e32 v33, vcc, v35, v33, vcc
	s_lshl_b64 s[0:1], s[20:21], 7
	s_lshl_b64 s[2:3], s[26:27], 7
	s_waitcnt vmcnt(0)
	v_mul_f64 v[34:35], v[40:41], s[16:17]
	v_fmac_f64_e32 v[34:35], s[14:15], v[30:31]
	global_store_dwordx2 v[32:33], v[34:35], off
	global_load_dwordx2 v[30:31], v[38:39], off offset:128
	s_waitcnt vmcnt(0)
	v_mul_f64 v[30:31], v[30:31], s[16:17]
	v_fmac_f64_e32 v[30:31], s[14:15], v[28:29]
	global_store_dwordx2 v[32:33], v[30:31], off offset:128
	global_load_dwordx2 v[28:29], v[38:39], off offset:256
	v_mov_b32_e32 v30, s1
	v_mov_b32_e32 v31, s3
	s_waitcnt vmcnt(0)
	v_mul_f64 v[28:29], v[28:29], s[16:17]
	v_fmac_f64_e32 v[28:29], s[14:15], v[26:27]
	global_store_dwordx2 v[32:33], v[28:29], off offset:256
	global_load_dwordx2 v[26:27], v[38:39], off offset:384
	v_add_co_u32_e32 v28, vcc, s0, v38
	v_addc_co_u32_e32 v29, vcc, v39, v30, vcc
	s_waitcnt vmcnt(0)
	v_mul_f64 v[26:27], v[26:27], s[16:17]
	v_fmac_f64_e32 v[26:27], s[14:15], v[24:25]
	global_store_dwordx2 v[32:33], v[26:27], off offset:384
	global_load_dwordx2 v[24:25], v[28:29], off
	v_add_co_u32_e32 v26, vcc, s2, v32
	v_addc_co_u32_e32 v27, vcc, v33, v31, vcc
	s_waitcnt vmcnt(0)
	v_mul_f64 v[24:25], v[24:25], s[16:17]
	v_fmac_f64_e32 v[24:25], s[14:15], v[22:23]
	global_store_dwordx2 v[26:27], v[24:25], off
	global_load_dwordx2 v[22:23], v[28:29], off offset:128
	s_waitcnt vmcnt(0)
	v_mul_f64 v[22:23], v[22:23], s[16:17]
	v_fmac_f64_e32 v[22:23], s[14:15], v[20:21]
	global_store_dwordx2 v[26:27], v[22:23], off offset:128
	global_load_dwordx2 v[20:21], v[28:29], off offset:256
	s_waitcnt vmcnt(0)
	v_mul_f64 v[20:21], v[20:21], s[16:17]
	v_fmac_f64_e32 v[20:21], s[14:15], v[18:19]
	global_store_dwordx2 v[26:27], v[20:21], off offset:256
	global_load_dwordx2 v[18:19], v[28:29], off offset:384
	v_add_co_u32_e32 v20, vcc, s0, v28
	v_addc_co_u32_e32 v21, vcc, v29, v30, vcc
	s_waitcnt vmcnt(0)
	v_mul_f64 v[18:19], v[18:19], s[16:17]
	v_fmac_f64_e32 v[18:19], s[14:15], v[16:17]
	global_store_dwordx2 v[26:27], v[18:19], off offset:384
	global_load_dwordx2 v[16:17], v[20:21], off
	v_add_co_u32_e32 v18, vcc, s2, v26
	v_addc_co_u32_e32 v19, vcc, v27, v31, vcc
	s_waitcnt vmcnt(0)
	v_mul_f64 v[16:17], v[16:17], s[16:17]
	v_fmac_f64_e32 v[16:17], s[14:15], v[14:15]
	global_store_dwordx2 v[18:19], v[16:17], off
	global_load_dwordx2 v[14:15], v[20:21], off offset:128
	s_waitcnt vmcnt(0)
	v_mul_f64 v[14:15], v[14:15], s[16:17]
	v_fmac_f64_e32 v[14:15], s[14:15], v[12:13]
	global_store_dwordx2 v[18:19], v[14:15], off offset:128
	global_load_dwordx2 v[12:13], v[20:21], off offset:256
	s_waitcnt vmcnt(0)
	v_mul_f64 v[12:13], v[12:13], s[16:17]
	v_fmac_f64_e32 v[12:13], s[14:15], v[10:11]
	global_store_dwordx2 v[18:19], v[12:13], off offset:256
	global_load_dwordx2 v[10:11], v[20:21], off offset:384
	v_add_co_u32_e32 v12, vcc, s0, v20
	v_addc_co_u32_e32 v13, vcc, v21, v30, vcc
	s_waitcnt vmcnt(0)
	v_mul_f64 v[10:11], v[10:11], s[16:17]
	v_fmac_f64_e32 v[10:11], s[14:15], v[8:9]
	global_store_dwordx2 v[18:19], v[10:11], off offset:384
	global_load_dwordx2 v[8:9], v[12:13], off
	s_waitcnt vmcnt(0)
	v_mul_f64 v[8:9], v[8:9], s[16:17]
	v_fmac_f64_e32 v[8:9], s[14:15], v[6:7]
	v_add_co_u32_e32 v6, vcc, s2, v18
	v_addc_co_u32_e32 v7, vcc, v19, v31, vcc
	global_store_dwordx2 v[6:7], v[8:9], off
	global_load_dwordx2 v[8:9], v[12:13], off offset:128
	s_waitcnt vmcnt(0)
	v_mul_f64 v[8:9], v[8:9], s[16:17]
	v_fmac_f64_e32 v[8:9], s[14:15], v[4:5]
	global_store_dwordx2 v[6:7], v[8:9], off offset:128
	global_load_dwordx2 v[4:5], v[12:13], off offset:256
	s_waitcnt vmcnt(0)
	v_mul_f64 v[4:5], v[4:5], s[16:17]
	v_fmac_f64_e32 v[4:5], s[14:15], v[2:3]
	global_store_dwordx2 v[6:7], v[4:5], off offset:256
	;; [unrolled: 5-line block ×3, first 2 shown]
.LBB61_7:
	s_endpgm
.LBB61_8:
	s_branch .LBB61_6
	.section	.rodata,"a",@progbits
	.p2align	6, 0x0
	.amdhsa_kernel _ZN12_GLOBAL__N_127rocblas_gemm_batched_kernelIdLi16ELi16ELi64ELi64ELi4ELi64ELi4ELi4ELi64ELc84ELc78EKdS1_dEEvlllT_PT11_llS4_llS2_PT12_llPT13_lli
		.amdhsa_group_segment_fixed_size 4096
		.amdhsa_private_segment_fixed_size 0
		.amdhsa_kernarg_size 140
		.amdhsa_user_sgpr_count 6
		.amdhsa_user_sgpr_private_segment_buffer 1
		.amdhsa_user_sgpr_dispatch_ptr 0
		.amdhsa_user_sgpr_queue_ptr 0
		.amdhsa_user_sgpr_kernarg_segment_ptr 1
		.amdhsa_user_sgpr_dispatch_id 0
		.amdhsa_user_sgpr_flat_scratch_init 0
		.amdhsa_user_sgpr_kernarg_preload_length 0
		.amdhsa_user_sgpr_kernarg_preload_offset 0
		.amdhsa_user_sgpr_private_segment_size 0
		.amdhsa_uses_dynamic_stack 0
		.amdhsa_system_sgpr_private_segment_wavefront_offset 0
		.amdhsa_system_sgpr_workgroup_id_x 1
		.amdhsa_system_sgpr_workgroup_id_y 1
		.amdhsa_system_sgpr_workgroup_id_z 1
		.amdhsa_system_sgpr_workgroup_info 0
		.amdhsa_system_vgpr_workitem_id 1
		.amdhsa_next_free_vgpr 84
		.amdhsa_next_free_sgpr 32
		.amdhsa_accum_offset 84
		.amdhsa_reserve_vcc 1
		.amdhsa_reserve_flat_scratch 0
		.amdhsa_float_round_mode_32 0
		.amdhsa_float_round_mode_16_64 0
		.amdhsa_float_denorm_mode_32 3
		.amdhsa_float_denorm_mode_16_64 3
		.amdhsa_dx10_clamp 1
		.amdhsa_ieee_mode 1
		.amdhsa_fp16_overflow 0
		.amdhsa_tg_split 0
		.amdhsa_exception_fp_ieee_invalid_op 0
		.amdhsa_exception_fp_denorm_src 0
		.amdhsa_exception_fp_ieee_div_zero 0
		.amdhsa_exception_fp_ieee_overflow 0
		.amdhsa_exception_fp_ieee_underflow 0
		.amdhsa_exception_fp_ieee_inexact 0
		.amdhsa_exception_int_div_zero 0
	.end_amdhsa_kernel
	.section	.text._ZN12_GLOBAL__N_127rocblas_gemm_batched_kernelIdLi16ELi16ELi64ELi64ELi4ELi64ELi4ELi4ELi64ELc84ELc78EKdS1_dEEvlllT_PT11_llS4_llS2_PT12_llPT13_lli,"axG",@progbits,_ZN12_GLOBAL__N_127rocblas_gemm_batched_kernelIdLi16ELi16ELi64ELi64ELi4ELi64ELi4ELi4ELi64ELc84ELc78EKdS1_dEEvlllT_PT11_llS4_llS2_PT12_llPT13_lli,comdat
.Lfunc_end61:
	.size	_ZN12_GLOBAL__N_127rocblas_gemm_batched_kernelIdLi16ELi16ELi64ELi64ELi4ELi64ELi4ELi4ELi64ELc84ELc78EKdS1_dEEvlllT_PT11_llS4_llS2_PT12_llPT13_lli, .Lfunc_end61-_ZN12_GLOBAL__N_127rocblas_gemm_batched_kernelIdLi16ELi16ELi64ELi64ELi4ELi64ELi4ELi4ELi64ELc84ELc78EKdS1_dEEvlllT_PT11_llS4_llS2_PT12_llPT13_lli
                                        ; -- End function
	.section	.AMDGPU.csdata,"",@progbits
; Kernel info:
; codeLenInByte = 2312
; NumSgprs: 36
; NumVgprs: 84
; NumAgprs: 0
; TotalNumVgprs: 84
; ScratchSize: 0
; MemoryBound: 0
; FloatMode: 240
; IeeeMode: 1
; LDSByteSize: 4096 bytes/workgroup (compile time only)
; SGPRBlocks: 4
; VGPRBlocks: 10
; NumSGPRsForWavesPerEU: 36
; NumVGPRsForWavesPerEU: 84
; AccumOffset: 84
; Occupancy: 5
; WaveLimiterHint : 1
; COMPUTE_PGM_RSRC2:SCRATCH_EN: 0
; COMPUTE_PGM_RSRC2:USER_SGPR: 6
; COMPUTE_PGM_RSRC2:TRAP_HANDLER: 0
; COMPUTE_PGM_RSRC2:TGID_X_EN: 1
; COMPUTE_PGM_RSRC2:TGID_Y_EN: 1
; COMPUTE_PGM_RSRC2:TGID_Z_EN: 1
; COMPUTE_PGM_RSRC2:TIDIG_COMP_CNT: 1
; COMPUTE_PGM_RSRC3_GFX90A:ACCUM_OFFSET: 20
; COMPUTE_PGM_RSRC3_GFX90A:TG_SPLIT: 0
	.section	.text._ZN12_GLOBAL__N_127rocblas_gemm_batched_kernelIdLi16ELi16ELi64ELi64ELi4ELi64ELi4ELi4ELi64ELc78ELc84EKdS1_dEEvlllT_PT11_llS4_llS2_PT12_llPT13_lli,"axG",@progbits,_ZN12_GLOBAL__N_127rocblas_gemm_batched_kernelIdLi16ELi16ELi64ELi64ELi4ELi64ELi4ELi4ELi64ELc78ELc84EKdS1_dEEvlllT_PT11_llS4_llS2_PT12_llPT13_lli,comdat
	.globl	_ZN12_GLOBAL__N_127rocblas_gemm_batched_kernelIdLi16ELi16ELi64ELi64ELi4ELi64ELi4ELi4ELi64ELc78ELc84EKdS1_dEEvlllT_PT11_llS4_llS2_PT12_llPT13_lli ; -- Begin function _ZN12_GLOBAL__N_127rocblas_gemm_batched_kernelIdLi16ELi16ELi64ELi64ELi4ELi64ELi4ELi4ELi64ELc78ELc84EKdS1_dEEvlllT_PT11_llS4_llS2_PT12_llPT13_lli
	.p2align	8
	.type	_ZN12_GLOBAL__N_127rocblas_gemm_batched_kernelIdLi16ELi16ELi64ELi64ELi4ELi64ELi4ELi4ELi64ELc78ELc84EKdS1_dEEvlllT_PT11_llS4_llS2_PT12_llPT13_lli,@function
_ZN12_GLOBAL__N_127rocblas_gemm_batched_kernelIdLi16ELi16ELi64ELi64ELi4ELi64ELi4ELi4ELi64ELc78ELc84EKdS1_dEEvlllT_PT11_llS4_llS2_PT12_llPT13_lli: ; @_ZN12_GLOBAL__N_127rocblas_gemm_batched_kernelIdLi16ELi16ELi64ELi64ELi4ELi64ELi4ELi4ELi64ELc78ELc84EKdS1_dEEvlllT_PT11_llS4_llS2_PT12_llPT13_lli
; %bb.0:
	s_load_dwordx16 s[12:27], s[4:5], 0x10
	s_mov_b32 s2, s7
	s_ashr_i32 s7, s6, 31
	s_ashr_i32 s3, s2, 31
	v_bfe_u32 v43, v0, 10, 10
	s_waitcnt lgkmcnt(0)
	v_cmp_lt_i64_e64 s[10:11], s[12:13], 1
	v_and_b32_e32 v42, 0x3ff, v0
	s_lshl_b64 s[0:1], s[6:7], 6
	s_lshl_b64 s[2:3], s[2:3], 6
	s_mov_b64 s[6:7], 0
	s_and_b64 vcc, exec, s[10:11]
	s_cbranch_vccnz .LBB62_3
; %bb.1:
	v_lshl_add_u32 v2, v43, 4, v42
	v_and_b32_e32 v4, 63, v2
	v_lshrrev_b32_e32 v0, 2, v2
	v_and_b32_e32 v3, 3, v42
	v_lshrrev_b32_e32 v5, 6, v2
	v_lshlrev_b32_e32 v2, 3, v4
	v_lshl_or_b32 v44, v5, 9, v2
	v_lshlrev_b32_e32 v2, 3, v3
	v_mov_b32_e32 v1, 0
	v_lshl_or_b32 v2, v0, 5, v2
	s_mul_i32 s9, s27, s8
	s_mul_hi_u32 s10, s26, s8
	v_add_u32_e32 v45, 0x800, v2
	v_mov_b32_e32 v2, 0x800
	s_add_i32 s11, s10, s9
	s_mul_i32 s10, s26, s8
	v_mad_u64_u32 v[0:1], s[26:27], v3, s24, v[0:1]
	v_lshl_add_u32 v47, v43, 5, v2
	v_mov_b32_e32 v2, v1
	v_mad_u64_u32 v[2:3], s[26:27], v3, s25, v[2:3]
	s_lshl_b64 s[10:11], s[10:11], 3
	v_mov_b32_e32 v1, v2
	v_mov_b32_e32 v2, s3
	v_add_co_u32_e32 v0, vcc, s2, v0
	v_addc_co_u32_e32 v1, vcc, v1, v2, vcc
	s_add_u32 s9, s22, s10
	v_lshlrev_b64 v[0:1], 3, v[0:1]
	s_addc_u32 s10, s23, s11
	v_mov_b32_e32 v2, s10
	v_add_co_u32_e32 v32, vcc, s9, v0
	v_addc_co_u32_e32 v33, vcc, v2, v1, vcc
	v_pk_mov_b32 v[0:1], s[0:1], s[0:1] op_sel:[0,1]
	v_mad_u64_u32 v[0:1], s[22:23], v5, s18, v[0:1]
	s_mul_i32 s9, s21, s8
	s_mul_hi_u32 s21, s20, s8
	v_mov_b32_e32 v2, v1
	s_add_i32 s21, s21, s9
	s_mul_i32 s20, s20, s8
	v_mad_u64_u32 v[2:3], s[22:23], v5, s19, v[2:3]
	s_lshl_b64 s[10:11], s[24:25], 5
	s_lshl_b64 s[20:21], s[20:21], 3
	v_mov_b32_e32 v1, v2
	v_add_co_u32_e32 v0, vcc, v0, v4
	v_addc_co_u32_e32 v1, vcc, 0, v1, vcc
	s_add_u32 s9, s16, s20
	v_lshlrev_b64 v[0:1], 3, v[0:1]
	s_addc_u32 s16, s17, s21
	v_mov_b32_e32 v2, s16
	v_add_co_u32_e32 v34, vcc, s9, v0
	s_lshl_b64 s[16:17], s[18:19], 5
	v_lshlrev_b32_e32 v46, 3, v42
	v_addc_co_u32_e32 v35, vcc, v2, v1, vcc
	v_pk_mov_b32 v[0:1], 0, 0
	v_mov_b32_e32 v48, s11
	v_mov_b32_e32 v49, s17
	v_pk_mov_b32 v[36:37], s[12:13], s[12:13] op_sel:[0,1]
	v_pk_mov_b32 v[2:3], 0, 0
	v_pk_mov_b32 v[4:5], 0, 0
	;; [unrolled: 1-line block ×15, first 2 shown]
.LBB62_2:                               ; =>This Inner Loop Header: Depth=1
	global_load_dwordx2 v[38:39], v[34:35], off
	global_load_dwordx2 v[40:41], v[32:33], off
	v_add_co_u32_e32 v32, vcc, s10, v32
	v_addc_co_u32_e32 v33, vcc, v33, v48, vcc
	s_add_u32 s6, s6, 4
	v_add_co_u32_e32 v34, vcc, s16, v34
	v_addc_co_u32_e32 v35, vcc, v35, v49, vcc
	s_addc_u32 s7, s7, 0
	v_cmp_lt_i64_e32 vcc, s[6:7], v[36:37]
	s_and_b64 vcc, exec, vcc
	s_waitcnt vmcnt(1)
	ds_write_b64 v44, v[38:39]
	s_waitcnt vmcnt(0)
	ds_write_b64 v45, v[40:41]
	s_waitcnt lgkmcnt(0)
	s_barrier
	ds_read2_b64 v[38:41], v46 offset1:16
	ds_read_b128 v[50:53], v47
	ds_read_b128 v[54:57], v47 offset:16
	ds_read_b128 v[58:61], v47 offset:512
	;; [unrolled: 1-line block ×6, first 2 shown]
	s_waitcnt lgkmcnt(6)
	v_fmac_f64_e32 v[30:31], v[38:39], v[50:51]
	v_fmac_f64_e32 v[28:29], v[40:41], v[50:51]
	s_waitcnt lgkmcnt(4)
	v_fmac_f64_e32 v[22:23], v[38:39], v[58:59]
	v_fmac_f64_e32 v[20:21], v[40:41], v[58:59]
	;; [unrolled: 3-line block ×4, first 2 shown]
	ds_read2_b64 v[38:41], v46 offset0:32 offset1:48
	ds_read2_b64 v[82:85], v46 offset0:96 offset1:112
	ds_read_b128 v[78:81], v47 offset:1552
	s_waitcnt lgkmcnt(2)
	v_fmac_f64_e32 v[26:27], v[38:39], v[50:51]
	v_fmac_f64_e32 v[24:25], v[40:41], v[50:51]
	;; [unrolled: 1-line block ×8, first 2 shown]
	ds_read2_b64 v[38:41], v46 offset0:64 offset1:80
	s_waitcnt lgkmcnt(2)
	v_fmac_f64_e32 v[26:27], v[82:83], v[52:53]
	v_fmac_f64_e32 v[24:25], v[84:85], v[52:53]
	;; [unrolled: 1-line block ×4, first 2 shown]
	s_waitcnt lgkmcnt(0)
	v_fmac_f64_e32 v[30:31], v[38:39], v[52:53]
	v_fmac_f64_e32 v[28:29], v[40:41], v[52:53]
	;; [unrolled: 1-line block ×6, first 2 shown]
	ds_read2_b64 v[50:53], v46 offset0:128 offset1:144
	v_fmac_f64_e32 v[6:7], v[38:39], v[76:77]
	v_fmac_f64_e32 v[4:5], v[40:41], v[76:77]
	ds_read2_b64 v[38:41], v46 offset0:160 offset1:176
	v_fmac_f64_e32 v[10:11], v[82:83], v[68:69]
	v_fmac_f64_e32 v[8:9], v[84:85], v[68:69]
	ds_read2_b64 v[58:61], v46 offset0:192 offset1:208
	ds_read2_b64 v[66:69], v46 offset0:224 offset1:240
	v_fmac_f64_e32 v[2:3], v[82:83], v[76:77]
	v_fmac_f64_e32 v[0:1], v[84:85], v[76:77]
	s_waitcnt lgkmcnt(3)
	v_fmac_f64_e32 v[30:31], v[50:51], v[54:55]
	v_fmac_f64_e32 v[28:29], v[52:53], v[54:55]
	;; [unrolled: 1-line block ×8, first 2 shown]
	s_waitcnt lgkmcnt(2)
	v_fmac_f64_e32 v[26:27], v[38:39], v[54:55]
	v_fmac_f64_e32 v[24:25], v[40:41], v[54:55]
	v_fmac_f64_e32 v[18:19], v[38:39], v[62:63]
	v_fmac_f64_e32 v[16:17], v[40:41], v[62:63]
	v_fmac_f64_e32 v[10:11], v[38:39], v[70:71]
	v_fmac_f64_e32 v[8:9], v[40:41], v[70:71]
	v_fmac_f64_e32 v[2:3], v[38:39], v[78:79]
	v_fmac_f64_e32 v[0:1], v[40:41], v[78:79]
	s_waitcnt lgkmcnt(1)
	v_fmac_f64_e32 v[30:31], v[58:59], v[56:57]
	v_fmac_f64_e32 v[28:29], v[60:61], v[56:57]
	s_waitcnt lgkmcnt(0)
	v_fmac_f64_e32 v[26:27], v[66:67], v[56:57]
	v_fmac_f64_e32 v[24:25], v[68:69], v[56:57]
	;; [unrolled: 1-line block ×14, first 2 shown]
	s_barrier
	s_cbranch_vccnz .LBB62_2
	s_branch .LBB62_4
.LBB62_3:
	v_pk_mov_b32 v[30:31], 0, 0
	v_pk_mov_b32 v[28:29], 0, 0
	;; [unrolled: 1-line block ×16, first 2 shown]
.LBB62_4:
	s_load_dwordx8 s[24:31], s[4:5], 0x70
	s_load_dwordx8 s[16:23], s[4:5], 0x50
	v_mov_b32_e32 v32, s3
	v_add_co_u32_e32 v34, vcc, s2, v43
	s_waitcnt lgkmcnt(0)
	s_mul_i32 s3, s8, s29
	s_mul_hi_u32 s5, s8, s28
	s_mul_i32 s4, s8, s28
	s_add_i32 s5, s5, s3
	v_addc_co_u32_e32 v37, vcc, 0, v32, vcc
	s_lshl_b64 s[4:5], s[4:5], 3
	v_mov_b32_e32 v33, s1
	v_add_co_u32_e32 v32, vcc, s0, v42
	s_add_u32 s4, s24, s4
	v_cmp_neq_f64_e64 s[6:7], s[16:17], 0
	v_addc_co_u32_e32 v33, vcc, 0, v33, vcc
	s_addc_u32 s5, s25, s5
	s_mov_b64 s[2:3], 0
	s_and_b64 vcc, exec, s[6:7]
	v_mul_lo_u32 v35, v37, s26
	v_mul_lo_u32 v36, v34, s27
	v_lshlrev_b64 v[32:33], 3, v[32:33]
	s_cbranch_vccnz .LBB62_8
; %bb.5:
	v_mad_u64_u32 v[38:39], s[0:1], v34, s26, 0
	v_add3_u32 v39, v39, v36, v35
	v_lshlrev_b64 v[38:39], 3, v[38:39]
	v_mov_b32_e32 v40, s5
	v_add_co_u32_e32 v41, vcc, s4, v38
	v_addc_co_u32_e32 v42, vcc, v40, v39, vcc
	v_add_co_u32_e32 v40, vcc, v41, v32
	v_mul_f64 v[38:39], v[30:31], s[14:15]
	v_addc_co_u32_e32 v41, vcc, v42, v33, vcc
	global_store_dwordx2 v[40:41], v[38:39], off
	v_mul_f64 v[38:39], v[28:29], s[14:15]
	global_store_dwordx2 v[40:41], v[38:39], off offset:128
	v_mul_f64 v[38:39], v[26:27], s[14:15]
	global_store_dwordx2 v[40:41], v[38:39], off offset:256
	v_mul_f64 v[38:39], v[24:25], s[14:15]
	s_lshl_b64 s[0:1], s[26:27], 7
	global_store_dwordx2 v[40:41], v[38:39], off offset:384
	v_mov_b32_e32 v42, s1
	v_add_co_u32_e32 v40, vcc, s0, v40
	v_mul_f64 v[38:39], v[22:23], s[14:15]
	v_addc_co_u32_e32 v41, vcc, v41, v42, vcc
	global_store_dwordx2 v[40:41], v[38:39], off
	v_mul_f64 v[38:39], v[20:21], s[14:15]
	global_store_dwordx2 v[40:41], v[38:39], off offset:128
	v_mul_f64 v[38:39], v[18:19], s[14:15]
	global_store_dwordx2 v[40:41], v[38:39], off offset:256
	v_mul_f64 v[38:39], v[16:17], s[14:15]
	global_store_dwordx2 v[40:41], v[38:39], off offset:384
	v_add_co_u32_e32 v40, vcc, s0, v40
	v_mul_f64 v[38:39], v[14:15], s[14:15]
	v_addc_co_u32_e32 v41, vcc, v41, v42, vcc
	global_store_dwordx2 v[40:41], v[38:39], off
	v_mul_f64 v[38:39], v[12:13], s[14:15]
	global_store_dwordx2 v[40:41], v[38:39], off offset:128
	v_mul_f64 v[38:39], v[10:11], s[14:15]
	global_store_dwordx2 v[40:41], v[38:39], off offset:256
	v_mul_f64 v[38:39], v[8:9], s[14:15]
	global_store_dwordx2 v[40:41], v[38:39], off offset:384
	;; [unrolled: 10-line block ×3, first 2 shown]
	s_andn2_b64 vcc, exec, s[2:3]
	s_cbranch_vccnz .LBB62_7
.LBB62_6:
	s_mul_i32 s0, s8, s23
	s_mul_hi_u32 s1, s8, s22
	s_add_i32 s1, s1, s0
	s_mul_i32 s0, s8, s22
	s_lshl_b64 s[0:1], s[0:1], 3
	s_add_u32 s2, s18, s0
	s_addc_u32 s3, s19, s1
	v_mul_lo_u32 v37, v37, s20
	v_mul_lo_u32 v40, v34, s21
	v_mad_u64_u32 v[38:39], s[0:1], v34, s20, 0
	v_add3_u32 v39, v39, v40, v37
	v_lshlrev_b64 v[38:39], 3, v[38:39]
	v_mov_b32_e32 v37, s3
	v_add_co_u32_e32 v38, vcc, s2, v38
	v_addc_co_u32_e32 v37, vcc, v37, v39, vcc
	v_add_co_u32_e32 v38, vcc, v38, v32
	v_addc_co_u32_e32 v39, vcc, v37, v33, vcc
	global_load_dwordx2 v[40:41], v[38:39], off
	v_mad_u64_u32 v[42:43], s[0:1], v34, s26, 0
	v_add3_u32 v43, v43, v36, v35
	v_lshlrev_b64 v[34:35], 3, v[42:43]
	v_mov_b32_e32 v37, s5
	v_add_co_u32_e32 v34, vcc, s4, v34
	v_addc_co_u32_e32 v35, vcc, v37, v35, vcc
	v_add_co_u32_e32 v32, vcc, v34, v32
	v_addc_co_u32_e32 v33, vcc, v35, v33, vcc
	s_lshl_b64 s[0:1], s[20:21], 7
	s_lshl_b64 s[2:3], s[26:27], 7
	s_waitcnt vmcnt(0)
	v_mul_f64 v[34:35], v[40:41], s[16:17]
	v_fmac_f64_e32 v[34:35], s[14:15], v[30:31]
	global_store_dwordx2 v[32:33], v[34:35], off
	global_load_dwordx2 v[30:31], v[38:39], off offset:128
	s_waitcnt vmcnt(0)
	v_mul_f64 v[30:31], v[30:31], s[16:17]
	v_fmac_f64_e32 v[30:31], s[14:15], v[28:29]
	global_store_dwordx2 v[32:33], v[30:31], off offset:128
	global_load_dwordx2 v[28:29], v[38:39], off offset:256
	v_mov_b32_e32 v30, s1
	v_mov_b32_e32 v31, s3
	s_waitcnt vmcnt(0)
	v_mul_f64 v[28:29], v[28:29], s[16:17]
	v_fmac_f64_e32 v[28:29], s[14:15], v[26:27]
	global_store_dwordx2 v[32:33], v[28:29], off offset:256
	global_load_dwordx2 v[26:27], v[38:39], off offset:384
	v_add_co_u32_e32 v28, vcc, s0, v38
	v_addc_co_u32_e32 v29, vcc, v39, v30, vcc
	s_waitcnt vmcnt(0)
	v_mul_f64 v[26:27], v[26:27], s[16:17]
	v_fmac_f64_e32 v[26:27], s[14:15], v[24:25]
	global_store_dwordx2 v[32:33], v[26:27], off offset:384
	global_load_dwordx2 v[24:25], v[28:29], off
	v_add_co_u32_e32 v26, vcc, s2, v32
	v_addc_co_u32_e32 v27, vcc, v33, v31, vcc
	s_waitcnt vmcnt(0)
	v_mul_f64 v[24:25], v[24:25], s[16:17]
	v_fmac_f64_e32 v[24:25], s[14:15], v[22:23]
	global_store_dwordx2 v[26:27], v[24:25], off
	global_load_dwordx2 v[22:23], v[28:29], off offset:128
	s_waitcnt vmcnt(0)
	v_mul_f64 v[22:23], v[22:23], s[16:17]
	v_fmac_f64_e32 v[22:23], s[14:15], v[20:21]
	global_store_dwordx2 v[26:27], v[22:23], off offset:128
	global_load_dwordx2 v[20:21], v[28:29], off offset:256
	s_waitcnt vmcnt(0)
	v_mul_f64 v[20:21], v[20:21], s[16:17]
	v_fmac_f64_e32 v[20:21], s[14:15], v[18:19]
	global_store_dwordx2 v[26:27], v[20:21], off offset:256
	global_load_dwordx2 v[18:19], v[28:29], off offset:384
	v_add_co_u32_e32 v20, vcc, s0, v28
	v_addc_co_u32_e32 v21, vcc, v29, v30, vcc
	s_waitcnt vmcnt(0)
	v_mul_f64 v[18:19], v[18:19], s[16:17]
	v_fmac_f64_e32 v[18:19], s[14:15], v[16:17]
	global_store_dwordx2 v[26:27], v[18:19], off offset:384
	global_load_dwordx2 v[16:17], v[20:21], off
	v_add_co_u32_e32 v18, vcc, s2, v26
	v_addc_co_u32_e32 v19, vcc, v27, v31, vcc
	s_waitcnt vmcnt(0)
	v_mul_f64 v[16:17], v[16:17], s[16:17]
	v_fmac_f64_e32 v[16:17], s[14:15], v[14:15]
	global_store_dwordx2 v[18:19], v[16:17], off
	global_load_dwordx2 v[14:15], v[20:21], off offset:128
	s_waitcnt vmcnt(0)
	v_mul_f64 v[14:15], v[14:15], s[16:17]
	v_fmac_f64_e32 v[14:15], s[14:15], v[12:13]
	global_store_dwordx2 v[18:19], v[14:15], off offset:128
	global_load_dwordx2 v[12:13], v[20:21], off offset:256
	s_waitcnt vmcnt(0)
	v_mul_f64 v[12:13], v[12:13], s[16:17]
	v_fmac_f64_e32 v[12:13], s[14:15], v[10:11]
	global_store_dwordx2 v[18:19], v[12:13], off offset:256
	global_load_dwordx2 v[10:11], v[20:21], off offset:384
	v_add_co_u32_e32 v12, vcc, s0, v20
	v_addc_co_u32_e32 v13, vcc, v21, v30, vcc
	s_waitcnt vmcnt(0)
	v_mul_f64 v[10:11], v[10:11], s[16:17]
	v_fmac_f64_e32 v[10:11], s[14:15], v[8:9]
	global_store_dwordx2 v[18:19], v[10:11], off offset:384
	global_load_dwordx2 v[8:9], v[12:13], off
	s_waitcnt vmcnt(0)
	v_mul_f64 v[8:9], v[8:9], s[16:17]
	v_fmac_f64_e32 v[8:9], s[14:15], v[6:7]
	v_add_co_u32_e32 v6, vcc, s2, v18
	v_addc_co_u32_e32 v7, vcc, v19, v31, vcc
	global_store_dwordx2 v[6:7], v[8:9], off
	global_load_dwordx2 v[8:9], v[12:13], off offset:128
	s_waitcnt vmcnt(0)
	v_mul_f64 v[8:9], v[8:9], s[16:17]
	v_fmac_f64_e32 v[8:9], s[14:15], v[4:5]
	global_store_dwordx2 v[6:7], v[8:9], off offset:128
	global_load_dwordx2 v[4:5], v[12:13], off offset:256
	s_waitcnt vmcnt(0)
	v_mul_f64 v[4:5], v[4:5], s[16:17]
	v_fmac_f64_e32 v[4:5], s[14:15], v[2:3]
	global_store_dwordx2 v[6:7], v[4:5], off offset:256
	;; [unrolled: 5-line block ×3, first 2 shown]
.LBB62_7:
	s_endpgm
.LBB62_8:
	s_branch .LBB62_6
	.section	.rodata,"a",@progbits
	.p2align	6, 0x0
	.amdhsa_kernel _ZN12_GLOBAL__N_127rocblas_gemm_batched_kernelIdLi16ELi16ELi64ELi64ELi4ELi64ELi4ELi4ELi64ELc78ELc84EKdS1_dEEvlllT_PT11_llS4_llS2_PT12_llPT13_lli
		.amdhsa_group_segment_fixed_size 4096
		.amdhsa_private_segment_fixed_size 0
		.amdhsa_kernarg_size 140
		.amdhsa_user_sgpr_count 6
		.amdhsa_user_sgpr_private_segment_buffer 1
		.amdhsa_user_sgpr_dispatch_ptr 0
		.amdhsa_user_sgpr_queue_ptr 0
		.amdhsa_user_sgpr_kernarg_segment_ptr 1
		.amdhsa_user_sgpr_dispatch_id 0
		.amdhsa_user_sgpr_flat_scratch_init 0
		.amdhsa_user_sgpr_kernarg_preload_length 0
		.amdhsa_user_sgpr_kernarg_preload_offset 0
		.amdhsa_user_sgpr_private_segment_size 0
		.amdhsa_uses_dynamic_stack 0
		.amdhsa_system_sgpr_private_segment_wavefront_offset 0
		.amdhsa_system_sgpr_workgroup_id_x 1
		.amdhsa_system_sgpr_workgroup_id_y 1
		.amdhsa_system_sgpr_workgroup_id_z 1
		.amdhsa_system_sgpr_workgroup_info 0
		.amdhsa_system_vgpr_workitem_id 1
		.amdhsa_next_free_vgpr 86
		.amdhsa_next_free_sgpr 32
		.amdhsa_accum_offset 88
		.amdhsa_reserve_vcc 1
		.amdhsa_reserve_flat_scratch 0
		.amdhsa_float_round_mode_32 0
		.amdhsa_float_round_mode_16_64 0
		.amdhsa_float_denorm_mode_32 3
		.amdhsa_float_denorm_mode_16_64 3
		.amdhsa_dx10_clamp 1
		.amdhsa_ieee_mode 1
		.amdhsa_fp16_overflow 0
		.amdhsa_tg_split 0
		.amdhsa_exception_fp_ieee_invalid_op 0
		.amdhsa_exception_fp_denorm_src 0
		.amdhsa_exception_fp_ieee_div_zero 0
		.amdhsa_exception_fp_ieee_overflow 0
		.amdhsa_exception_fp_ieee_underflow 0
		.amdhsa_exception_fp_ieee_inexact 0
		.amdhsa_exception_int_div_zero 0
	.end_amdhsa_kernel
	.section	.text._ZN12_GLOBAL__N_127rocblas_gemm_batched_kernelIdLi16ELi16ELi64ELi64ELi4ELi64ELi4ELi4ELi64ELc78ELc84EKdS1_dEEvlllT_PT11_llS4_llS2_PT12_llPT13_lli,"axG",@progbits,_ZN12_GLOBAL__N_127rocblas_gemm_batched_kernelIdLi16ELi16ELi64ELi64ELi4ELi64ELi4ELi4ELi64ELc78ELc84EKdS1_dEEvlllT_PT11_llS4_llS2_PT12_llPT13_lli,comdat
.Lfunc_end62:
	.size	_ZN12_GLOBAL__N_127rocblas_gemm_batched_kernelIdLi16ELi16ELi64ELi64ELi4ELi64ELi4ELi4ELi64ELc78ELc84EKdS1_dEEvlllT_PT11_llS4_llS2_PT12_llPT13_lli, .Lfunc_end62-_ZN12_GLOBAL__N_127rocblas_gemm_batched_kernelIdLi16ELi16ELi64ELi64ELi4ELi64ELi4ELi4ELi64ELc78ELc84EKdS1_dEEvlllT_PT11_llS4_llS2_PT12_llPT13_lli
                                        ; -- End function
	.section	.AMDGPU.csdata,"",@progbits
; Kernel info:
; codeLenInByte = 2292
; NumSgprs: 36
; NumVgprs: 86
; NumAgprs: 0
; TotalNumVgprs: 86
; ScratchSize: 0
; MemoryBound: 0
; FloatMode: 240
; IeeeMode: 1
; LDSByteSize: 4096 bytes/workgroup (compile time only)
; SGPRBlocks: 4
; VGPRBlocks: 10
; NumSGPRsForWavesPerEU: 36
; NumVGPRsForWavesPerEU: 86
; AccumOffset: 88
; Occupancy: 5
; WaveLimiterHint : 1
; COMPUTE_PGM_RSRC2:SCRATCH_EN: 0
; COMPUTE_PGM_RSRC2:USER_SGPR: 6
; COMPUTE_PGM_RSRC2:TRAP_HANDLER: 0
; COMPUTE_PGM_RSRC2:TGID_X_EN: 1
; COMPUTE_PGM_RSRC2:TGID_Y_EN: 1
; COMPUTE_PGM_RSRC2:TGID_Z_EN: 1
; COMPUTE_PGM_RSRC2:TIDIG_COMP_CNT: 1
; COMPUTE_PGM_RSRC3_GFX90A:ACCUM_OFFSET: 21
; COMPUTE_PGM_RSRC3_GFX90A:TG_SPLIT: 0
	.section	.text._ZN12_GLOBAL__N_127rocblas_gemm_batched_kernelIdLi16ELi16ELi64ELi64ELi4ELi64ELi4ELi4ELi64ELc84ELc84EKdS1_dEEvlllT_PT11_llS4_llS2_PT12_llPT13_lli,"axG",@progbits,_ZN12_GLOBAL__N_127rocblas_gemm_batched_kernelIdLi16ELi16ELi64ELi64ELi4ELi64ELi4ELi4ELi64ELc84ELc84EKdS1_dEEvlllT_PT11_llS4_llS2_PT12_llPT13_lli,comdat
	.globl	_ZN12_GLOBAL__N_127rocblas_gemm_batched_kernelIdLi16ELi16ELi64ELi64ELi4ELi64ELi4ELi4ELi64ELc84ELc84EKdS1_dEEvlllT_PT11_llS4_llS2_PT12_llPT13_lli ; -- Begin function _ZN12_GLOBAL__N_127rocblas_gemm_batched_kernelIdLi16ELi16ELi64ELi64ELi4ELi64ELi4ELi4ELi64ELc84ELc84EKdS1_dEEvlllT_PT11_llS4_llS2_PT12_llPT13_lli
	.p2align	8
	.type	_ZN12_GLOBAL__N_127rocblas_gemm_batched_kernelIdLi16ELi16ELi64ELi64ELi4ELi64ELi4ELi4ELi64ELc84ELc84EKdS1_dEEvlllT_PT11_llS4_llS2_PT12_llPT13_lli,@function
_ZN12_GLOBAL__N_127rocblas_gemm_batched_kernelIdLi16ELi16ELi64ELi64ELi4ELi64ELi4ELi4ELi64ELc84ELc84EKdS1_dEEvlllT_PT11_llS4_llS2_PT12_llPT13_lli: ; @_ZN12_GLOBAL__N_127rocblas_gemm_batched_kernelIdLi16ELi16ELi64ELi64ELi4ELi64ELi4ELi4ELi64ELc84ELc84EKdS1_dEEvlllT_PT11_llS4_llS2_PT12_llPT13_lli
; %bb.0:
	s_load_dwordx16 s[12:27], s[4:5], 0x10
	s_mov_b32 s2, s7
	s_ashr_i32 s7, s6, 31
	s_ashr_i32 s3, s2, 31
	v_bfe_u32 v43, v0, 10, 10
	s_waitcnt lgkmcnt(0)
	v_cmp_lt_i64_e64 s[10:11], s[12:13], 1
	v_and_b32_e32 v42, 0x3ff, v0
	s_lshl_b64 s[0:1], s[6:7], 6
	s_lshl_b64 s[2:3], s[2:3], 6
	s_mov_b64 s[6:7], 0
	s_and_b64 vcc, exec, s[10:11]
	s_cbranch_vccnz .LBB63_3
; %bb.1:
	v_lshl_add_u32 v2, v43, 4, v42
	v_and_b32_e32 v4, 63, v2
	v_lshrrev_b32_e32 v0, 2, v2
	v_and_b32_e32 v3, 3, v42
	v_lshrrev_b32_e32 v5, 6, v2
	v_lshlrev_b32_e32 v2, 3, v4
	v_lshl_or_b32 v44, v5, 9, v2
	v_lshlrev_b32_e32 v2, 3, v3
	v_mov_b32_e32 v1, 0
	v_lshl_or_b32 v2, v0, 5, v2
	s_mul_i32 s9, s27, s8
	s_mul_hi_u32 s10, s26, s8
	v_add_u32_e32 v45, 0x800, v2
	v_mov_b32_e32 v2, 0x800
	s_add_i32 s11, s10, s9
	s_mul_i32 s10, s26, s8
	v_mad_u64_u32 v[0:1], s[26:27], v3, s24, v[0:1]
	v_lshl_add_u32 v47, v43, 5, v2
	v_mov_b32_e32 v2, v1
	v_mad_u64_u32 v[2:3], s[26:27], v3, s25, v[2:3]
	s_lshl_b64 s[10:11], s[10:11], 3
	v_mov_b32_e32 v1, v2
	v_mov_b32_e32 v2, s3
	v_add_co_u32_e32 v0, vcc, s2, v0
	v_addc_co_u32_e32 v1, vcc, v1, v2, vcc
	s_add_u32 s9, s22, s10
	v_lshlrev_b64 v[0:1], 3, v[0:1]
	s_addc_u32 s10, s23, s11
	v_mov_b32_e32 v2, s10
	v_add_co_u32_e32 v32, vcc, s9, v0
	v_addc_co_u32_e32 v33, vcc, v2, v1, vcc
	v_mov_b32_e32 v0, s1
	v_add_co_u32_e32 v1, vcc, s0, v4
	v_addc_co_u32_e32 v0, vcc, 0, v0, vcc
	v_mul_lo_u32 v2, s19, v1
	v_mul_lo_u32 v3, s18, v0
	v_mad_u64_u32 v[0:1], s[18:19], s18, v1, 0
	s_mul_i32 s9, s21, s8
	s_mul_hi_u32 s18, s20, s8
	v_add3_u32 v1, v1, v3, v2
	s_add_i32 s19, s18, s9
	s_mul_i32 s18, s20, s8
	v_lshlrev_b64 v[0:1], 3, v[0:1]
	s_lshl_b64 s[18:19], s[18:19], 3
	v_mov_b32_e32 v2, s19
	v_add_co_u32_e32 v0, vcc, s18, v0
	v_addc_co_u32_e32 v1, vcc, v1, v2, vcc
	v_lshlrev_b32_e32 v2, 3, v5
	v_add_co_u32_e32 v0, vcc, v0, v2
	v_addc_co_u32_e32 v1, vcc, 0, v1, vcc
	s_lshl_b64 s[10:11], s[24:25], 5
	v_mov_b32_e32 v2, s17
	v_add_co_u32_e32 v34, vcc, s16, v0
	v_lshlrev_b32_e32 v46, 3, v42
	v_addc_co_u32_e32 v35, vcc, v2, v1, vcc
	v_pk_mov_b32 v[0:1], 0, 0
	v_mov_b32_e32 v48, s11
	v_pk_mov_b32 v[36:37], s[12:13], s[12:13] op_sel:[0,1]
	v_pk_mov_b32 v[2:3], 0, 0
	v_pk_mov_b32 v[4:5], 0, 0
	;; [unrolled: 1-line block ×15, first 2 shown]
.LBB63_2:                               ; =>This Inner Loop Header: Depth=1
	global_load_dwordx2 v[38:39], v[34:35], off
	global_load_dwordx2 v[40:41], v[32:33], off
	v_add_co_u32_e32 v32, vcc, s10, v32
	v_addc_co_u32_e32 v33, vcc, v33, v48, vcc
	s_add_u32 s6, s6, 4
	v_add_co_u32_e32 v34, vcc, 32, v34
	v_addc_co_u32_e32 v35, vcc, 0, v35, vcc
	s_addc_u32 s7, s7, 0
	v_cmp_lt_i64_e32 vcc, s[6:7], v[36:37]
	s_and_b64 vcc, exec, vcc
	s_waitcnt vmcnt(1)
	ds_write_b64 v44, v[38:39]
	s_waitcnt vmcnt(0)
	ds_write_b64 v45, v[40:41]
	s_waitcnt lgkmcnt(0)
	s_barrier
	ds_read2_b64 v[38:41], v46 offset1:16
	ds_read_b128 v[50:53], v47
	ds_read_b128 v[54:57], v47 offset:16
	ds_read_b128 v[58:61], v47 offset:512
	;; [unrolled: 1-line block ×6, first 2 shown]
	s_waitcnt lgkmcnt(6)
	v_fmac_f64_e32 v[30:31], v[38:39], v[50:51]
	v_fmac_f64_e32 v[28:29], v[40:41], v[50:51]
	s_waitcnt lgkmcnt(4)
	v_fmac_f64_e32 v[22:23], v[38:39], v[58:59]
	v_fmac_f64_e32 v[20:21], v[40:41], v[58:59]
	;; [unrolled: 3-line block ×4, first 2 shown]
	ds_read2_b64 v[38:41], v46 offset0:32 offset1:48
	ds_read2_b64 v[82:85], v46 offset0:96 offset1:112
	ds_read_b128 v[78:81], v47 offset:1552
	s_waitcnt lgkmcnt(2)
	v_fmac_f64_e32 v[26:27], v[38:39], v[50:51]
	v_fmac_f64_e32 v[24:25], v[40:41], v[50:51]
	;; [unrolled: 1-line block ×8, first 2 shown]
	ds_read2_b64 v[38:41], v46 offset0:64 offset1:80
	s_waitcnt lgkmcnt(2)
	v_fmac_f64_e32 v[26:27], v[82:83], v[52:53]
	v_fmac_f64_e32 v[24:25], v[84:85], v[52:53]
	;; [unrolled: 1-line block ×4, first 2 shown]
	s_waitcnt lgkmcnt(0)
	v_fmac_f64_e32 v[30:31], v[38:39], v[52:53]
	v_fmac_f64_e32 v[28:29], v[40:41], v[52:53]
	;; [unrolled: 1-line block ×6, first 2 shown]
	ds_read2_b64 v[50:53], v46 offset0:128 offset1:144
	v_fmac_f64_e32 v[6:7], v[38:39], v[76:77]
	v_fmac_f64_e32 v[4:5], v[40:41], v[76:77]
	ds_read2_b64 v[38:41], v46 offset0:160 offset1:176
	v_fmac_f64_e32 v[10:11], v[82:83], v[68:69]
	v_fmac_f64_e32 v[8:9], v[84:85], v[68:69]
	ds_read2_b64 v[58:61], v46 offset0:192 offset1:208
	ds_read2_b64 v[66:69], v46 offset0:224 offset1:240
	v_fmac_f64_e32 v[2:3], v[82:83], v[76:77]
	v_fmac_f64_e32 v[0:1], v[84:85], v[76:77]
	s_waitcnt lgkmcnt(3)
	v_fmac_f64_e32 v[30:31], v[50:51], v[54:55]
	v_fmac_f64_e32 v[28:29], v[52:53], v[54:55]
	;; [unrolled: 1-line block ×8, first 2 shown]
	s_waitcnt lgkmcnt(2)
	v_fmac_f64_e32 v[26:27], v[38:39], v[54:55]
	v_fmac_f64_e32 v[24:25], v[40:41], v[54:55]
	;; [unrolled: 1-line block ×8, first 2 shown]
	s_waitcnt lgkmcnt(1)
	v_fmac_f64_e32 v[30:31], v[58:59], v[56:57]
	v_fmac_f64_e32 v[28:29], v[60:61], v[56:57]
	s_waitcnt lgkmcnt(0)
	v_fmac_f64_e32 v[26:27], v[66:67], v[56:57]
	v_fmac_f64_e32 v[24:25], v[68:69], v[56:57]
	;; [unrolled: 1-line block ×14, first 2 shown]
	s_barrier
	s_cbranch_vccnz .LBB63_2
	s_branch .LBB63_4
.LBB63_3:
	v_pk_mov_b32 v[30:31], 0, 0
	v_pk_mov_b32 v[28:29], 0, 0
	;; [unrolled: 1-line block ×16, first 2 shown]
.LBB63_4:
	s_load_dwordx8 s[24:31], s[4:5], 0x70
	s_load_dwordx8 s[16:23], s[4:5], 0x50
	v_mov_b32_e32 v32, s3
	v_add_co_u32_e32 v34, vcc, s2, v43
	s_waitcnt lgkmcnt(0)
	s_mul_i32 s3, s8, s29
	s_mul_hi_u32 s5, s8, s28
	s_mul_i32 s4, s8, s28
	s_add_i32 s5, s5, s3
	v_addc_co_u32_e32 v37, vcc, 0, v32, vcc
	s_lshl_b64 s[4:5], s[4:5], 3
	v_mov_b32_e32 v33, s1
	v_add_co_u32_e32 v32, vcc, s0, v42
	s_add_u32 s4, s24, s4
	v_cmp_neq_f64_e64 s[6:7], s[16:17], 0
	v_addc_co_u32_e32 v33, vcc, 0, v33, vcc
	s_addc_u32 s5, s25, s5
	s_mov_b64 s[2:3], 0
	s_and_b64 vcc, exec, s[6:7]
	v_mul_lo_u32 v35, v37, s26
	v_mul_lo_u32 v36, v34, s27
	v_lshlrev_b64 v[32:33], 3, v[32:33]
	s_cbranch_vccnz .LBB63_8
; %bb.5:
	v_mad_u64_u32 v[38:39], s[0:1], v34, s26, 0
	v_add3_u32 v39, v39, v36, v35
	v_lshlrev_b64 v[38:39], 3, v[38:39]
	v_mov_b32_e32 v40, s5
	v_add_co_u32_e32 v41, vcc, s4, v38
	v_addc_co_u32_e32 v42, vcc, v40, v39, vcc
	v_add_co_u32_e32 v40, vcc, v41, v32
	v_mul_f64 v[38:39], v[30:31], s[14:15]
	v_addc_co_u32_e32 v41, vcc, v42, v33, vcc
	global_store_dwordx2 v[40:41], v[38:39], off
	v_mul_f64 v[38:39], v[28:29], s[14:15]
	global_store_dwordx2 v[40:41], v[38:39], off offset:128
	v_mul_f64 v[38:39], v[26:27], s[14:15]
	global_store_dwordx2 v[40:41], v[38:39], off offset:256
	v_mul_f64 v[38:39], v[24:25], s[14:15]
	s_lshl_b64 s[0:1], s[26:27], 7
	global_store_dwordx2 v[40:41], v[38:39], off offset:384
	v_mov_b32_e32 v42, s1
	v_add_co_u32_e32 v40, vcc, s0, v40
	v_mul_f64 v[38:39], v[22:23], s[14:15]
	v_addc_co_u32_e32 v41, vcc, v41, v42, vcc
	global_store_dwordx2 v[40:41], v[38:39], off
	v_mul_f64 v[38:39], v[20:21], s[14:15]
	global_store_dwordx2 v[40:41], v[38:39], off offset:128
	v_mul_f64 v[38:39], v[18:19], s[14:15]
	global_store_dwordx2 v[40:41], v[38:39], off offset:256
	v_mul_f64 v[38:39], v[16:17], s[14:15]
	global_store_dwordx2 v[40:41], v[38:39], off offset:384
	v_add_co_u32_e32 v40, vcc, s0, v40
	v_mul_f64 v[38:39], v[14:15], s[14:15]
	v_addc_co_u32_e32 v41, vcc, v41, v42, vcc
	global_store_dwordx2 v[40:41], v[38:39], off
	v_mul_f64 v[38:39], v[12:13], s[14:15]
	global_store_dwordx2 v[40:41], v[38:39], off offset:128
	v_mul_f64 v[38:39], v[10:11], s[14:15]
	global_store_dwordx2 v[40:41], v[38:39], off offset:256
	v_mul_f64 v[38:39], v[8:9], s[14:15]
	global_store_dwordx2 v[40:41], v[38:39], off offset:384
	;; [unrolled: 10-line block ×3, first 2 shown]
	s_andn2_b64 vcc, exec, s[2:3]
	s_cbranch_vccnz .LBB63_7
.LBB63_6:
	s_mul_i32 s0, s8, s23
	s_mul_hi_u32 s1, s8, s22
	s_add_i32 s1, s1, s0
	s_mul_i32 s0, s8, s22
	s_lshl_b64 s[0:1], s[0:1], 3
	s_add_u32 s2, s18, s0
	s_addc_u32 s3, s19, s1
	v_mul_lo_u32 v37, v37, s20
	v_mul_lo_u32 v40, v34, s21
	v_mad_u64_u32 v[38:39], s[0:1], v34, s20, 0
	v_add3_u32 v39, v39, v40, v37
	v_lshlrev_b64 v[38:39], 3, v[38:39]
	v_mov_b32_e32 v37, s3
	v_add_co_u32_e32 v38, vcc, s2, v38
	v_addc_co_u32_e32 v37, vcc, v37, v39, vcc
	v_add_co_u32_e32 v38, vcc, v38, v32
	v_addc_co_u32_e32 v39, vcc, v37, v33, vcc
	global_load_dwordx2 v[40:41], v[38:39], off
	v_mad_u64_u32 v[42:43], s[0:1], v34, s26, 0
	v_add3_u32 v43, v43, v36, v35
	v_lshlrev_b64 v[34:35], 3, v[42:43]
	v_mov_b32_e32 v37, s5
	v_add_co_u32_e32 v34, vcc, s4, v34
	v_addc_co_u32_e32 v35, vcc, v37, v35, vcc
	v_add_co_u32_e32 v32, vcc, v34, v32
	v_addc_co_u32_e32 v33, vcc, v35, v33, vcc
	s_lshl_b64 s[0:1], s[20:21], 7
	s_lshl_b64 s[2:3], s[26:27], 7
	s_waitcnt vmcnt(0)
	v_mul_f64 v[34:35], v[40:41], s[16:17]
	v_fmac_f64_e32 v[34:35], s[14:15], v[30:31]
	global_store_dwordx2 v[32:33], v[34:35], off
	global_load_dwordx2 v[30:31], v[38:39], off offset:128
	s_waitcnt vmcnt(0)
	v_mul_f64 v[30:31], v[30:31], s[16:17]
	v_fmac_f64_e32 v[30:31], s[14:15], v[28:29]
	global_store_dwordx2 v[32:33], v[30:31], off offset:128
	global_load_dwordx2 v[28:29], v[38:39], off offset:256
	v_mov_b32_e32 v30, s1
	v_mov_b32_e32 v31, s3
	s_waitcnt vmcnt(0)
	v_mul_f64 v[28:29], v[28:29], s[16:17]
	v_fmac_f64_e32 v[28:29], s[14:15], v[26:27]
	global_store_dwordx2 v[32:33], v[28:29], off offset:256
	global_load_dwordx2 v[26:27], v[38:39], off offset:384
	v_add_co_u32_e32 v28, vcc, s0, v38
	v_addc_co_u32_e32 v29, vcc, v39, v30, vcc
	s_waitcnt vmcnt(0)
	v_mul_f64 v[26:27], v[26:27], s[16:17]
	v_fmac_f64_e32 v[26:27], s[14:15], v[24:25]
	global_store_dwordx2 v[32:33], v[26:27], off offset:384
	global_load_dwordx2 v[24:25], v[28:29], off
	v_add_co_u32_e32 v26, vcc, s2, v32
	v_addc_co_u32_e32 v27, vcc, v33, v31, vcc
	s_waitcnt vmcnt(0)
	v_mul_f64 v[24:25], v[24:25], s[16:17]
	v_fmac_f64_e32 v[24:25], s[14:15], v[22:23]
	global_store_dwordx2 v[26:27], v[24:25], off
	global_load_dwordx2 v[22:23], v[28:29], off offset:128
	s_waitcnt vmcnt(0)
	v_mul_f64 v[22:23], v[22:23], s[16:17]
	v_fmac_f64_e32 v[22:23], s[14:15], v[20:21]
	global_store_dwordx2 v[26:27], v[22:23], off offset:128
	global_load_dwordx2 v[20:21], v[28:29], off offset:256
	s_waitcnt vmcnt(0)
	v_mul_f64 v[20:21], v[20:21], s[16:17]
	v_fmac_f64_e32 v[20:21], s[14:15], v[18:19]
	global_store_dwordx2 v[26:27], v[20:21], off offset:256
	global_load_dwordx2 v[18:19], v[28:29], off offset:384
	v_add_co_u32_e32 v20, vcc, s0, v28
	v_addc_co_u32_e32 v21, vcc, v29, v30, vcc
	s_waitcnt vmcnt(0)
	v_mul_f64 v[18:19], v[18:19], s[16:17]
	v_fmac_f64_e32 v[18:19], s[14:15], v[16:17]
	global_store_dwordx2 v[26:27], v[18:19], off offset:384
	global_load_dwordx2 v[16:17], v[20:21], off
	v_add_co_u32_e32 v18, vcc, s2, v26
	v_addc_co_u32_e32 v19, vcc, v27, v31, vcc
	s_waitcnt vmcnt(0)
	v_mul_f64 v[16:17], v[16:17], s[16:17]
	v_fmac_f64_e32 v[16:17], s[14:15], v[14:15]
	global_store_dwordx2 v[18:19], v[16:17], off
	global_load_dwordx2 v[14:15], v[20:21], off offset:128
	s_waitcnt vmcnt(0)
	v_mul_f64 v[14:15], v[14:15], s[16:17]
	v_fmac_f64_e32 v[14:15], s[14:15], v[12:13]
	global_store_dwordx2 v[18:19], v[14:15], off offset:128
	global_load_dwordx2 v[12:13], v[20:21], off offset:256
	s_waitcnt vmcnt(0)
	v_mul_f64 v[12:13], v[12:13], s[16:17]
	v_fmac_f64_e32 v[12:13], s[14:15], v[10:11]
	global_store_dwordx2 v[18:19], v[12:13], off offset:256
	global_load_dwordx2 v[10:11], v[20:21], off offset:384
	v_add_co_u32_e32 v12, vcc, s0, v20
	v_addc_co_u32_e32 v13, vcc, v21, v30, vcc
	s_waitcnt vmcnt(0)
	v_mul_f64 v[10:11], v[10:11], s[16:17]
	v_fmac_f64_e32 v[10:11], s[14:15], v[8:9]
	global_store_dwordx2 v[18:19], v[10:11], off offset:384
	global_load_dwordx2 v[8:9], v[12:13], off
	s_waitcnt vmcnt(0)
	v_mul_f64 v[8:9], v[8:9], s[16:17]
	v_fmac_f64_e32 v[8:9], s[14:15], v[6:7]
	v_add_co_u32_e32 v6, vcc, s2, v18
	v_addc_co_u32_e32 v7, vcc, v19, v31, vcc
	global_store_dwordx2 v[6:7], v[8:9], off
	global_load_dwordx2 v[8:9], v[12:13], off offset:128
	s_waitcnt vmcnt(0)
	v_mul_f64 v[8:9], v[8:9], s[16:17]
	v_fmac_f64_e32 v[8:9], s[14:15], v[4:5]
	global_store_dwordx2 v[6:7], v[8:9], off offset:128
	global_load_dwordx2 v[4:5], v[12:13], off offset:256
	s_waitcnt vmcnt(0)
	v_mul_f64 v[4:5], v[4:5], s[16:17]
	v_fmac_f64_e32 v[4:5], s[14:15], v[2:3]
	global_store_dwordx2 v[6:7], v[4:5], off offset:256
	global_load_dwordx2 v[2:3], v[12:13], off offset:384
	s_waitcnt vmcnt(0)
	v_mul_f64 v[2:3], v[2:3], s[16:17]
	v_fmac_f64_e32 v[2:3], s[14:15], v[0:1]
	global_store_dwordx2 v[6:7], v[2:3], off offset:384
.LBB63_7:
	s_endpgm
.LBB63_8:
	s_branch .LBB63_6
	.section	.rodata,"a",@progbits
	.p2align	6, 0x0
	.amdhsa_kernel _ZN12_GLOBAL__N_127rocblas_gemm_batched_kernelIdLi16ELi16ELi64ELi64ELi4ELi64ELi4ELi4ELi64ELc84ELc84EKdS1_dEEvlllT_PT11_llS4_llS2_PT12_llPT13_lli
		.amdhsa_group_segment_fixed_size 4096
		.amdhsa_private_segment_fixed_size 0
		.amdhsa_kernarg_size 140
		.amdhsa_user_sgpr_count 6
		.amdhsa_user_sgpr_private_segment_buffer 1
		.amdhsa_user_sgpr_dispatch_ptr 0
		.amdhsa_user_sgpr_queue_ptr 0
		.amdhsa_user_sgpr_kernarg_segment_ptr 1
		.amdhsa_user_sgpr_dispatch_id 0
		.amdhsa_user_sgpr_flat_scratch_init 0
		.amdhsa_user_sgpr_kernarg_preload_length 0
		.amdhsa_user_sgpr_kernarg_preload_offset 0
		.amdhsa_user_sgpr_private_segment_size 0
		.amdhsa_uses_dynamic_stack 0
		.amdhsa_system_sgpr_private_segment_wavefront_offset 0
		.amdhsa_system_sgpr_workgroup_id_x 1
		.amdhsa_system_sgpr_workgroup_id_y 1
		.amdhsa_system_sgpr_workgroup_id_z 1
		.amdhsa_system_sgpr_workgroup_info 0
		.amdhsa_system_vgpr_workitem_id 1
		.amdhsa_next_free_vgpr 86
		.amdhsa_next_free_sgpr 32
		.amdhsa_accum_offset 88
		.amdhsa_reserve_vcc 1
		.amdhsa_reserve_flat_scratch 0
		.amdhsa_float_round_mode_32 0
		.amdhsa_float_round_mode_16_64 0
		.amdhsa_float_denorm_mode_32 3
		.amdhsa_float_denorm_mode_16_64 3
		.amdhsa_dx10_clamp 1
		.amdhsa_ieee_mode 1
		.amdhsa_fp16_overflow 0
		.amdhsa_tg_split 0
		.amdhsa_exception_fp_ieee_invalid_op 0
		.amdhsa_exception_fp_denorm_src 0
		.amdhsa_exception_fp_ieee_div_zero 0
		.amdhsa_exception_fp_ieee_overflow 0
		.amdhsa_exception_fp_ieee_underflow 0
		.amdhsa_exception_fp_ieee_inexact 0
		.amdhsa_exception_int_div_zero 0
	.end_amdhsa_kernel
	.section	.text._ZN12_GLOBAL__N_127rocblas_gemm_batched_kernelIdLi16ELi16ELi64ELi64ELi4ELi64ELi4ELi4ELi64ELc84ELc84EKdS1_dEEvlllT_PT11_llS4_llS2_PT12_llPT13_lli,"axG",@progbits,_ZN12_GLOBAL__N_127rocblas_gemm_batched_kernelIdLi16ELi16ELi64ELi64ELi4ELi64ELi4ELi4ELi64ELc84ELc84EKdS1_dEEvlllT_PT11_llS4_llS2_PT12_llPT13_lli,comdat
.Lfunc_end63:
	.size	_ZN12_GLOBAL__N_127rocblas_gemm_batched_kernelIdLi16ELi16ELi64ELi64ELi4ELi64ELi4ELi4ELi64ELc84ELc84EKdS1_dEEvlllT_PT11_llS4_llS2_PT12_llPT13_lli, .Lfunc_end63-_ZN12_GLOBAL__N_127rocblas_gemm_batched_kernelIdLi16ELi16ELi64ELi64ELi4ELi64ELi4ELi4ELi64ELc84ELc84EKdS1_dEEvlllT_PT11_llS4_llS2_PT12_llPT13_lli
                                        ; -- End function
	.section	.AMDGPU.csdata,"",@progbits
; Kernel info:
; codeLenInByte = 2304
; NumSgprs: 36
; NumVgprs: 86
; NumAgprs: 0
; TotalNumVgprs: 86
; ScratchSize: 0
; MemoryBound: 0
; FloatMode: 240
; IeeeMode: 1
; LDSByteSize: 4096 bytes/workgroup (compile time only)
; SGPRBlocks: 4
; VGPRBlocks: 10
; NumSGPRsForWavesPerEU: 36
; NumVGPRsForWavesPerEU: 86
; AccumOffset: 88
; Occupancy: 5
; WaveLimiterHint : 1
; COMPUTE_PGM_RSRC2:SCRATCH_EN: 0
; COMPUTE_PGM_RSRC2:USER_SGPR: 6
; COMPUTE_PGM_RSRC2:TRAP_HANDLER: 0
; COMPUTE_PGM_RSRC2:TGID_X_EN: 1
; COMPUTE_PGM_RSRC2:TGID_Y_EN: 1
; COMPUTE_PGM_RSRC2:TGID_Z_EN: 1
; COMPUTE_PGM_RSRC2:TIDIG_COMP_CNT: 1
; COMPUTE_PGM_RSRC3_GFX90A:ACCUM_OFFSET: 21
; COMPUTE_PGM_RSRC3_GFX90A:TG_SPLIT: 0
	.section	.text._ZN12_GLOBAL__N_127rocblas_gemm_batched_kernelIdLi16ELi16ELi64ELi64ELi4ELi64ELi4ELi4ELi64ELc67ELc67EKdS1_dEEvlllT_PT11_llS4_llS2_PT12_llPT13_lli,"axG",@progbits,_ZN12_GLOBAL__N_127rocblas_gemm_batched_kernelIdLi16ELi16ELi64ELi64ELi4ELi64ELi4ELi4ELi64ELc67ELc67EKdS1_dEEvlllT_PT11_llS4_llS2_PT12_llPT13_lli,comdat
	.globl	_ZN12_GLOBAL__N_127rocblas_gemm_batched_kernelIdLi16ELi16ELi64ELi64ELi4ELi64ELi4ELi4ELi64ELc67ELc67EKdS1_dEEvlllT_PT11_llS4_llS2_PT12_llPT13_lli ; -- Begin function _ZN12_GLOBAL__N_127rocblas_gemm_batched_kernelIdLi16ELi16ELi64ELi64ELi4ELi64ELi4ELi4ELi64ELc67ELc67EKdS1_dEEvlllT_PT11_llS4_llS2_PT12_llPT13_lli
	.p2align	8
	.type	_ZN12_GLOBAL__N_127rocblas_gemm_batched_kernelIdLi16ELi16ELi64ELi64ELi4ELi64ELi4ELi4ELi64ELc67ELc67EKdS1_dEEvlllT_PT11_llS4_llS2_PT12_llPT13_lli,@function
_ZN12_GLOBAL__N_127rocblas_gemm_batched_kernelIdLi16ELi16ELi64ELi64ELi4ELi64ELi4ELi4ELi64ELc67ELc67EKdS1_dEEvlllT_PT11_llS4_llS2_PT12_llPT13_lli: ; @_ZN12_GLOBAL__N_127rocblas_gemm_batched_kernelIdLi16ELi16ELi64ELi64ELi4ELi64ELi4ELi4ELi64ELc67ELc67EKdS1_dEEvlllT_PT11_llS4_llS2_PT12_llPT13_lli
; %bb.0:
	s_load_dwordx16 s[12:27], s[4:5], 0x10
	s_mov_b32 s2, s7
	s_ashr_i32 s7, s6, 31
	s_ashr_i32 s3, s2, 31
	v_bfe_u32 v43, v0, 10, 10
	s_waitcnt lgkmcnt(0)
	v_cmp_lt_i64_e64 s[10:11], s[12:13], 1
	v_and_b32_e32 v42, 0x3ff, v0
	s_lshl_b64 s[0:1], s[6:7], 6
	s_lshl_b64 s[2:3], s[2:3], 6
	s_mov_b64 s[6:7], 0
	s_and_b64 vcc, exec, s[10:11]
	s_cbranch_vccnz .LBB64_3
; %bb.1:
	v_lshl_add_u32 v2, v43, 4, v42
	v_and_b32_e32 v4, 63, v2
	v_lshrrev_b32_e32 v0, 2, v2
	v_and_b32_e32 v3, 3, v42
	v_lshrrev_b32_e32 v5, 6, v2
	v_lshlrev_b32_e32 v2, 3, v4
	v_lshl_or_b32 v44, v5, 9, v2
	v_lshlrev_b32_e32 v2, 3, v3
	v_mov_b32_e32 v1, 0
	v_lshl_or_b32 v2, v0, 5, v2
	s_mul_i32 s9, s27, s8
	s_mul_hi_u32 s10, s26, s8
	v_add_u32_e32 v45, 0x800, v2
	v_mov_b32_e32 v2, 0x800
	s_add_i32 s11, s10, s9
	s_mul_i32 s10, s26, s8
	v_mad_u64_u32 v[0:1], s[26:27], v3, s24, v[0:1]
	v_lshl_add_u32 v47, v43, 5, v2
	v_mov_b32_e32 v2, v1
	v_mad_u64_u32 v[2:3], s[26:27], v3, s25, v[2:3]
	s_lshl_b64 s[10:11], s[10:11], 3
	v_mov_b32_e32 v1, v2
	v_mov_b32_e32 v2, s3
	v_add_co_u32_e32 v0, vcc, s2, v0
	v_addc_co_u32_e32 v1, vcc, v1, v2, vcc
	s_add_u32 s9, s22, s10
	v_lshlrev_b64 v[0:1], 3, v[0:1]
	s_addc_u32 s10, s23, s11
	v_mov_b32_e32 v2, s10
	v_add_co_u32_e32 v32, vcc, s9, v0
	v_addc_co_u32_e32 v33, vcc, v2, v1, vcc
	v_mov_b32_e32 v0, s1
	v_add_co_u32_e32 v1, vcc, s0, v4
	v_addc_co_u32_e32 v0, vcc, 0, v0, vcc
	v_mul_lo_u32 v2, s19, v1
	v_mul_lo_u32 v3, s18, v0
	v_mad_u64_u32 v[0:1], s[18:19], s18, v1, 0
	s_mul_i32 s9, s21, s8
	s_mul_hi_u32 s18, s20, s8
	v_add3_u32 v1, v1, v3, v2
	s_add_i32 s19, s18, s9
	s_mul_i32 s18, s20, s8
	v_lshlrev_b64 v[0:1], 3, v[0:1]
	s_lshl_b64 s[18:19], s[18:19], 3
	v_mov_b32_e32 v2, s19
	v_add_co_u32_e32 v0, vcc, s18, v0
	v_addc_co_u32_e32 v1, vcc, v1, v2, vcc
	v_lshlrev_b32_e32 v2, 3, v5
	v_add_co_u32_e32 v0, vcc, v0, v2
	v_addc_co_u32_e32 v1, vcc, 0, v1, vcc
	s_lshl_b64 s[10:11], s[24:25], 5
	v_mov_b32_e32 v2, s17
	v_add_co_u32_e32 v34, vcc, s16, v0
	v_lshlrev_b32_e32 v46, 3, v42
	v_addc_co_u32_e32 v35, vcc, v2, v1, vcc
	v_pk_mov_b32 v[0:1], 0, 0
	v_mov_b32_e32 v48, s11
	v_pk_mov_b32 v[36:37], s[12:13], s[12:13] op_sel:[0,1]
	v_pk_mov_b32 v[2:3], 0, 0
	v_pk_mov_b32 v[4:5], 0, 0
	;; [unrolled: 1-line block ×15, first 2 shown]
.LBB64_2:                               ; =>This Inner Loop Header: Depth=1
	global_load_dwordx2 v[38:39], v[34:35], off
	global_load_dwordx2 v[40:41], v[32:33], off
	v_add_co_u32_e32 v32, vcc, s10, v32
	v_addc_co_u32_e32 v33, vcc, v33, v48, vcc
	s_add_u32 s6, s6, 4
	v_add_co_u32_e32 v34, vcc, 32, v34
	v_addc_co_u32_e32 v35, vcc, 0, v35, vcc
	s_addc_u32 s7, s7, 0
	v_cmp_lt_i64_e32 vcc, s[6:7], v[36:37]
	s_and_b64 vcc, exec, vcc
	s_waitcnt vmcnt(1)
	ds_write_b64 v44, v[38:39]
	s_waitcnt vmcnt(0)
	ds_write_b64 v45, v[40:41]
	s_waitcnt lgkmcnt(0)
	s_barrier
	ds_read2_b64 v[38:41], v46 offset1:16
	ds_read_b128 v[50:53], v47
	ds_read_b128 v[54:57], v47 offset:16
	ds_read_b128 v[58:61], v47 offset:512
	;; [unrolled: 1-line block ×6, first 2 shown]
	s_waitcnt lgkmcnt(6)
	v_fmac_f64_e32 v[30:31], v[38:39], v[50:51]
	v_fmac_f64_e32 v[28:29], v[40:41], v[50:51]
	s_waitcnt lgkmcnt(4)
	v_fmac_f64_e32 v[22:23], v[38:39], v[58:59]
	v_fmac_f64_e32 v[20:21], v[40:41], v[58:59]
	;; [unrolled: 3-line block ×4, first 2 shown]
	ds_read2_b64 v[38:41], v46 offset0:32 offset1:48
	ds_read2_b64 v[82:85], v46 offset0:96 offset1:112
	ds_read_b128 v[78:81], v47 offset:1552
	s_waitcnt lgkmcnt(2)
	v_fmac_f64_e32 v[26:27], v[38:39], v[50:51]
	v_fmac_f64_e32 v[24:25], v[40:41], v[50:51]
	;; [unrolled: 1-line block ×8, first 2 shown]
	ds_read2_b64 v[38:41], v46 offset0:64 offset1:80
	s_waitcnt lgkmcnt(2)
	v_fmac_f64_e32 v[26:27], v[82:83], v[52:53]
	v_fmac_f64_e32 v[24:25], v[84:85], v[52:53]
	;; [unrolled: 1-line block ×4, first 2 shown]
	s_waitcnt lgkmcnt(0)
	v_fmac_f64_e32 v[30:31], v[38:39], v[52:53]
	v_fmac_f64_e32 v[28:29], v[40:41], v[52:53]
	;; [unrolled: 1-line block ×6, first 2 shown]
	ds_read2_b64 v[50:53], v46 offset0:128 offset1:144
	v_fmac_f64_e32 v[6:7], v[38:39], v[76:77]
	v_fmac_f64_e32 v[4:5], v[40:41], v[76:77]
	ds_read2_b64 v[38:41], v46 offset0:160 offset1:176
	v_fmac_f64_e32 v[10:11], v[82:83], v[68:69]
	v_fmac_f64_e32 v[8:9], v[84:85], v[68:69]
	ds_read2_b64 v[58:61], v46 offset0:192 offset1:208
	ds_read2_b64 v[66:69], v46 offset0:224 offset1:240
	v_fmac_f64_e32 v[2:3], v[82:83], v[76:77]
	v_fmac_f64_e32 v[0:1], v[84:85], v[76:77]
	s_waitcnt lgkmcnt(3)
	v_fmac_f64_e32 v[30:31], v[50:51], v[54:55]
	v_fmac_f64_e32 v[28:29], v[52:53], v[54:55]
	;; [unrolled: 1-line block ×8, first 2 shown]
	s_waitcnt lgkmcnt(2)
	v_fmac_f64_e32 v[26:27], v[38:39], v[54:55]
	v_fmac_f64_e32 v[24:25], v[40:41], v[54:55]
	;; [unrolled: 1-line block ×8, first 2 shown]
	s_waitcnt lgkmcnt(1)
	v_fmac_f64_e32 v[30:31], v[58:59], v[56:57]
	v_fmac_f64_e32 v[28:29], v[60:61], v[56:57]
	s_waitcnt lgkmcnt(0)
	v_fmac_f64_e32 v[26:27], v[66:67], v[56:57]
	v_fmac_f64_e32 v[24:25], v[68:69], v[56:57]
	;; [unrolled: 1-line block ×14, first 2 shown]
	s_barrier
	s_cbranch_vccnz .LBB64_2
	s_branch .LBB64_4
.LBB64_3:
	v_pk_mov_b32 v[30:31], 0, 0
	v_pk_mov_b32 v[28:29], 0, 0
	;; [unrolled: 1-line block ×16, first 2 shown]
.LBB64_4:
	s_load_dwordx8 s[24:31], s[4:5], 0x70
	s_load_dwordx8 s[16:23], s[4:5], 0x50
	v_mov_b32_e32 v32, s3
	v_add_co_u32_e32 v34, vcc, s2, v43
	s_waitcnt lgkmcnt(0)
	s_mul_i32 s3, s8, s29
	s_mul_hi_u32 s5, s8, s28
	s_mul_i32 s4, s8, s28
	s_add_i32 s5, s5, s3
	v_addc_co_u32_e32 v37, vcc, 0, v32, vcc
	s_lshl_b64 s[4:5], s[4:5], 3
	v_mov_b32_e32 v33, s1
	v_add_co_u32_e32 v32, vcc, s0, v42
	s_add_u32 s4, s24, s4
	v_cmp_neq_f64_e64 s[6:7], s[16:17], 0
	v_addc_co_u32_e32 v33, vcc, 0, v33, vcc
	s_addc_u32 s5, s25, s5
	s_mov_b64 s[2:3], 0
	s_and_b64 vcc, exec, s[6:7]
	v_mul_lo_u32 v35, v37, s26
	v_mul_lo_u32 v36, v34, s27
	v_lshlrev_b64 v[32:33], 3, v[32:33]
	s_cbranch_vccnz .LBB64_8
; %bb.5:
	v_mad_u64_u32 v[38:39], s[0:1], v34, s26, 0
	v_add3_u32 v39, v39, v36, v35
	v_lshlrev_b64 v[38:39], 3, v[38:39]
	v_mov_b32_e32 v40, s5
	v_add_co_u32_e32 v41, vcc, s4, v38
	v_addc_co_u32_e32 v42, vcc, v40, v39, vcc
	v_add_co_u32_e32 v40, vcc, v41, v32
	v_mul_f64 v[38:39], v[30:31], s[14:15]
	v_addc_co_u32_e32 v41, vcc, v42, v33, vcc
	global_store_dwordx2 v[40:41], v[38:39], off
	v_mul_f64 v[38:39], v[28:29], s[14:15]
	global_store_dwordx2 v[40:41], v[38:39], off offset:128
	v_mul_f64 v[38:39], v[26:27], s[14:15]
	global_store_dwordx2 v[40:41], v[38:39], off offset:256
	v_mul_f64 v[38:39], v[24:25], s[14:15]
	s_lshl_b64 s[0:1], s[26:27], 7
	global_store_dwordx2 v[40:41], v[38:39], off offset:384
	v_mov_b32_e32 v42, s1
	v_add_co_u32_e32 v40, vcc, s0, v40
	v_mul_f64 v[38:39], v[22:23], s[14:15]
	v_addc_co_u32_e32 v41, vcc, v41, v42, vcc
	global_store_dwordx2 v[40:41], v[38:39], off
	v_mul_f64 v[38:39], v[20:21], s[14:15]
	global_store_dwordx2 v[40:41], v[38:39], off offset:128
	v_mul_f64 v[38:39], v[18:19], s[14:15]
	global_store_dwordx2 v[40:41], v[38:39], off offset:256
	v_mul_f64 v[38:39], v[16:17], s[14:15]
	global_store_dwordx2 v[40:41], v[38:39], off offset:384
	v_add_co_u32_e32 v40, vcc, s0, v40
	v_mul_f64 v[38:39], v[14:15], s[14:15]
	v_addc_co_u32_e32 v41, vcc, v41, v42, vcc
	global_store_dwordx2 v[40:41], v[38:39], off
	v_mul_f64 v[38:39], v[12:13], s[14:15]
	global_store_dwordx2 v[40:41], v[38:39], off offset:128
	v_mul_f64 v[38:39], v[10:11], s[14:15]
	global_store_dwordx2 v[40:41], v[38:39], off offset:256
	v_mul_f64 v[38:39], v[8:9], s[14:15]
	global_store_dwordx2 v[40:41], v[38:39], off offset:384
	;; [unrolled: 10-line block ×3, first 2 shown]
	s_andn2_b64 vcc, exec, s[2:3]
	s_cbranch_vccnz .LBB64_7
.LBB64_6:
	s_mul_i32 s0, s8, s23
	s_mul_hi_u32 s1, s8, s22
	s_add_i32 s1, s1, s0
	s_mul_i32 s0, s8, s22
	s_lshl_b64 s[0:1], s[0:1], 3
	s_add_u32 s2, s18, s0
	s_addc_u32 s3, s19, s1
	v_mul_lo_u32 v37, v37, s20
	v_mul_lo_u32 v40, v34, s21
	v_mad_u64_u32 v[38:39], s[0:1], v34, s20, 0
	v_add3_u32 v39, v39, v40, v37
	v_lshlrev_b64 v[38:39], 3, v[38:39]
	v_mov_b32_e32 v37, s3
	v_add_co_u32_e32 v38, vcc, s2, v38
	v_addc_co_u32_e32 v37, vcc, v37, v39, vcc
	v_add_co_u32_e32 v38, vcc, v38, v32
	v_addc_co_u32_e32 v39, vcc, v37, v33, vcc
	global_load_dwordx2 v[40:41], v[38:39], off
	v_mad_u64_u32 v[42:43], s[0:1], v34, s26, 0
	v_add3_u32 v43, v43, v36, v35
	v_lshlrev_b64 v[34:35], 3, v[42:43]
	v_mov_b32_e32 v37, s5
	v_add_co_u32_e32 v34, vcc, s4, v34
	v_addc_co_u32_e32 v35, vcc, v37, v35, vcc
	v_add_co_u32_e32 v32, vcc, v34, v32
	v_addc_co_u32_e32 v33, vcc, v35, v33, vcc
	s_lshl_b64 s[0:1], s[20:21], 7
	s_lshl_b64 s[2:3], s[26:27], 7
	s_waitcnt vmcnt(0)
	v_mul_f64 v[34:35], v[40:41], s[16:17]
	v_fmac_f64_e32 v[34:35], s[14:15], v[30:31]
	global_store_dwordx2 v[32:33], v[34:35], off
	global_load_dwordx2 v[30:31], v[38:39], off offset:128
	s_waitcnt vmcnt(0)
	v_mul_f64 v[30:31], v[30:31], s[16:17]
	v_fmac_f64_e32 v[30:31], s[14:15], v[28:29]
	global_store_dwordx2 v[32:33], v[30:31], off offset:128
	global_load_dwordx2 v[28:29], v[38:39], off offset:256
	v_mov_b32_e32 v30, s1
	v_mov_b32_e32 v31, s3
	s_waitcnt vmcnt(0)
	v_mul_f64 v[28:29], v[28:29], s[16:17]
	v_fmac_f64_e32 v[28:29], s[14:15], v[26:27]
	global_store_dwordx2 v[32:33], v[28:29], off offset:256
	global_load_dwordx2 v[26:27], v[38:39], off offset:384
	v_add_co_u32_e32 v28, vcc, s0, v38
	v_addc_co_u32_e32 v29, vcc, v39, v30, vcc
	s_waitcnt vmcnt(0)
	v_mul_f64 v[26:27], v[26:27], s[16:17]
	v_fmac_f64_e32 v[26:27], s[14:15], v[24:25]
	global_store_dwordx2 v[32:33], v[26:27], off offset:384
	global_load_dwordx2 v[24:25], v[28:29], off
	v_add_co_u32_e32 v26, vcc, s2, v32
	v_addc_co_u32_e32 v27, vcc, v33, v31, vcc
	s_waitcnt vmcnt(0)
	v_mul_f64 v[24:25], v[24:25], s[16:17]
	v_fmac_f64_e32 v[24:25], s[14:15], v[22:23]
	global_store_dwordx2 v[26:27], v[24:25], off
	global_load_dwordx2 v[22:23], v[28:29], off offset:128
	s_waitcnt vmcnt(0)
	v_mul_f64 v[22:23], v[22:23], s[16:17]
	v_fmac_f64_e32 v[22:23], s[14:15], v[20:21]
	global_store_dwordx2 v[26:27], v[22:23], off offset:128
	global_load_dwordx2 v[20:21], v[28:29], off offset:256
	s_waitcnt vmcnt(0)
	v_mul_f64 v[20:21], v[20:21], s[16:17]
	v_fmac_f64_e32 v[20:21], s[14:15], v[18:19]
	global_store_dwordx2 v[26:27], v[20:21], off offset:256
	global_load_dwordx2 v[18:19], v[28:29], off offset:384
	v_add_co_u32_e32 v20, vcc, s0, v28
	v_addc_co_u32_e32 v21, vcc, v29, v30, vcc
	s_waitcnt vmcnt(0)
	v_mul_f64 v[18:19], v[18:19], s[16:17]
	v_fmac_f64_e32 v[18:19], s[14:15], v[16:17]
	global_store_dwordx2 v[26:27], v[18:19], off offset:384
	global_load_dwordx2 v[16:17], v[20:21], off
	v_add_co_u32_e32 v18, vcc, s2, v26
	v_addc_co_u32_e32 v19, vcc, v27, v31, vcc
	s_waitcnt vmcnt(0)
	v_mul_f64 v[16:17], v[16:17], s[16:17]
	v_fmac_f64_e32 v[16:17], s[14:15], v[14:15]
	global_store_dwordx2 v[18:19], v[16:17], off
	global_load_dwordx2 v[14:15], v[20:21], off offset:128
	s_waitcnt vmcnt(0)
	v_mul_f64 v[14:15], v[14:15], s[16:17]
	v_fmac_f64_e32 v[14:15], s[14:15], v[12:13]
	global_store_dwordx2 v[18:19], v[14:15], off offset:128
	global_load_dwordx2 v[12:13], v[20:21], off offset:256
	s_waitcnt vmcnt(0)
	v_mul_f64 v[12:13], v[12:13], s[16:17]
	v_fmac_f64_e32 v[12:13], s[14:15], v[10:11]
	global_store_dwordx2 v[18:19], v[12:13], off offset:256
	global_load_dwordx2 v[10:11], v[20:21], off offset:384
	v_add_co_u32_e32 v12, vcc, s0, v20
	v_addc_co_u32_e32 v13, vcc, v21, v30, vcc
	s_waitcnt vmcnt(0)
	v_mul_f64 v[10:11], v[10:11], s[16:17]
	v_fmac_f64_e32 v[10:11], s[14:15], v[8:9]
	global_store_dwordx2 v[18:19], v[10:11], off offset:384
	global_load_dwordx2 v[8:9], v[12:13], off
	s_waitcnt vmcnt(0)
	v_mul_f64 v[8:9], v[8:9], s[16:17]
	v_fmac_f64_e32 v[8:9], s[14:15], v[6:7]
	v_add_co_u32_e32 v6, vcc, s2, v18
	v_addc_co_u32_e32 v7, vcc, v19, v31, vcc
	global_store_dwordx2 v[6:7], v[8:9], off
	global_load_dwordx2 v[8:9], v[12:13], off offset:128
	s_waitcnt vmcnt(0)
	v_mul_f64 v[8:9], v[8:9], s[16:17]
	v_fmac_f64_e32 v[8:9], s[14:15], v[4:5]
	global_store_dwordx2 v[6:7], v[8:9], off offset:128
	global_load_dwordx2 v[4:5], v[12:13], off offset:256
	s_waitcnt vmcnt(0)
	v_mul_f64 v[4:5], v[4:5], s[16:17]
	v_fmac_f64_e32 v[4:5], s[14:15], v[2:3]
	global_store_dwordx2 v[6:7], v[4:5], off offset:256
	;; [unrolled: 5-line block ×3, first 2 shown]
.LBB64_7:
	s_endpgm
.LBB64_8:
	s_branch .LBB64_6
	.section	.rodata,"a",@progbits
	.p2align	6, 0x0
	.amdhsa_kernel _ZN12_GLOBAL__N_127rocblas_gemm_batched_kernelIdLi16ELi16ELi64ELi64ELi4ELi64ELi4ELi4ELi64ELc67ELc67EKdS1_dEEvlllT_PT11_llS4_llS2_PT12_llPT13_lli
		.amdhsa_group_segment_fixed_size 4096
		.amdhsa_private_segment_fixed_size 0
		.amdhsa_kernarg_size 140
		.amdhsa_user_sgpr_count 6
		.amdhsa_user_sgpr_private_segment_buffer 1
		.amdhsa_user_sgpr_dispatch_ptr 0
		.amdhsa_user_sgpr_queue_ptr 0
		.amdhsa_user_sgpr_kernarg_segment_ptr 1
		.amdhsa_user_sgpr_dispatch_id 0
		.amdhsa_user_sgpr_flat_scratch_init 0
		.amdhsa_user_sgpr_kernarg_preload_length 0
		.amdhsa_user_sgpr_kernarg_preload_offset 0
		.amdhsa_user_sgpr_private_segment_size 0
		.amdhsa_uses_dynamic_stack 0
		.amdhsa_system_sgpr_private_segment_wavefront_offset 0
		.amdhsa_system_sgpr_workgroup_id_x 1
		.amdhsa_system_sgpr_workgroup_id_y 1
		.amdhsa_system_sgpr_workgroup_id_z 1
		.amdhsa_system_sgpr_workgroup_info 0
		.amdhsa_system_vgpr_workitem_id 1
		.amdhsa_next_free_vgpr 86
		.amdhsa_next_free_sgpr 32
		.amdhsa_accum_offset 88
		.amdhsa_reserve_vcc 1
		.amdhsa_reserve_flat_scratch 0
		.amdhsa_float_round_mode_32 0
		.amdhsa_float_round_mode_16_64 0
		.amdhsa_float_denorm_mode_32 3
		.amdhsa_float_denorm_mode_16_64 3
		.amdhsa_dx10_clamp 1
		.amdhsa_ieee_mode 1
		.amdhsa_fp16_overflow 0
		.amdhsa_tg_split 0
		.amdhsa_exception_fp_ieee_invalid_op 0
		.amdhsa_exception_fp_denorm_src 0
		.amdhsa_exception_fp_ieee_div_zero 0
		.amdhsa_exception_fp_ieee_overflow 0
		.amdhsa_exception_fp_ieee_underflow 0
		.amdhsa_exception_fp_ieee_inexact 0
		.amdhsa_exception_int_div_zero 0
	.end_amdhsa_kernel
	.section	.text._ZN12_GLOBAL__N_127rocblas_gemm_batched_kernelIdLi16ELi16ELi64ELi64ELi4ELi64ELi4ELi4ELi64ELc67ELc67EKdS1_dEEvlllT_PT11_llS4_llS2_PT12_llPT13_lli,"axG",@progbits,_ZN12_GLOBAL__N_127rocblas_gemm_batched_kernelIdLi16ELi16ELi64ELi64ELi4ELi64ELi4ELi4ELi64ELc67ELc67EKdS1_dEEvlllT_PT11_llS4_llS2_PT12_llPT13_lli,comdat
.Lfunc_end64:
	.size	_ZN12_GLOBAL__N_127rocblas_gemm_batched_kernelIdLi16ELi16ELi64ELi64ELi4ELi64ELi4ELi4ELi64ELc67ELc67EKdS1_dEEvlllT_PT11_llS4_llS2_PT12_llPT13_lli, .Lfunc_end64-_ZN12_GLOBAL__N_127rocblas_gemm_batched_kernelIdLi16ELi16ELi64ELi64ELi4ELi64ELi4ELi4ELi64ELc67ELc67EKdS1_dEEvlllT_PT11_llS4_llS2_PT12_llPT13_lli
                                        ; -- End function
	.section	.AMDGPU.csdata,"",@progbits
; Kernel info:
; codeLenInByte = 2304
; NumSgprs: 36
; NumVgprs: 86
; NumAgprs: 0
; TotalNumVgprs: 86
; ScratchSize: 0
; MemoryBound: 0
; FloatMode: 240
; IeeeMode: 1
; LDSByteSize: 4096 bytes/workgroup (compile time only)
; SGPRBlocks: 4
; VGPRBlocks: 10
; NumSGPRsForWavesPerEU: 36
; NumVGPRsForWavesPerEU: 86
; AccumOffset: 88
; Occupancy: 5
; WaveLimiterHint : 1
; COMPUTE_PGM_RSRC2:SCRATCH_EN: 0
; COMPUTE_PGM_RSRC2:USER_SGPR: 6
; COMPUTE_PGM_RSRC2:TRAP_HANDLER: 0
; COMPUTE_PGM_RSRC2:TGID_X_EN: 1
; COMPUTE_PGM_RSRC2:TGID_Y_EN: 1
; COMPUTE_PGM_RSRC2:TGID_Z_EN: 1
; COMPUTE_PGM_RSRC2:TIDIG_COMP_CNT: 1
; COMPUTE_PGM_RSRC3_GFX90A:ACCUM_OFFSET: 21
; COMPUTE_PGM_RSRC3_GFX90A:TG_SPLIT: 0
	.section	.text._ZN12_GLOBAL__N_127rocblas_gemm_batched_kernelIdLi16ELi16ELi64ELi64ELi4ELi64ELi4ELi4ELi64ELc67ELc78EKdS1_dEEvlllT_PT11_llS4_llS2_PT12_llPT13_lli,"axG",@progbits,_ZN12_GLOBAL__N_127rocblas_gemm_batched_kernelIdLi16ELi16ELi64ELi64ELi4ELi64ELi4ELi4ELi64ELc67ELc78EKdS1_dEEvlllT_PT11_llS4_llS2_PT12_llPT13_lli,comdat
	.globl	_ZN12_GLOBAL__N_127rocblas_gemm_batched_kernelIdLi16ELi16ELi64ELi64ELi4ELi64ELi4ELi4ELi64ELc67ELc78EKdS1_dEEvlllT_PT11_llS4_llS2_PT12_llPT13_lli ; -- Begin function _ZN12_GLOBAL__N_127rocblas_gemm_batched_kernelIdLi16ELi16ELi64ELi64ELi4ELi64ELi4ELi4ELi64ELc67ELc78EKdS1_dEEvlllT_PT11_llS4_llS2_PT12_llPT13_lli
	.p2align	8
	.type	_ZN12_GLOBAL__N_127rocblas_gemm_batched_kernelIdLi16ELi16ELi64ELi64ELi4ELi64ELi4ELi4ELi64ELc67ELc78EKdS1_dEEvlllT_PT11_llS4_llS2_PT12_llPT13_lli,@function
_ZN12_GLOBAL__N_127rocblas_gemm_batched_kernelIdLi16ELi16ELi64ELi64ELi4ELi64ELi4ELi4ELi64ELc67ELc78EKdS1_dEEvlllT_PT11_llS4_llS2_PT12_llPT13_lli: ; @_ZN12_GLOBAL__N_127rocblas_gemm_batched_kernelIdLi16ELi16ELi64ELi64ELi4ELi64ELi4ELi4ELi64ELc67ELc78EKdS1_dEEvlllT_PT11_llS4_llS2_PT12_llPT13_lli
; %bb.0:
	s_load_dwordx16 s[12:27], s[4:5], 0x10
	s_mov_b32 s2, s7
	s_ashr_i32 s7, s6, 31
	s_ashr_i32 s3, s2, 31
	v_bfe_u32 v39, v0, 10, 10
	s_waitcnt lgkmcnt(0)
	v_cmp_lt_i64_e64 s[10:11], s[12:13], 1
	v_and_b32_e32 v38, 0x3ff, v0
	s_lshl_b64 s[0:1], s[6:7], 6
	s_lshl_b64 s[2:3], s[2:3], 6
	s_mov_b64 s[6:7], 0
	s_and_b64 vcc, exec, s[10:11]
	s_cbranch_vccnz .LBB65_3
; %bb.1:
	v_lshl_add_u32 v0, v39, 4, v38
	v_and_b32_e32 v4, 3, v38
	v_and_b32_e32 v5, 63, v0
	v_lshrrev_b32_e32 v1, 2, v0
	v_lshrrev_b32_e32 v6, 6, v0
	v_lshlrev_b32_e32 v0, 3, v5
	v_lshlrev_b32_e32 v4, 3, v4
	v_lshl_or_b32 v40, v6, 9, v0
	v_lshl_or_b32 v0, v1, 5, v4
	v_mov_b32_e32 v2, s3
	v_add_co_u32_e32 v3, vcc, s2, v1
	v_add_u32_e32 v41, 0x800, v0
	v_mov_b32_e32 v0, 0x800
	v_addc_co_u32_e32 v2, vcc, 0, v2, vcc
	v_lshl_add_u32 v43, v39, 5, v0
	v_mad_u64_u32 v[0:1], s[10:11], s24, v3, 0
	v_mul_lo_u32 v7, s25, v3
	v_mul_lo_u32 v2, s24, v2
	s_mul_i32 s9, s27, s8
	s_mul_hi_u32 s10, s26, s8
	v_add3_u32 v1, v1, v2, v7
	s_add_i32 s11, s10, s9
	s_mul_i32 s10, s26, s8
	v_lshlrev_b64 v[0:1], 3, v[0:1]
	s_lshl_b64 s[10:11], s[10:11], 3
	v_mov_b32_e32 v2, s11
	v_add_co_u32_e32 v0, vcc, s10, v0
	v_addc_co_u32_e32 v1, vcc, v1, v2, vcc
	v_add_co_u32_e32 v0, vcc, v0, v4
	v_addc_co_u32_e32 v1, vcc, 0, v1, vcc
	v_mov_b32_e32 v2, s23
	v_add_co_u32_e32 v32, vcc, s22, v0
	v_addc_co_u32_e32 v33, vcc, v2, v1, vcc
	v_mov_b32_e32 v0, s1
	v_add_co_u32_e32 v1, vcc, s0, v5
	v_addc_co_u32_e32 v0, vcc, 0, v0, vcc
	v_mul_lo_u32 v2, s19, v1
	v_mul_lo_u32 v3, s18, v0
	v_mad_u64_u32 v[0:1], s[10:11], s18, v1, 0
	s_mul_i32 s9, s21, s8
	s_mul_hi_u32 s10, s20, s8
	v_add3_u32 v1, v1, v3, v2
	s_add_i32 s11, s10, s9
	s_mul_i32 s10, s20, s8
	v_lshlrev_b64 v[0:1], 3, v[0:1]
	s_lshl_b64 s[10:11], s[10:11], 3
	v_mov_b32_e32 v2, s11
	v_add_co_u32_e32 v0, vcc, s10, v0
	v_addc_co_u32_e32 v1, vcc, v1, v2, vcc
	v_lshlrev_b32_e32 v2, 3, v6
	v_add_co_u32_e32 v0, vcc, v0, v2
	v_addc_co_u32_e32 v1, vcc, 0, v1, vcc
	v_mov_b32_e32 v2, s17
	v_add_co_u32_e32 v34, vcc, s16, v0
	v_lshlrev_b32_e32 v42, 3, v38
	v_addc_co_u32_e32 v35, vcc, v2, v1, vcc
	v_pk_mov_b32 v[0:1], 0, 0
	v_pk_mov_b32 v[36:37], s[12:13], s[12:13] op_sel:[0,1]
	v_pk_mov_b32 v[2:3], 0, 0
	v_pk_mov_b32 v[4:5], 0, 0
	;; [unrolled: 1-line block ×15, first 2 shown]
.LBB65_2:                               ; =>This Inner Loop Header: Depth=1
	global_load_dwordx2 v[44:45], v[34:35], off
	global_load_dwordx2 v[46:47], v[32:33], off
	v_add_co_u32_e32 v32, vcc, 32, v32
	v_addc_co_u32_e32 v33, vcc, 0, v33, vcc
	s_add_u32 s6, s6, 4
	v_add_co_u32_e32 v34, vcc, 32, v34
	v_addc_co_u32_e32 v35, vcc, 0, v35, vcc
	s_addc_u32 s7, s7, 0
	v_cmp_lt_i64_e32 vcc, s[6:7], v[36:37]
	s_and_b64 vcc, exec, vcc
	s_waitcnt vmcnt(1)
	ds_write_b64 v40, v[44:45]
	s_waitcnt vmcnt(0)
	ds_write_b64 v41, v[46:47]
	s_waitcnt lgkmcnt(0)
	s_barrier
	ds_read2_b64 v[44:47], v42 offset1:16
	ds_read_b128 v[48:51], v43
	ds_read_b128 v[52:55], v43 offset:16
	ds_read_b128 v[56:59], v43 offset:512
	;; [unrolled: 1-line block ×7, first 2 shown]
	s_waitcnt lgkmcnt(7)
	v_fmac_f64_e32 v[30:31], v[44:45], v[48:49]
	v_fmac_f64_e32 v[28:29], v[46:47], v[48:49]
	s_waitcnt lgkmcnt(5)
	v_fmac_f64_e32 v[22:23], v[44:45], v[56:57]
	v_fmac_f64_e32 v[20:21], v[46:47], v[56:57]
	;; [unrolled: 3-line block ×4, first 2 shown]
	ds_read2_b64 v[44:47], v42 offset0:32 offset1:48
	ds_read2_b64 v[80:83], v42 offset0:96 offset1:112
	s_waitcnt lgkmcnt(1)
	v_fmac_f64_e32 v[26:27], v[44:45], v[48:49]
	v_fmac_f64_e32 v[24:25], v[46:47], v[48:49]
	;; [unrolled: 1-line block ×8, first 2 shown]
	ds_read2_b64 v[44:47], v42 offset0:64 offset1:80
	s_waitcnt lgkmcnt(1)
	v_fmac_f64_e32 v[26:27], v[80:81], v[50:51]
	v_fmac_f64_e32 v[24:25], v[82:83], v[50:51]
	;; [unrolled: 1-line block ×4, first 2 shown]
	s_waitcnt lgkmcnt(0)
	v_fmac_f64_e32 v[30:31], v[44:45], v[50:51]
	v_fmac_f64_e32 v[28:29], v[46:47], v[50:51]
	;; [unrolled: 1-line block ×8, first 2 shown]
	ds_read2_b64 v[44:47], v42 offset0:128 offset1:144
	ds_read2_b64 v[48:51], v42 offset0:160 offset1:176
	v_fmac_f64_e32 v[10:11], v[80:81], v[66:67]
	v_fmac_f64_e32 v[8:9], v[82:83], v[66:67]
	;; [unrolled: 1-line block ×4, first 2 shown]
	s_waitcnt lgkmcnt(1)
	v_fmac_f64_e32 v[30:31], v[44:45], v[52:53]
	v_fmac_f64_e32 v[28:29], v[46:47], v[52:53]
	;; [unrolled: 1-line block ×8, first 2 shown]
	ds_read2_b64 v[44:47], v42 offset0:192 offset1:208
	s_waitcnt lgkmcnt(1)
	v_fmac_f64_e32 v[26:27], v[48:49], v[52:53]
	v_fmac_f64_e32 v[24:25], v[50:51], v[52:53]
	;; [unrolled: 1-line block ×8, first 2 shown]
	ds_read2_b64 v[48:51], v42 offset0:224 offset1:240
	s_waitcnt lgkmcnt(1)
	v_fmac_f64_e32 v[30:31], v[44:45], v[54:55]
	v_fmac_f64_e32 v[28:29], v[46:47], v[54:55]
	;; [unrolled: 1-line block ×4, first 2 shown]
	s_waitcnt lgkmcnt(0)
	v_fmac_f64_e32 v[26:27], v[48:49], v[54:55]
	v_fmac_f64_e32 v[24:25], v[50:51], v[54:55]
	v_fmac_f64_e32 v[18:19], v[48:49], v[62:63]
	v_fmac_f64_e32 v[16:17], v[50:51], v[62:63]
	v_fmac_f64_e32 v[14:15], v[44:45], v[70:71]
	v_fmac_f64_e32 v[12:13], v[46:47], v[70:71]
	v_fmac_f64_e32 v[10:11], v[48:49], v[70:71]
	v_fmac_f64_e32 v[8:9], v[50:51], v[70:71]
	v_fmac_f64_e32 v[6:7], v[44:45], v[78:79]
	v_fmac_f64_e32 v[4:5], v[46:47], v[78:79]
	v_fmac_f64_e32 v[2:3], v[48:49], v[78:79]
	v_fmac_f64_e32 v[0:1], v[50:51], v[78:79]
	s_barrier
	s_cbranch_vccnz .LBB65_2
	s_branch .LBB65_4
.LBB65_3:
	v_pk_mov_b32 v[30:31], 0, 0
	v_pk_mov_b32 v[28:29], 0, 0
	;; [unrolled: 1-line block ×16, first 2 shown]
.LBB65_4:
	s_load_dwordx8 s[24:31], s[4:5], 0x70
	s_load_dwordx8 s[16:23], s[4:5], 0x50
	v_mov_b32_e32 v32, s3
	v_add_co_u32_e32 v34, vcc, s2, v39
	s_waitcnt lgkmcnt(0)
	s_mul_i32 s3, s8, s29
	s_mul_hi_u32 s5, s8, s28
	s_mul_i32 s4, s8, s28
	s_add_i32 s5, s5, s3
	v_addc_co_u32_e32 v37, vcc, 0, v32, vcc
	s_lshl_b64 s[4:5], s[4:5], 3
	v_mov_b32_e32 v33, s1
	v_add_co_u32_e32 v32, vcc, s0, v38
	s_add_u32 s4, s24, s4
	v_cmp_neq_f64_e64 s[6:7], s[16:17], 0
	v_addc_co_u32_e32 v33, vcc, 0, v33, vcc
	s_addc_u32 s5, s25, s5
	s_mov_b64 s[2:3], 0
	s_and_b64 vcc, exec, s[6:7]
	v_mul_lo_u32 v35, v37, s26
	v_mul_lo_u32 v36, v34, s27
	v_lshlrev_b64 v[32:33], 3, v[32:33]
	s_cbranch_vccnz .LBB65_8
; %bb.5:
	v_mad_u64_u32 v[38:39], s[0:1], v34, s26, 0
	v_add3_u32 v39, v39, v36, v35
	v_lshlrev_b64 v[38:39], 3, v[38:39]
	v_mov_b32_e32 v40, s5
	v_add_co_u32_e32 v41, vcc, s4, v38
	v_addc_co_u32_e32 v42, vcc, v40, v39, vcc
	v_add_co_u32_e32 v40, vcc, v41, v32
	v_mul_f64 v[38:39], v[30:31], s[14:15]
	v_addc_co_u32_e32 v41, vcc, v42, v33, vcc
	global_store_dwordx2 v[40:41], v[38:39], off
	v_mul_f64 v[38:39], v[28:29], s[14:15]
	global_store_dwordx2 v[40:41], v[38:39], off offset:128
	v_mul_f64 v[38:39], v[26:27], s[14:15]
	global_store_dwordx2 v[40:41], v[38:39], off offset:256
	v_mul_f64 v[38:39], v[24:25], s[14:15]
	s_lshl_b64 s[0:1], s[26:27], 7
	global_store_dwordx2 v[40:41], v[38:39], off offset:384
	v_mov_b32_e32 v42, s1
	v_add_co_u32_e32 v40, vcc, s0, v40
	v_mul_f64 v[38:39], v[22:23], s[14:15]
	v_addc_co_u32_e32 v41, vcc, v41, v42, vcc
	global_store_dwordx2 v[40:41], v[38:39], off
	v_mul_f64 v[38:39], v[20:21], s[14:15]
	global_store_dwordx2 v[40:41], v[38:39], off offset:128
	v_mul_f64 v[38:39], v[18:19], s[14:15]
	global_store_dwordx2 v[40:41], v[38:39], off offset:256
	v_mul_f64 v[38:39], v[16:17], s[14:15]
	global_store_dwordx2 v[40:41], v[38:39], off offset:384
	v_add_co_u32_e32 v40, vcc, s0, v40
	v_mul_f64 v[38:39], v[14:15], s[14:15]
	v_addc_co_u32_e32 v41, vcc, v41, v42, vcc
	global_store_dwordx2 v[40:41], v[38:39], off
	v_mul_f64 v[38:39], v[12:13], s[14:15]
	global_store_dwordx2 v[40:41], v[38:39], off offset:128
	v_mul_f64 v[38:39], v[10:11], s[14:15]
	global_store_dwordx2 v[40:41], v[38:39], off offset:256
	v_mul_f64 v[38:39], v[8:9], s[14:15]
	global_store_dwordx2 v[40:41], v[38:39], off offset:384
	;; [unrolled: 10-line block ×3, first 2 shown]
	s_andn2_b64 vcc, exec, s[2:3]
	s_cbranch_vccnz .LBB65_7
.LBB65_6:
	s_mul_i32 s0, s8, s23
	s_mul_hi_u32 s1, s8, s22
	s_add_i32 s1, s1, s0
	s_mul_i32 s0, s8, s22
	s_lshl_b64 s[0:1], s[0:1], 3
	s_add_u32 s2, s18, s0
	s_addc_u32 s3, s19, s1
	v_mul_lo_u32 v37, v37, s20
	v_mul_lo_u32 v40, v34, s21
	v_mad_u64_u32 v[38:39], s[0:1], v34, s20, 0
	v_add3_u32 v39, v39, v40, v37
	v_lshlrev_b64 v[38:39], 3, v[38:39]
	v_mov_b32_e32 v37, s3
	v_add_co_u32_e32 v38, vcc, s2, v38
	v_addc_co_u32_e32 v37, vcc, v37, v39, vcc
	v_add_co_u32_e32 v38, vcc, v38, v32
	v_addc_co_u32_e32 v39, vcc, v37, v33, vcc
	global_load_dwordx2 v[40:41], v[38:39], off
	v_mad_u64_u32 v[42:43], s[0:1], v34, s26, 0
	v_add3_u32 v43, v43, v36, v35
	v_lshlrev_b64 v[34:35], 3, v[42:43]
	v_mov_b32_e32 v37, s5
	v_add_co_u32_e32 v34, vcc, s4, v34
	v_addc_co_u32_e32 v35, vcc, v37, v35, vcc
	v_add_co_u32_e32 v32, vcc, v34, v32
	v_addc_co_u32_e32 v33, vcc, v35, v33, vcc
	s_lshl_b64 s[0:1], s[20:21], 7
	s_lshl_b64 s[2:3], s[26:27], 7
	s_waitcnt vmcnt(0)
	v_mul_f64 v[34:35], v[40:41], s[16:17]
	v_fmac_f64_e32 v[34:35], s[14:15], v[30:31]
	global_store_dwordx2 v[32:33], v[34:35], off
	global_load_dwordx2 v[30:31], v[38:39], off offset:128
	s_waitcnt vmcnt(0)
	v_mul_f64 v[30:31], v[30:31], s[16:17]
	v_fmac_f64_e32 v[30:31], s[14:15], v[28:29]
	global_store_dwordx2 v[32:33], v[30:31], off offset:128
	global_load_dwordx2 v[28:29], v[38:39], off offset:256
	v_mov_b32_e32 v30, s1
	v_mov_b32_e32 v31, s3
	s_waitcnt vmcnt(0)
	v_mul_f64 v[28:29], v[28:29], s[16:17]
	v_fmac_f64_e32 v[28:29], s[14:15], v[26:27]
	global_store_dwordx2 v[32:33], v[28:29], off offset:256
	global_load_dwordx2 v[26:27], v[38:39], off offset:384
	v_add_co_u32_e32 v28, vcc, s0, v38
	v_addc_co_u32_e32 v29, vcc, v39, v30, vcc
	s_waitcnt vmcnt(0)
	v_mul_f64 v[26:27], v[26:27], s[16:17]
	v_fmac_f64_e32 v[26:27], s[14:15], v[24:25]
	global_store_dwordx2 v[32:33], v[26:27], off offset:384
	global_load_dwordx2 v[24:25], v[28:29], off
	v_add_co_u32_e32 v26, vcc, s2, v32
	v_addc_co_u32_e32 v27, vcc, v33, v31, vcc
	s_waitcnt vmcnt(0)
	v_mul_f64 v[24:25], v[24:25], s[16:17]
	v_fmac_f64_e32 v[24:25], s[14:15], v[22:23]
	global_store_dwordx2 v[26:27], v[24:25], off
	global_load_dwordx2 v[22:23], v[28:29], off offset:128
	s_waitcnt vmcnt(0)
	v_mul_f64 v[22:23], v[22:23], s[16:17]
	v_fmac_f64_e32 v[22:23], s[14:15], v[20:21]
	global_store_dwordx2 v[26:27], v[22:23], off offset:128
	global_load_dwordx2 v[20:21], v[28:29], off offset:256
	s_waitcnt vmcnt(0)
	v_mul_f64 v[20:21], v[20:21], s[16:17]
	v_fmac_f64_e32 v[20:21], s[14:15], v[18:19]
	global_store_dwordx2 v[26:27], v[20:21], off offset:256
	global_load_dwordx2 v[18:19], v[28:29], off offset:384
	v_add_co_u32_e32 v20, vcc, s0, v28
	v_addc_co_u32_e32 v21, vcc, v29, v30, vcc
	s_waitcnt vmcnt(0)
	v_mul_f64 v[18:19], v[18:19], s[16:17]
	v_fmac_f64_e32 v[18:19], s[14:15], v[16:17]
	global_store_dwordx2 v[26:27], v[18:19], off offset:384
	global_load_dwordx2 v[16:17], v[20:21], off
	v_add_co_u32_e32 v18, vcc, s2, v26
	v_addc_co_u32_e32 v19, vcc, v27, v31, vcc
	s_waitcnt vmcnt(0)
	v_mul_f64 v[16:17], v[16:17], s[16:17]
	v_fmac_f64_e32 v[16:17], s[14:15], v[14:15]
	global_store_dwordx2 v[18:19], v[16:17], off
	global_load_dwordx2 v[14:15], v[20:21], off offset:128
	s_waitcnt vmcnt(0)
	v_mul_f64 v[14:15], v[14:15], s[16:17]
	v_fmac_f64_e32 v[14:15], s[14:15], v[12:13]
	global_store_dwordx2 v[18:19], v[14:15], off offset:128
	global_load_dwordx2 v[12:13], v[20:21], off offset:256
	s_waitcnt vmcnt(0)
	v_mul_f64 v[12:13], v[12:13], s[16:17]
	v_fmac_f64_e32 v[12:13], s[14:15], v[10:11]
	global_store_dwordx2 v[18:19], v[12:13], off offset:256
	global_load_dwordx2 v[10:11], v[20:21], off offset:384
	v_add_co_u32_e32 v12, vcc, s0, v20
	v_addc_co_u32_e32 v13, vcc, v21, v30, vcc
	s_waitcnt vmcnt(0)
	v_mul_f64 v[10:11], v[10:11], s[16:17]
	v_fmac_f64_e32 v[10:11], s[14:15], v[8:9]
	global_store_dwordx2 v[18:19], v[10:11], off offset:384
	global_load_dwordx2 v[8:9], v[12:13], off
	s_waitcnt vmcnt(0)
	v_mul_f64 v[8:9], v[8:9], s[16:17]
	v_fmac_f64_e32 v[8:9], s[14:15], v[6:7]
	v_add_co_u32_e32 v6, vcc, s2, v18
	v_addc_co_u32_e32 v7, vcc, v19, v31, vcc
	global_store_dwordx2 v[6:7], v[8:9], off
	global_load_dwordx2 v[8:9], v[12:13], off offset:128
	s_waitcnt vmcnt(0)
	v_mul_f64 v[8:9], v[8:9], s[16:17]
	v_fmac_f64_e32 v[8:9], s[14:15], v[4:5]
	global_store_dwordx2 v[6:7], v[8:9], off offset:128
	global_load_dwordx2 v[4:5], v[12:13], off offset:256
	s_waitcnt vmcnt(0)
	v_mul_f64 v[4:5], v[4:5], s[16:17]
	v_fmac_f64_e32 v[4:5], s[14:15], v[2:3]
	global_store_dwordx2 v[6:7], v[4:5], off offset:256
	;; [unrolled: 5-line block ×3, first 2 shown]
.LBB65_7:
	s_endpgm
.LBB65_8:
	s_branch .LBB65_6
	.section	.rodata,"a",@progbits
	.p2align	6, 0x0
	.amdhsa_kernel _ZN12_GLOBAL__N_127rocblas_gemm_batched_kernelIdLi16ELi16ELi64ELi64ELi4ELi64ELi4ELi4ELi64ELc67ELc78EKdS1_dEEvlllT_PT11_llS4_llS2_PT12_llPT13_lli
		.amdhsa_group_segment_fixed_size 4096
		.amdhsa_private_segment_fixed_size 0
		.amdhsa_kernarg_size 140
		.amdhsa_user_sgpr_count 6
		.amdhsa_user_sgpr_private_segment_buffer 1
		.amdhsa_user_sgpr_dispatch_ptr 0
		.amdhsa_user_sgpr_queue_ptr 0
		.amdhsa_user_sgpr_kernarg_segment_ptr 1
		.amdhsa_user_sgpr_dispatch_id 0
		.amdhsa_user_sgpr_flat_scratch_init 0
		.amdhsa_user_sgpr_kernarg_preload_length 0
		.amdhsa_user_sgpr_kernarg_preload_offset 0
		.amdhsa_user_sgpr_private_segment_size 0
		.amdhsa_uses_dynamic_stack 0
		.amdhsa_system_sgpr_private_segment_wavefront_offset 0
		.amdhsa_system_sgpr_workgroup_id_x 1
		.amdhsa_system_sgpr_workgroup_id_y 1
		.amdhsa_system_sgpr_workgroup_id_z 1
		.amdhsa_system_sgpr_workgroup_info 0
		.amdhsa_system_vgpr_workitem_id 1
		.amdhsa_next_free_vgpr 84
		.amdhsa_next_free_sgpr 32
		.amdhsa_accum_offset 84
		.amdhsa_reserve_vcc 1
		.amdhsa_reserve_flat_scratch 0
		.amdhsa_float_round_mode_32 0
		.amdhsa_float_round_mode_16_64 0
		.amdhsa_float_denorm_mode_32 3
		.amdhsa_float_denorm_mode_16_64 3
		.amdhsa_dx10_clamp 1
		.amdhsa_ieee_mode 1
		.amdhsa_fp16_overflow 0
		.amdhsa_tg_split 0
		.amdhsa_exception_fp_ieee_invalid_op 0
		.amdhsa_exception_fp_denorm_src 0
		.amdhsa_exception_fp_ieee_div_zero 0
		.amdhsa_exception_fp_ieee_overflow 0
		.amdhsa_exception_fp_ieee_underflow 0
		.amdhsa_exception_fp_ieee_inexact 0
		.amdhsa_exception_int_div_zero 0
	.end_amdhsa_kernel
	.section	.text._ZN12_GLOBAL__N_127rocblas_gemm_batched_kernelIdLi16ELi16ELi64ELi64ELi4ELi64ELi4ELi4ELi64ELc67ELc78EKdS1_dEEvlllT_PT11_llS4_llS2_PT12_llPT13_lli,"axG",@progbits,_ZN12_GLOBAL__N_127rocblas_gemm_batched_kernelIdLi16ELi16ELi64ELi64ELi4ELi64ELi4ELi4ELi64ELc67ELc78EKdS1_dEEvlllT_PT11_llS4_llS2_PT12_llPT13_lli,comdat
.Lfunc_end65:
	.size	_ZN12_GLOBAL__N_127rocblas_gemm_batched_kernelIdLi16ELi16ELi64ELi64ELi4ELi64ELi4ELi4ELi64ELc67ELc78EKdS1_dEEvlllT_PT11_llS4_llS2_PT12_llPT13_lli, .Lfunc_end65-_ZN12_GLOBAL__N_127rocblas_gemm_batched_kernelIdLi16ELi16ELi64ELi64ELi4ELi64ELi4ELi4ELi64ELc67ELc78EKdS1_dEEvlllT_PT11_llS4_llS2_PT12_llPT13_lli
                                        ; -- End function
	.section	.AMDGPU.csdata,"",@progbits
; Kernel info:
; codeLenInByte = 2312
; NumSgprs: 36
; NumVgprs: 84
; NumAgprs: 0
; TotalNumVgprs: 84
; ScratchSize: 0
; MemoryBound: 0
; FloatMode: 240
; IeeeMode: 1
; LDSByteSize: 4096 bytes/workgroup (compile time only)
; SGPRBlocks: 4
; VGPRBlocks: 10
; NumSGPRsForWavesPerEU: 36
; NumVGPRsForWavesPerEU: 84
; AccumOffset: 84
; Occupancy: 5
; WaveLimiterHint : 1
; COMPUTE_PGM_RSRC2:SCRATCH_EN: 0
; COMPUTE_PGM_RSRC2:USER_SGPR: 6
; COMPUTE_PGM_RSRC2:TRAP_HANDLER: 0
; COMPUTE_PGM_RSRC2:TGID_X_EN: 1
; COMPUTE_PGM_RSRC2:TGID_Y_EN: 1
; COMPUTE_PGM_RSRC2:TGID_Z_EN: 1
; COMPUTE_PGM_RSRC2:TIDIG_COMP_CNT: 1
; COMPUTE_PGM_RSRC3_GFX90A:ACCUM_OFFSET: 20
; COMPUTE_PGM_RSRC3_GFX90A:TG_SPLIT: 0
	.section	.text._ZN12_GLOBAL__N_127rocblas_gemm_batched_kernelIdLi16ELi16ELi64ELi64ELi4ELi64ELi4ELi4ELi64ELc67ELc84EKdS1_dEEvlllT_PT11_llS4_llS2_PT12_llPT13_lli,"axG",@progbits,_ZN12_GLOBAL__N_127rocblas_gemm_batched_kernelIdLi16ELi16ELi64ELi64ELi4ELi64ELi4ELi4ELi64ELc67ELc84EKdS1_dEEvlllT_PT11_llS4_llS2_PT12_llPT13_lli,comdat
	.globl	_ZN12_GLOBAL__N_127rocblas_gemm_batched_kernelIdLi16ELi16ELi64ELi64ELi4ELi64ELi4ELi4ELi64ELc67ELc84EKdS1_dEEvlllT_PT11_llS4_llS2_PT12_llPT13_lli ; -- Begin function _ZN12_GLOBAL__N_127rocblas_gemm_batched_kernelIdLi16ELi16ELi64ELi64ELi4ELi64ELi4ELi4ELi64ELc67ELc84EKdS1_dEEvlllT_PT11_llS4_llS2_PT12_llPT13_lli
	.p2align	8
	.type	_ZN12_GLOBAL__N_127rocblas_gemm_batched_kernelIdLi16ELi16ELi64ELi64ELi4ELi64ELi4ELi4ELi64ELc67ELc84EKdS1_dEEvlllT_PT11_llS4_llS2_PT12_llPT13_lli,@function
_ZN12_GLOBAL__N_127rocblas_gemm_batched_kernelIdLi16ELi16ELi64ELi64ELi4ELi64ELi4ELi4ELi64ELc67ELc84EKdS1_dEEvlllT_PT11_llS4_llS2_PT12_llPT13_lli: ; @_ZN12_GLOBAL__N_127rocblas_gemm_batched_kernelIdLi16ELi16ELi64ELi64ELi4ELi64ELi4ELi4ELi64ELc67ELc84EKdS1_dEEvlllT_PT11_llS4_llS2_PT12_llPT13_lli
; %bb.0:
	s_load_dwordx16 s[12:27], s[4:5], 0x10
	s_mov_b32 s2, s7
	s_ashr_i32 s7, s6, 31
	s_ashr_i32 s3, s2, 31
	v_bfe_u32 v43, v0, 10, 10
	s_waitcnt lgkmcnt(0)
	v_cmp_lt_i64_e64 s[10:11], s[12:13], 1
	v_and_b32_e32 v42, 0x3ff, v0
	s_lshl_b64 s[0:1], s[6:7], 6
	s_lshl_b64 s[2:3], s[2:3], 6
	s_mov_b64 s[6:7], 0
	s_and_b64 vcc, exec, s[10:11]
	s_cbranch_vccnz .LBB66_3
; %bb.1:
	v_lshl_add_u32 v2, v43, 4, v42
	v_and_b32_e32 v4, 63, v2
	v_lshrrev_b32_e32 v0, 2, v2
	v_and_b32_e32 v3, 3, v42
	v_lshrrev_b32_e32 v5, 6, v2
	v_lshlrev_b32_e32 v2, 3, v4
	v_lshl_or_b32 v44, v5, 9, v2
	v_lshlrev_b32_e32 v2, 3, v3
	v_mov_b32_e32 v1, 0
	v_lshl_or_b32 v2, v0, 5, v2
	s_mul_i32 s9, s27, s8
	s_mul_hi_u32 s10, s26, s8
	v_add_u32_e32 v45, 0x800, v2
	v_mov_b32_e32 v2, 0x800
	s_add_i32 s11, s10, s9
	s_mul_i32 s10, s26, s8
	v_mad_u64_u32 v[0:1], s[26:27], v3, s24, v[0:1]
	v_lshl_add_u32 v47, v43, 5, v2
	v_mov_b32_e32 v2, v1
	v_mad_u64_u32 v[2:3], s[26:27], v3, s25, v[2:3]
	s_lshl_b64 s[10:11], s[10:11], 3
	v_mov_b32_e32 v1, v2
	v_mov_b32_e32 v2, s3
	v_add_co_u32_e32 v0, vcc, s2, v0
	v_addc_co_u32_e32 v1, vcc, v1, v2, vcc
	s_add_u32 s9, s22, s10
	v_lshlrev_b64 v[0:1], 3, v[0:1]
	s_addc_u32 s10, s23, s11
	v_mov_b32_e32 v2, s10
	v_add_co_u32_e32 v32, vcc, s9, v0
	v_addc_co_u32_e32 v33, vcc, v2, v1, vcc
	v_mov_b32_e32 v0, s1
	v_add_co_u32_e32 v1, vcc, s0, v4
	v_addc_co_u32_e32 v0, vcc, 0, v0, vcc
	v_mul_lo_u32 v2, s19, v1
	v_mul_lo_u32 v3, s18, v0
	v_mad_u64_u32 v[0:1], s[18:19], s18, v1, 0
	s_mul_i32 s9, s21, s8
	s_mul_hi_u32 s18, s20, s8
	v_add3_u32 v1, v1, v3, v2
	s_add_i32 s19, s18, s9
	s_mul_i32 s18, s20, s8
	v_lshlrev_b64 v[0:1], 3, v[0:1]
	s_lshl_b64 s[18:19], s[18:19], 3
	v_mov_b32_e32 v2, s19
	v_add_co_u32_e32 v0, vcc, s18, v0
	v_addc_co_u32_e32 v1, vcc, v1, v2, vcc
	v_lshlrev_b32_e32 v2, 3, v5
	v_add_co_u32_e32 v0, vcc, v0, v2
	v_addc_co_u32_e32 v1, vcc, 0, v1, vcc
	s_lshl_b64 s[10:11], s[24:25], 5
	v_mov_b32_e32 v2, s17
	v_add_co_u32_e32 v34, vcc, s16, v0
	v_lshlrev_b32_e32 v46, 3, v42
	v_addc_co_u32_e32 v35, vcc, v2, v1, vcc
	v_pk_mov_b32 v[0:1], 0, 0
	v_mov_b32_e32 v48, s11
	v_pk_mov_b32 v[36:37], s[12:13], s[12:13] op_sel:[0,1]
	v_pk_mov_b32 v[2:3], 0, 0
	v_pk_mov_b32 v[4:5], 0, 0
	;; [unrolled: 1-line block ×15, first 2 shown]
.LBB66_2:                               ; =>This Inner Loop Header: Depth=1
	global_load_dwordx2 v[38:39], v[34:35], off
	global_load_dwordx2 v[40:41], v[32:33], off
	v_add_co_u32_e32 v32, vcc, s10, v32
	v_addc_co_u32_e32 v33, vcc, v33, v48, vcc
	s_add_u32 s6, s6, 4
	v_add_co_u32_e32 v34, vcc, 32, v34
	v_addc_co_u32_e32 v35, vcc, 0, v35, vcc
	s_addc_u32 s7, s7, 0
	v_cmp_lt_i64_e32 vcc, s[6:7], v[36:37]
	s_and_b64 vcc, exec, vcc
	s_waitcnt vmcnt(1)
	ds_write_b64 v44, v[38:39]
	s_waitcnt vmcnt(0)
	ds_write_b64 v45, v[40:41]
	s_waitcnt lgkmcnt(0)
	s_barrier
	ds_read2_b64 v[38:41], v46 offset1:16
	ds_read_b128 v[50:53], v47
	ds_read_b128 v[54:57], v47 offset:16
	ds_read_b128 v[58:61], v47 offset:512
	;; [unrolled: 1-line block ×6, first 2 shown]
	s_waitcnt lgkmcnt(6)
	v_fmac_f64_e32 v[30:31], v[38:39], v[50:51]
	v_fmac_f64_e32 v[28:29], v[40:41], v[50:51]
	s_waitcnt lgkmcnt(4)
	v_fmac_f64_e32 v[22:23], v[38:39], v[58:59]
	v_fmac_f64_e32 v[20:21], v[40:41], v[58:59]
	;; [unrolled: 3-line block ×4, first 2 shown]
	ds_read2_b64 v[38:41], v46 offset0:32 offset1:48
	ds_read2_b64 v[82:85], v46 offset0:96 offset1:112
	ds_read_b128 v[78:81], v47 offset:1552
	s_waitcnt lgkmcnt(2)
	v_fmac_f64_e32 v[26:27], v[38:39], v[50:51]
	v_fmac_f64_e32 v[24:25], v[40:41], v[50:51]
	;; [unrolled: 1-line block ×8, first 2 shown]
	ds_read2_b64 v[38:41], v46 offset0:64 offset1:80
	s_waitcnt lgkmcnt(2)
	v_fmac_f64_e32 v[26:27], v[82:83], v[52:53]
	v_fmac_f64_e32 v[24:25], v[84:85], v[52:53]
	;; [unrolled: 1-line block ×4, first 2 shown]
	s_waitcnt lgkmcnt(0)
	v_fmac_f64_e32 v[30:31], v[38:39], v[52:53]
	v_fmac_f64_e32 v[28:29], v[40:41], v[52:53]
	;; [unrolled: 1-line block ×6, first 2 shown]
	ds_read2_b64 v[50:53], v46 offset0:128 offset1:144
	v_fmac_f64_e32 v[6:7], v[38:39], v[76:77]
	v_fmac_f64_e32 v[4:5], v[40:41], v[76:77]
	ds_read2_b64 v[38:41], v46 offset0:160 offset1:176
	v_fmac_f64_e32 v[10:11], v[82:83], v[68:69]
	v_fmac_f64_e32 v[8:9], v[84:85], v[68:69]
	ds_read2_b64 v[58:61], v46 offset0:192 offset1:208
	ds_read2_b64 v[66:69], v46 offset0:224 offset1:240
	v_fmac_f64_e32 v[2:3], v[82:83], v[76:77]
	v_fmac_f64_e32 v[0:1], v[84:85], v[76:77]
	s_waitcnt lgkmcnt(3)
	v_fmac_f64_e32 v[30:31], v[50:51], v[54:55]
	v_fmac_f64_e32 v[28:29], v[52:53], v[54:55]
	;; [unrolled: 1-line block ×8, first 2 shown]
	s_waitcnt lgkmcnt(2)
	v_fmac_f64_e32 v[26:27], v[38:39], v[54:55]
	v_fmac_f64_e32 v[24:25], v[40:41], v[54:55]
	;; [unrolled: 1-line block ×8, first 2 shown]
	s_waitcnt lgkmcnt(1)
	v_fmac_f64_e32 v[30:31], v[58:59], v[56:57]
	v_fmac_f64_e32 v[28:29], v[60:61], v[56:57]
	s_waitcnt lgkmcnt(0)
	v_fmac_f64_e32 v[26:27], v[66:67], v[56:57]
	v_fmac_f64_e32 v[24:25], v[68:69], v[56:57]
	;; [unrolled: 1-line block ×14, first 2 shown]
	s_barrier
	s_cbranch_vccnz .LBB66_2
	s_branch .LBB66_4
.LBB66_3:
	v_pk_mov_b32 v[30:31], 0, 0
	v_pk_mov_b32 v[28:29], 0, 0
	v_pk_mov_b32 v[26:27], 0, 0
	v_pk_mov_b32 v[24:25], 0, 0
	v_pk_mov_b32 v[22:23], 0, 0
	v_pk_mov_b32 v[20:21], 0, 0
	v_pk_mov_b32 v[18:19], 0, 0
	v_pk_mov_b32 v[16:17], 0, 0
	v_pk_mov_b32 v[14:15], 0, 0
	v_pk_mov_b32 v[12:13], 0, 0
	v_pk_mov_b32 v[10:11], 0, 0
	v_pk_mov_b32 v[8:9], 0, 0
	v_pk_mov_b32 v[6:7], 0, 0
	v_pk_mov_b32 v[4:5], 0, 0
	v_pk_mov_b32 v[2:3], 0, 0
	v_pk_mov_b32 v[0:1], 0, 0
.LBB66_4:
	s_load_dwordx8 s[24:31], s[4:5], 0x70
	s_load_dwordx8 s[16:23], s[4:5], 0x50
	v_mov_b32_e32 v32, s3
	v_add_co_u32_e32 v34, vcc, s2, v43
	s_waitcnt lgkmcnt(0)
	s_mul_i32 s3, s8, s29
	s_mul_hi_u32 s5, s8, s28
	s_mul_i32 s4, s8, s28
	s_add_i32 s5, s5, s3
	v_addc_co_u32_e32 v37, vcc, 0, v32, vcc
	s_lshl_b64 s[4:5], s[4:5], 3
	v_mov_b32_e32 v33, s1
	v_add_co_u32_e32 v32, vcc, s0, v42
	s_add_u32 s4, s24, s4
	v_cmp_neq_f64_e64 s[6:7], s[16:17], 0
	v_addc_co_u32_e32 v33, vcc, 0, v33, vcc
	s_addc_u32 s5, s25, s5
	s_mov_b64 s[2:3], 0
	s_and_b64 vcc, exec, s[6:7]
	v_mul_lo_u32 v35, v37, s26
	v_mul_lo_u32 v36, v34, s27
	v_lshlrev_b64 v[32:33], 3, v[32:33]
	s_cbranch_vccnz .LBB66_8
; %bb.5:
	v_mad_u64_u32 v[38:39], s[0:1], v34, s26, 0
	v_add3_u32 v39, v39, v36, v35
	v_lshlrev_b64 v[38:39], 3, v[38:39]
	v_mov_b32_e32 v40, s5
	v_add_co_u32_e32 v41, vcc, s4, v38
	v_addc_co_u32_e32 v42, vcc, v40, v39, vcc
	v_add_co_u32_e32 v40, vcc, v41, v32
	v_mul_f64 v[38:39], v[30:31], s[14:15]
	v_addc_co_u32_e32 v41, vcc, v42, v33, vcc
	global_store_dwordx2 v[40:41], v[38:39], off
	v_mul_f64 v[38:39], v[28:29], s[14:15]
	global_store_dwordx2 v[40:41], v[38:39], off offset:128
	v_mul_f64 v[38:39], v[26:27], s[14:15]
	global_store_dwordx2 v[40:41], v[38:39], off offset:256
	v_mul_f64 v[38:39], v[24:25], s[14:15]
	s_lshl_b64 s[0:1], s[26:27], 7
	global_store_dwordx2 v[40:41], v[38:39], off offset:384
	v_mov_b32_e32 v42, s1
	v_add_co_u32_e32 v40, vcc, s0, v40
	v_mul_f64 v[38:39], v[22:23], s[14:15]
	v_addc_co_u32_e32 v41, vcc, v41, v42, vcc
	global_store_dwordx2 v[40:41], v[38:39], off
	v_mul_f64 v[38:39], v[20:21], s[14:15]
	global_store_dwordx2 v[40:41], v[38:39], off offset:128
	v_mul_f64 v[38:39], v[18:19], s[14:15]
	global_store_dwordx2 v[40:41], v[38:39], off offset:256
	v_mul_f64 v[38:39], v[16:17], s[14:15]
	global_store_dwordx2 v[40:41], v[38:39], off offset:384
	v_add_co_u32_e32 v40, vcc, s0, v40
	v_mul_f64 v[38:39], v[14:15], s[14:15]
	v_addc_co_u32_e32 v41, vcc, v41, v42, vcc
	global_store_dwordx2 v[40:41], v[38:39], off
	v_mul_f64 v[38:39], v[12:13], s[14:15]
	global_store_dwordx2 v[40:41], v[38:39], off offset:128
	v_mul_f64 v[38:39], v[10:11], s[14:15]
	global_store_dwordx2 v[40:41], v[38:39], off offset:256
	v_mul_f64 v[38:39], v[8:9], s[14:15]
	global_store_dwordx2 v[40:41], v[38:39], off offset:384
	;; [unrolled: 10-line block ×3, first 2 shown]
	s_andn2_b64 vcc, exec, s[2:3]
	s_cbranch_vccnz .LBB66_7
.LBB66_6:
	s_mul_i32 s0, s8, s23
	s_mul_hi_u32 s1, s8, s22
	s_add_i32 s1, s1, s0
	s_mul_i32 s0, s8, s22
	s_lshl_b64 s[0:1], s[0:1], 3
	s_add_u32 s2, s18, s0
	s_addc_u32 s3, s19, s1
	v_mul_lo_u32 v37, v37, s20
	v_mul_lo_u32 v40, v34, s21
	v_mad_u64_u32 v[38:39], s[0:1], v34, s20, 0
	v_add3_u32 v39, v39, v40, v37
	v_lshlrev_b64 v[38:39], 3, v[38:39]
	v_mov_b32_e32 v37, s3
	v_add_co_u32_e32 v38, vcc, s2, v38
	v_addc_co_u32_e32 v37, vcc, v37, v39, vcc
	v_add_co_u32_e32 v38, vcc, v38, v32
	v_addc_co_u32_e32 v39, vcc, v37, v33, vcc
	global_load_dwordx2 v[40:41], v[38:39], off
	v_mad_u64_u32 v[42:43], s[0:1], v34, s26, 0
	v_add3_u32 v43, v43, v36, v35
	v_lshlrev_b64 v[34:35], 3, v[42:43]
	v_mov_b32_e32 v37, s5
	v_add_co_u32_e32 v34, vcc, s4, v34
	v_addc_co_u32_e32 v35, vcc, v37, v35, vcc
	v_add_co_u32_e32 v32, vcc, v34, v32
	v_addc_co_u32_e32 v33, vcc, v35, v33, vcc
	s_lshl_b64 s[0:1], s[20:21], 7
	s_lshl_b64 s[2:3], s[26:27], 7
	s_waitcnt vmcnt(0)
	v_mul_f64 v[34:35], v[40:41], s[16:17]
	v_fmac_f64_e32 v[34:35], s[14:15], v[30:31]
	global_store_dwordx2 v[32:33], v[34:35], off
	global_load_dwordx2 v[30:31], v[38:39], off offset:128
	s_waitcnt vmcnt(0)
	v_mul_f64 v[30:31], v[30:31], s[16:17]
	v_fmac_f64_e32 v[30:31], s[14:15], v[28:29]
	global_store_dwordx2 v[32:33], v[30:31], off offset:128
	global_load_dwordx2 v[28:29], v[38:39], off offset:256
	v_mov_b32_e32 v30, s1
	v_mov_b32_e32 v31, s3
	s_waitcnt vmcnt(0)
	v_mul_f64 v[28:29], v[28:29], s[16:17]
	v_fmac_f64_e32 v[28:29], s[14:15], v[26:27]
	global_store_dwordx2 v[32:33], v[28:29], off offset:256
	global_load_dwordx2 v[26:27], v[38:39], off offset:384
	v_add_co_u32_e32 v28, vcc, s0, v38
	v_addc_co_u32_e32 v29, vcc, v39, v30, vcc
	s_waitcnt vmcnt(0)
	v_mul_f64 v[26:27], v[26:27], s[16:17]
	v_fmac_f64_e32 v[26:27], s[14:15], v[24:25]
	global_store_dwordx2 v[32:33], v[26:27], off offset:384
	global_load_dwordx2 v[24:25], v[28:29], off
	v_add_co_u32_e32 v26, vcc, s2, v32
	v_addc_co_u32_e32 v27, vcc, v33, v31, vcc
	s_waitcnt vmcnt(0)
	v_mul_f64 v[24:25], v[24:25], s[16:17]
	v_fmac_f64_e32 v[24:25], s[14:15], v[22:23]
	global_store_dwordx2 v[26:27], v[24:25], off
	global_load_dwordx2 v[22:23], v[28:29], off offset:128
	s_waitcnt vmcnt(0)
	v_mul_f64 v[22:23], v[22:23], s[16:17]
	v_fmac_f64_e32 v[22:23], s[14:15], v[20:21]
	global_store_dwordx2 v[26:27], v[22:23], off offset:128
	global_load_dwordx2 v[20:21], v[28:29], off offset:256
	s_waitcnt vmcnt(0)
	v_mul_f64 v[20:21], v[20:21], s[16:17]
	v_fmac_f64_e32 v[20:21], s[14:15], v[18:19]
	global_store_dwordx2 v[26:27], v[20:21], off offset:256
	global_load_dwordx2 v[18:19], v[28:29], off offset:384
	v_add_co_u32_e32 v20, vcc, s0, v28
	v_addc_co_u32_e32 v21, vcc, v29, v30, vcc
	s_waitcnt vmcnt(0)
	v_mul_f64 v[18:19], v[18:19], s[16:17]
	v_fmac_f64_e32 v[18:19], s[14:15], v[16:17]
	global_store_dwordx2 v[26:27], v[18:19], off offset:384
	global_load_dwordx2 v[16:17], v[20:21], off
	v_add_co_u32_e32 v18, vcc, s2, v26
	v_addc_co_u32_e32 v19, vcc, v27, v31, vcc
	s_waitcnt vmcnt(0)
	v_mul_f64 v[16:17], v[16:17], s[16:17]
	v_fmac_f64_e32 v[16:17], s[14:15], v[14:15]
	global_store_dwordx2 v[18:19], v[16:17], off
	global_load_dwordx2 v[14:15], v[20:21], off offset:128
	s_waitcnt vmcnt(0)
	v_mul_f64 v[14:15], v[14:15], s[16:17]
	v_fmac_f64_e32 v[14:15], s[14:15], v[12:13]
	global_store_dwordx2 v[18:19], v[14:15], off offset:128
	global_load_dwordx2 v[12:13], v[20:21], off offset:256
	s_waitcnt vmcnt(0)
	v_mul_f64 v[12:13], v[12:13], s[16:17]
	v_fmac_f64_e32 v[12:13], s[14:15], v[10:11]
	global_store_dwordx2 v[18:19], v[12:13], off offset:256
	global_load_dwordx2 v[10:11], v[20:21], off offset:384
	v_add_co_u32_e32 v12, vcc, s0, v20
	v_addc_co_u32_e32 v13, vcc, v21, v30, vcc
	s_waitcnt vmcnt(0)
	v_mul_f64 v[10:11], v[10:11], s[16:17]
	v_fmac_f64_e32 v[10:11], s[14:15], v[8:9]
	global_store_dwordx2 v[18:19], v[10:11], off offset:384
	global_load_dwordx2 v[8:9], v[12:13], off
	s_waitcnt vmcnt(0)
	v_mul_f64 v[8:9], v[8:9], s[16:17]
	v_fmac_f64_e32 v[8:9], s[14:15], v[6:7]
	v_add_co_u32_e32 v6, vcc, s2, v18
	v_addc_co_u32_e32 v7, vcc, v19, v31, vcc
	global_store_dwordx2 v[6:7], v[8:9], off
	global_load_dwordx2 v[8:9], v[12:13], off offset:128
	s_waitcnt vmcnt(0)
	v_mul_f64 v[8:9], v[8:9], s[16:17]
	v_fmac_f64_e32 v[8:9], s[14:15], v[4:5]
	global_store_dwordx2 v[6:7], v[8:9], off offset:128
	global_load_dwordx2 v[4:5], v[12:13], off offset:256
	s_waitcnt vmcnt(0)
	v_mul_f64 v[4:5], v[4:5], s[16:17]
	v_fmac_f64_e32 v[4:5], s[14:15], v[2:3]
	global_store_dwordx2 v[6:7], v[4:5], off offset:256
	;; [unrolled: 5-line block ×3, first 2 shown]
.LBB66_7:
	s_endpgm
.LBB66_8:
	s_branch .LBB66_6
	.section	.rodata,"a",@progbits
	.p2align	6, 0x0
	.amdhsa_kernel _ZN12_GLOBAL__N_127rocblas_gemm_batched_kernelIdLi16ELi16ELi64ELi64ELi4ELi64ELi4ELi4ELi64ELc67ELc84EKdS1_dEEvlllT_PT11_llS4_llS2_PT12_llPT13_lli
		.amdhsa_group_segment_fixed_size 4096
		.amdhsa_private_segment_fixed_size 0
		.amdhsa_kernarg_size 140
		.amdhsa_user_sgpr_count 6
		.amdhsa_user_sgpr_private_segment_buffer 1
		.amdhsa_user_sgpr_dispatch_ptr 0
		.amdhsa_user_sgpr_queue_ptr 0
		.amdhsa_user_sgpr_kernarg_segment_ptr 1
		.amdhsa_user_sgpr_dispatch_id 0
		.amdhsa_user_sgpr_flat_scratch_init 0
		.amdhsa_user_sgpr_kernarg_preload_length 0
		.amdhsa_user_sgpr_kernarg_preload_offset 0
		.amdhsa_user_sgpr_private_segment_size 0
		.amdhsa_uses_dynamic_stack 0
		.amdhsa_system_sgpr_private_segment_wavefront_offset 0
		.amdhsa_system_sgpr_workgroup_id_x 1
		.amdhsa_system_sgpr_workgroup_id_y 1
		.amdhsa_system_sgpr_workgroup_id_z 1
		.amdhsa_system_sgpr_workgroup_info 0
		.amdhsa_system_vgpr_workitem_id 1
		.amdhsa_next_free_vgpr 86
		.amdhsa_next_free_sgpr 32
		.amdhsa_accum_offset 88
		.amdhsa_reserve_vcc 1
		.amdhsa_reserve_flat_scratch 0
		.amdhsa_float_round_mode_32 0
		.amdhsa_float_round_mode_16_64 0
		.amdhsa_float_denorm_mode_32 3
		.amdhsa_float_denorm_mode_16_64 3
		.amdhsa_dx10_clamp 1
		.amdhsa_ieee_mode 1
		.amdhsa_fp16_overflow 0
		.amdhsa_tg_split 0
		.amdhsa_exception_fp_ieee_invalid_op 0
		.amdhsa_exception_fp_denorm_src 0
		.amdhsa_exception_fp_ieee_div_zero 0
		.amdhsa_exception_fp_ieee_overflow 0
		.amdhsa_exception_fp_ieee_underflow 0
		.amdhsa_exception_fp_ieee_inexact 0
		.amdhsa_exception_int_div_zero 0
	.end_amdhsa_kernel
	.section	.text._ZN12_GLOBAL__N_127rocblas_gemm_batched_kernelIdLi16ELi16ELi64ELi64ELi4ELi64ELi4ELi4ELi64ELc67ELc84EKdS1_dEEvlllT_PT11_llS4_llS2_PT12_llPT13_lli,"axG",@progbits,_ZN12_GLOBAL__N_127rocblas_gemm_batched_kernelIdLi16ELi16ELi64ELi64ELi4ELi64ELi4ELi4ELi64ELc67ELc84EKdS1_dEEvlllT_PT11_llS4_llS2_PT12_llPT13_lli,comdat
.Lfunc_end66:
	.size	_ZN12_GLOBAL__N_127rocblas_gemm_batched_kernelIdLi16ELi16ELi64ELi64ELi4ELi64ELi4ELi4ELi64ELc67ELc84EKdS1_dEEvlllT_PT11_llS4_llS2_PT12_llPT13_lli, .Lfunc_end66-_ZN12_GLOBAL__N_127rocblas_gemm_batched_kernelIdLi16ELi16ELi64ELi64ELi4ELi64ELi4ELi4ELi64ELc67ELc84EKdS1_dEEvlllT_PT11_llS4_llS2_PT12_llPT13_lli
                                        ; -- End function
	.section	.AMDGPU.csdata,"",@progbits
; Kernel info:
; codeLenInByte = 2304
; NumSgprs: 36
; NumVgprs: 86
; NumAgprs: 0
; TotalNumVgprs: 86
; ScratchSize: 0
; MemoryBound: 0
; FloatMode: 240
; IeeeMode: 1
; LDSByteSize: 4096 bytes/workgroup (compile time only)
; SGPRBlocks: 4
; VGPRBlocks: 10
; NumSGPRsForWavesPerEU: 36
; NumVGPRsForWavesPerEU: 86
; AccumOffset: 88
; Occupancy: 5
; WaveLimiterHint : 1
; COMPUTE_PGM_RSRC2:SCRATCH_EN: 0
; COMPUTE_PGM_RSRC2:USER_SGPR: 6
; COMPUTE_PGM_RSRC2:TRAP_HANDLER: 0
; COMPUTE_PGM_RSRC2:TGID_X_EN: 1
; COMPUTE_PGM_RSRC2:TGID_Y_EN: 1
; COMPUTE_PGM_RSRC2:TGID_Z_EN: 1
; COMPUTE_PGM_RSRC2:TIDIG_COMP_CNT: 1
; COMPUTE_PGM_RSRC3_GFX90A:ACCUM_OFFSET: 21
; COMPUTE_PGM_RSRC3_GFX90A:TG_SPLIT: 0
	.section	.text._ZN12_GLOBAL__N_127rocblas_gemm_batched_kernelIdLi16ELi16ELi64ELi64ELi4ELi64ELi4ELi4ELi64ELc78ELc67EKdS1_dEEvlllT_PT11_llS4_llS2_PT12_llPT13_lli,"axG",@progbits,_ZN12_GLOBAL__N_127rocblas_gemm_batched_kernelIdLi16ELi16ELi64ELi64ELi4ELi64ELi4ELi4ELi64ELc78ELc67EKdS1_dEEvlllT_PT11_llS4_llS2_PT12_llPT13_lli,comdat
	.globl	_ZN12_GLOBAL__N_127rocblas_gemm_batched_kernelIdLi16ELi16ELi64ELi64ELi4ELi64ELi4ELi4ELi64ELc78ELc67EKdS1_dEEvlllT_PT11_llS4_llS2_PT12_llPT13_lli ; -- Begin function _ZN12_GLOBAL__N_127rocblas_gemm_batched_kernelIdLi16ELi16ELi64ELi64ELi4ELi64ELi4ELi4ELi64ELc78ELc67EKdS1_dEEvlllT_PT11_llS4_llS2_PT12_llPT13_lli
	.p2align	8
	.type	_ZN12_GLOBAL__N_127rocblas_gemm_batched_kernelIdLi16ELi16ELi64ELi64ELi4ELi64ELi4ELi4ELi64ELc78ELc67EKdS1_dEEvlllT_PT11_llS4_llS2_PT12_llPT13_lli,@function
_ZN12_GLOBAL__N_127rocblas_gemm_batched_kernelIdLi16ELi16ELi64ELi64ELi4ELi64ELi4ELi4ELi64ELc78ELc67EKdS1_dEEvlllT_PT11_llS4_llS2_PT12_llPT13_lli: ; @_ZN12_GLOBAL__N_127rocblas_gemm_batched_kernelIdLi16ELi16ELi64ELi64ELi4ELi64ELi4ELi4ELi64ELc78ELc67EKdS1_dEEvlllT_PT11_llS4_llS2_PT12_llPT13_lli
; %bb.0:
	s_load_dwordx16 s[12:27], s[4:5], 0x10
	s_mov_b32 s2, s7
	s_ashr_i32 s7, s6, 31
	s_ashr_i32 s3, s2, 31
	v_bfe_u32 v43, v0, 10, 10
	s_waitcnt lgkmcnt(0)
	v_cmp_lt_i64_e64 s[10:11], s[12:13], 1
	v_and_b32_e32 v42, 0x3ff, v0
	s_lshl_b64 s[0:1], s[6:7], 6
	s_lshl_b64 s[2:3], s[2:3], 6
	s_mov_b64 s[6:7], 0
	s_and_b64 vcc, exec, s[10:11]
	s_cbranch_vccnz .LBB67_3
; %bb.1:
	v_lshl_add_u32 v2, v43, 4, v42
	v_and_b32_e32 v4, 63, v2
	v_lshrrev_b32_e32 v0, 2, v2
	v_and_b32_e32 v3, 3, v42
	v_lshrrev_b32_e32 v5, 6, v2
	v_lshlrev_b32_e32 v2, 3, v4
	v_lshl_or_b32 v44, v5, 9, v2
	v_lshlrev_b32_e32 v2, 3, v3
	v_mov_b32_e32 v1, 0
	v_lshl_or_b32 v2, v0, 5, v2
	s_mul_i32 s9, s27, s8
	s_mul_hi_u32 s10, s26, s8
	v_add_u32_e32 v45, 0x800, v2
	v_mov_b32_e32 v2, 0x800
	s_add_i32 s11, s10, s9
	s_mul_i32 s10, s26, s8
	v_mad_u64_u32 v[0:1], s[26:27], v3, s24, v[0:1]
	v_lshl_add_u32 v47, v43, 5, v2
	v_mov_b32_e32 v2, v1
	v_mad_u64_u32 v[2:3], s[26:27], v3, s25, v[2:3]
	s_lshl_b64 s[10:11], s[10:11], 3
	v_mov_b32_e32 v1, v2
	v_mov_b32_e32 v2, s3
	v_add_co_u32_e32 v0, vcc, s2, v0
	v_addc_co_u32_e32 v1, vcc, v1, v2, vcc
	s_add_u32 s9, s22, s10
	v_lshlrev_b64 v[0:1], 3, v[0:1]
	s_addc_u32 s10, s23, s11
	v_mov_b32_e32 v2, s10
	v_add_co_u32_e32 v32, vcc, s9, v0
	v_addc_co_u32_e32 v33, vcc, v2, v1, vcc
	v_pk_mov_b32 v[0:1], s[0:1], s[0:1] op_sel:[0,1]
	v_mad_u64_u32 v[0:1], s[22:23], v5, s18, v[0:1]
	s_mul_i32 s9, s21, s8
	s_mul_hi_u32 s21, s20, s8
	v_mov_b32_e32 v2, v1
	s_add_i32 s21, s21, s9
	s_mul_i32 s20, s20, s8
	v_mad_u64_u32 v[2:3], s[22:23], v5, s19, v[2:3]
	s_lshl_b64 s[10:11], s[24:25], 5
	s_lshl_b64 s[20:21], s[20:21], 3
	v_mov_b32_e32 v1, v2
	v_add_co_u32_e32 v0, vcc, v0, v4
	v_addc_co_u32_e32 v1, vcc, 0, v1, vcc
	s_add_u32 s9, s16, s20
	v_lshlrev_b64 v[0:1], 3, v[0:1]
	s_addc_u32 s16, s17, s21
	v_mov_b32_e32 v2, s16
	v_add_co_u32_e32 v34, vcc, s9, v0
	s_lshl_b64 s[16:17], s[18:19], 5
	v_lshlrev_b32_e32 v46, 3, v42
	v_addc_co_u32_e32 v35, vcc, v2, v1, vcc
	v_pk_mov_b32 v[0:1], 0, 0
	v_mov_b32_e32 v48, s11
	v_mov_b32_e32 v49, s17
	v_pk_mov_b32 v[36:37], s[12:13], s[12:13] op_sel:[0,1]
	v_pk_mov_b32 v[2:3], 0, 0
	v_pk_mov_b32 v[4:5], 0, 0
	v_pk_mov_b32 v[6:7], 0, 0
	v_pk_mov_b32 v[8:9], 0, 0
	v_pk_mov_b32 v[10:11], 0, 0
	v_pk_mov_b32 v[12:13], 0, 0
	v_pk_mov_b32 v[14:15], 0, 0
	v_pk_mov_b32 v[16:17], 0, 0
	v_pk_mov_b32 v[18:19], 0, 0
	v_pk_mov_b32 v[20:21], 0, 0
	v_pk_mov_b32 v[22:23], 0, 0
	v_pk_mov_b32 v[24:25], 0, 0
	v_pk_mov_b32 v[26:27], 0, 0
	v_pk_mov_b32 v[28:29], 0, 0
	v_pk_mov_b32 v[30:31], 0, 0
.LBB67_2:                               ; =>This Inner Loop Header: Depth=1
	global_load_dwordx2 v[38:39], v[34:35], off
	global_load_dwordx2 v[40:41], v[32:33], off
	v_add_co_u32_e32 v32, vcc, s10, v32
	v_addc_co_u32_e32 v33, vcc, v33, v48, vcc
	s_add_u32 s6, s6, 4
	v_add_co_u32_e32 v34, vcc, s16, v34
	v_addc_co_u32_e32 v35, vcc, v35, v49, vcc
	s_addc_u32 s7, s7, 0
	v_cmp_lt_i64_e32 vcc, s[6:7], v[36:37]
	s_and_b64 vcc, exec, vcc
	s_waitcnt vmcnt(1)
	ds_write_b64 v44, v[38:39]
	s_waitcnt vmcnt(0)
	ds_write_b64 v45, v[40:41]
	s_waitcnt lgkmcnt(0)
	s_barrier
	ds_read2_b64 v[38:41], v46 offset1:16
	ds_read_b128 v[50:53], v47
	ds_read_b128 v[54:57], v47 offset:16
	ds_read_b128 v[58:61], v47 offset:512
	;; [unrolled: 1-line block ×6, first 2 shown]
	s_waitcnt lgkmcnt(6)
	v_fmac_f64_e32 v[30:31], v[38:39], v[50:51]
	v_fmac_f64_e32 v[28:29], v[40:41], v[50:51]
	s_waitcnt lgkmcnt(4)
	v_fmac_f64_e32 v[22:23], v[38:39], v[58:59]
	v_fmac_f64_e32 v[20:21], v[40:41], v[58:59]
	;; [unrolled: 3-line block ×4, first 2 shown]
	ds_read2_b64 v[38:41], v46 offset0:32 offset1:48
	ds_read2_b64 v[82:85], v46 offset0:96 offset1:112
	ds_read_b128 v[78:81], v47 offset:1552
	s_waitcnt lgkmcnt(2)
	v_fmac_f64_e32 v[26:27], v[38:39], v[50:51]
	v_fmac_f64_e32 v[24:25], v[40:41], v[50:51]
	;; [unrolled: 1-line block ×8, first 2 shown]
	ds_read2_b64 v[38:41], v46 offset0:64 offset1:80
	s_waitcnt lgkmcnt(2)
	v_fmac_f64_e32 v[26:27], v[82:83], v[52:53]
	v_fmac_f64_e32 v[24:25], v[84:85], v[52:53]
	;; [unrolled: 1-line block ×4, first 2 shown]
	s_waitcnt lgkmcnt(0)
	v_fmac_f64_e32 v[30:31], v[38:39], v[52:53]
	v_fmac_f64_e32 v[28:29], v[40:41], v[52:53]
	;; [unrolled: 1-line block ×6, first 2 shown]
	ds_read2_b64 v[50:53], v46 offset0:128 offset1:144
	v_fmac_f64_e32 v[6:7], v[38:39], v[76:77]
	v_fmac_f64_e32 v[4:5], v[40:41], v[76:77]
	ds_read2_b64 v[38:41], v46 offset0:160 offset1:176
	v_fmac_f64_e32 v[10:11], v[82:83], v[68:69]
	v_fmac_f64_e32 v[8:9], v[84:85], v[68:69]
	ds_read2_b64 v[58:61], v46 offset0:192 offset1:208
	ds_read2_b64 v[66:69], v46 offset0:224 offset1:240
	v_fmac_f64_e32 v[2:3], v[82:83], v[76:77]
	v_fmac_f64_e32 v[0:1], v[84:85], v[76:77]
	s_waitcnt lgkmcnt(3)
	v_fmac_f64_e32 v[30:31], v[50:51], v[54:55]
	v_fmac_f64_e32 v[28:29], v[52:53], v[54:55]
	;; [unrolled: 1-line block ×8, first 2 shown]
	s_waitcnt lgkmcnt(2)
	v_fmac_f64_e32 v[26:27], v[38:39], v[54:55]
	v_fmac_f64_e32 v[24:25], v[40:41], v[54:55]
	;; [unrolled: 1-line block ×8, first 2 shown]
	s_waitcnt lgkmcnt(1)
	v_fmac_f64_e32 v[30:31], v[58:59], v[56:57]
	v_fmac_f64_e32 v[28:29], v[60:61], v[56:57]
	s_waitcnt lgkmcnt(0)
	v_fmac_f64_e32 v[26:27], v[66:67], v[56:57]
	v_fmac_f64_e32 v[24:25], v[68:69], v[56:57]
	;; [unrolled: 1-line block ×14, first 2 shown]
	s_barrier
	s_cbranch_vccnz .LBB67_2
	s_branch .LBB67_4
.LBB67_3:
	v_pk_mov_b32 v[30:31], 0, 0
	v_pk_mov_b32 v[28:29], 0, 0
	v_pk_mov_b32 v[26:27], 0, 0
	v_pk_mov_b32 v[24:25], 0, 0
	v_pk_mov_b32 v[22:23], 0, 0
	v_pk_mov_b32 v[20:21], 0, 0
	v_pk_mov_b32 v[18:19], 0, 0
	v_pk_mov_b32 v[16:17], 0, 0
	v_pk_mov_b32 v[14:15], 0, 0
	v_pk_mov_b32 v[12:13], 0, 0
	v_pk_mov_b32 v[10:11], 0, 0
	v_pk_mov_b32 v[8:9], 0, 0
	v_pk_mov_b32 v[6:7], 0, 0
	v_pk_mov_b32 v[4:5], 0, 0
	v_pk_mov_b32 v[2:3], 0, 0
	v_pk_mov_b32 v[0:1], 0, 0
.LBB67_4:
	s_load_dwordx8 s[24:31], s[4:5], 0x70
	s_load_dwordx8 s[16:23], s[4:5], 0x50
	v_mov_b32_e32 v32, s3
	v_add_co_u32_e32 v34, vcc, s2, v43
	s_waitcnt lgkmcnt(0)
	s_mul_i32 s3, s8, s29
	s_mul_hi_u32 s5, s8, s28
	s_mul_i32 s4, s8, s28
	s_add_i32 s5, s5, s3
	v_addc_co_u32_e32 v37, vcc, 0, v32, vcc
	s_lshl_b64 s[4:5], s[4:5], 3
	v_mov_b32_e32 v33, s1
	v_add_co_u32_e32 v32, vcc, s0, v42
	s_add_u32 s4, s24, s4
	v_cmp_neq_f64_e64 s[6:7], s[16:17], 0
	v_addc_co_u32_e32 v33, vcc, 0, v33, vcc
	s_addc_u32 s5, s25, s5
	s_mov_b64 s[2:3], 0
	s_and_b64 vcc, exec, s[6:7]
	v_mul_lo_u32 v35, v37, s26
	v_mul_lo_u32 v36, v34, s27
	v_lshlrev_b64 v[32:33], 3, v[32:33]
	s_cbranch_vccnz .LBB67_8
; %bb.5:
	v_mad_u64_u32 v[38:39], s[0:1], v34, s26, 0
	v_add3_u32 v39, v39, v36, v35
	v_lshlrev_b64 v[38:39], 3, v[38:39]
	v_mov_b32_e32 v40, s5
	v_add_co_u32_e32 v41, vcc, s4, v38
	v_addc_co_u32_e32 v42, vcc, v40, v39, vcc
	v_add_co_u32_e32 v40, vcc, v41, v32
	v_mul_f64 v[38:39], v[30:31], s[14:15]
	v_addc_co_u32_e32 v41, vcc, v42, v33, vcc
	global_store_dwordx2 v[40:41], v[38:39], off
	v_mul_f64 v[38:39], v[28:29], s[14:15]
	global_store_dwordx2 v[40:41], v[38:39], off offset:128
	v_mul_f64 v[38:39], v[26:27], s[14:15]
	global_store_dwordx2 v[40:41], v[38:39], off offset:256
	v_mul_f64 v[38:39], v[24:25], s[14:15]
	s_lshl_b64 s[0:1], s[26:27], 7
	global_store_dwordx2 v[40:41], v[38:39], off offset:384
	v_mov_b32_e32 v42, s1
	v_add_co_u32_e32 v40, vcc, s0, v40
	v_mul_f64 v[38:39], v[22:23], s[14:15]
	v_addc_co_u32_e32 v41, vcc, v41, v42, vcc
	global_store_dwordx2 v[40:41], v[38:39], off
	v_mul_f64 v[38:39], v[20:21], s[14:15]
	global_store_dwordx2 v[40:41], v[38:39], off offset:128
	v_mul_f64 v[38:39], v[18:19], s[14:15]
	global_store_dwordx2 v[40:41], v[38:39], off offset:256
	v_mul_f64 v[38:39], v[16:17], s[14:15]
	global_store_dwordx2 v[40:41], v[38:39], off offset:384
	v_add_co_u32_e32 v40, vcc, s0, v40
	v_mul_f64 v[38:39], v[14:15], s[14:15]
	v_addc_co_u32_e32 v41, vcc, v41, v42, vcc
	global_store_dwordx2 v[40:41], v[38:39], off
	v_mul_f64 v[38:39], v[12:13], s[14:15]
	global_store_dwordx2 v[40:41], v[38:39], off offset:128
	v_mul_f64 v[38:39], v[10:11], s[14:15]
	global_store_dwordx2 v[40:41], v[38:39], off offset:256
	v_mul_f64 v[38:39], v[8:9], s[14:15]
	global_store_dwordx2 v[40:41], v[38:39], off offset:384
	;; [unrolled: 10-line block ×3, first 2 shown]
	s_andn2_b64 vcc, exec, s[2:3]
	s_cbranch_vccnz .LBB67_7
.LBB67_6:
	s_mul_i32 s0, s8, s23
	s_mul_hi_u32 s1, s8, s22
	s_add_i32 s1, s1, s0
	s_mul_i32 s0, s8, s22
	s_lshl_b64 s[0:1], s[0:1], 3
	s_add_u32 s2, s18, s0
	s_addc_u32 s3, s19, s1
	v_mul_lo_u32 v37, v37, s20
	v_mul_lo_u32 v40, v34, s21
	v_mad_u64_u32 v[38:39], s[0:1], v34, s20, 0
	v_add3_u32 v39, v39, v40, v37
	v_lshlrev_b64 v[38:39], 3, v[38:39]
	v_mov_b32_e32 v37, s3
	v_add_co_u32_e32 v38, vcc, s2, v38
	v_addc_co_u32_e32 v37, vcc, v37, v39, vcc
	v_add_co_u32_e32 v38, vcc, v38, v32
	v_addc_co_u32_e32 v39, vcc, v37, v33, vcc
	global_load_dwordx2 v[40:41], v[38:39], off
	v_mad_u64_u32 v[42:43], s[0:1], v34, s26, 0
	v_add3_u32 v43, v43, v36, v35
	v_lshlrev_b64 v[34:35], 3, v[42:43]
	v_mov_b32_e32 v37, s5
	v_add_co_u32_e32 v34, vcc, s4, v34
	v_addc_co_u32_e32 v35, vcc, v37, v35, vcc
	v_add_co_u32_e32 v32, vcc, v34, v32
	v_addc_co_u32_e32 v33, vcc, v35, v33, vcc
	s_lshl_b64 s[0:1], s[20:21], 7
	s_lshl_b64 s[2:3], s[26:27], 7
	s_waitcnt vmcnt(0)
	v_mul_f64 v[34:35], v[40:41], s[16:17]
	v_fmac_f64_e32 v[34:35], s[14:15], v[30:31]
	global_store_dwordx2 v[32:33], v[34:35], off
	global_load_dwordx2 v[30:31], v[38:39], off offset:128
	s_waitcnt vmcnt(0)
	v_mul_f64 v[30:31], v[30:31], s[16:17]
	v_fmac_f64_e32 v[30:31], s[14:15], v[28:29]
	global_store_dwordx2 v[32:33], v[30:31], off offset:128
	global_load_dwordx2 v[28:29], v[38:39], off offset:256
	v_mov_b32_e32 v30, s1
	v_mov_b32_e32 v31, s3
	s_waitcnt vmcnt(0)
	v_mul_f64 v[28:29], v[28:29], s[16:17]
	v_fmac_f64_e32 v[28:29], s[14:15], v[26:27]
	global_store_dwordx2 v[32:33], v[28:29], off offset:256
	global_load_dwordx2 v[26:27], v[38:39], off offset:384
	v_add_co_u32_e32 v28, vcc, s0, v38
	v_addc_co_u32_e32 v29, vcc, v39, v30, vcc
	s_waitcnt vmcnt(0)
	v_mul_f64 v[26:27], v[26:27], s[16:17]
	v_fmac_f64_e32 v[26:27], s[14:15], v[24:25]
	global_store_dwordx2 v[32:33], v[26:27], off offset:384
	global_load_dwordx2 v[24:25], v[28:29], off
	v_add_co_u32_e32 v26, vcc, s2, v32
	v_addc_co_u32_e32 v27, vcc, v33, v31, vcc
	s_waitcnt vmcnt(0)
	v_mul_f64 v[24:25], v[24:25], s[16:17]
	v_fmac_f64_e32 v[24:25], s[14:15], v[22:23]
	global_store_dwordx2 v[26:27], v[24:25], off
	global_load_dwordx2 v[22:23], v[28:29], off offset:128
	s_waitcnt vmcnt(0)
	v_mul_f64 v[22:23], v[22:23], s[16:17]
	v_fmac_f64_e32 v[22:23], s[14:15], v[20:21]
	global_store_dwordx2 v[26:27], v[22:23], off offset:128
	global_load_dwordx2 v[20:21], v[28:29], off offset:256
	s_waitcnt vmcnt(0)
	v_mul_f64 v[20:21], v[20:21], s[16:17]
	v_fmac_f64_e32 v[20:21], s[14:15], v[18:19]
	global_store_dwordx2 v[26:27], v[20:21], off offset:256
	global_load_dwordx2 v[18:19], v[28:29], off offset:384
	v_add_co_u32_e32 v20, vcc, s0, v28
	v_addc_co_u32_e32 v21, vcc, v29, v30, vcc
	s_waitcnt vmcnt(0)
	v_mul_f64 v[18:19], v[18:19], s[16:17]
	v_fmac_f64_e32 v[18:19], s[14:15], v[16:17]
	global_store_dwordx2 v[26:27], v[18:19], off offset:384
	global_load_dwordx2 v[16:17], v[20:21], off
	v_add_co_u32_e32 v18, vcc, s2, v26
	v_addc_co_u32_e32 v19, vcc, v27, v31, vcc
	s_waitcnt vmcnt(0)
	v_mul_f64 v[16:17], v[16:17], s[16:17]
	v_fmac_f64_e32 v[16:17], s[14:15], v[14:15]
	global_store_dwordx2 v[18:19], v[16:17], off
	global_load_dwordx2 v[14:15], v[20:21], off offset:128
	s_waitcnt vmcnt(0)
	v_mul_f64 v[14:15], v[14:15], s[16:17]
	v_fmac_f64_e32 v[14:15], s[14:15], v[12:13]
	global_store_dwordx2 v[18:19], v[14:15], off offset:128
	global_load_dwordx2 v[12:13], v[20:21], off offset:256
	s_waitcnt vmcnt(0)
	v_mul_f64 v[12:13], v[12:13], s[16:17]
	v_fmac_f64_e32 v[12:13], s[14:15], v[10:11]
	global_store_dwordx2 v[18:19], v[12:13], off offset:256
	global_load_dwordx2 v[10:11], v[20:21], off offset:384
	v_add_co_u32_e32 v12, vcc, s0, v20
	v_addc_co_u32_e32 v13, vcc, v21, v30, vcc
	s_waitcnt vmcnt(0)
	v_mul_f64 v[10:11], v[10:11], s[16:17]
	v_fmac_f64_e32 v[10:11], s[14:15], v[8:9]
	global_store_dwordx2 v[18:19], v[10:11], off offset:384
	global_load_dwordx2 v[8:9], v[12:13], off
	s_waitcnt vmcnt(0)
	v_mul_f64 v[8:9], v[8:9], s[16:17]
	v_fmac_f64_e32 v[8:9], s[14:15], v[6:7]
	v_add_co_u32_e32 v6, vcc, s2, v18
	v_addc_co_u32_e32 v7, vcc, v19, v31, vcc
	global_store_dwordx2 v[6:7], v[8:9], off
	global_load_dwordx2 v[8:9], v[12:13], off offset:128
	s_waitcnt vmcnt(0)
	v_mul_f64 v[8:9], v[8:9], s[16:17]
	v_fmac_f64_e32 v[8:9], s[14:15], v[4:5]
	global_store_dwordx2 v[6:7], v[8:9], off offset:128
	global_load_dwordx2 v[4:5], v[12:13], off offset:256
	s_waitcnt vmcnt(0)
	v_mul_f64 v[4:5], v[4:5], s[16:17]
	v_fmac_f64_e32 v[4:5], s[14:15], v[2:3]
	global_store_dwordx2 v[6:7], v[4:5], off offset:256
	;; [unrolled: 5-line block ×3, first 2 shown]
.LBB67_7:
	s_endpgm
.LBB67_8:
	s_branch .LBB67_6
	.section	.rodata,"a",@progbits
	.p2align	6, 0x0
	.amdhsa_kernel _ZN12_GLOBAL__N_127rocblas_gemm_batched_kernelIdLi16ELi16ELi64ELi64ELi4ELi64ELi4ELi4ELi64ELc78ELc67EKdS1_dEEvlllT_PT11_llS4_llS2_PT12_llPT13_lli
		.amdhsa_group_segment_fixed_size 4096
		.amdhsa_private_segment_fixed_size 0
		.amdhsa_kernarg_size 140
		.amdhsa_user_sgpr_count 6
		.amdhsa_user_sgpr_private_segment_buffer 1
		.amdhsa_user_sgpr_dispatch_ptr 0
		.amdhsa_user_sgpr_queue_ptr 0
		.amdhsa_user_sgpr_kernarg_segment_ptr 1
		.amdhsa_user_sgpr_dispatch_id 0
		.amdhsa_user_sgpr_flat_scratch_init 0
		.amdhsa_user_sgpr_kernarg_preload_length 0
		.amdhsa_user_sgpr_kernarg_preload_offset 0
		.amdhsa_user_sgpr_private_segment_size 0
		.amdhsa_uses_dynamic_stack 0
		.amdhsa_system_sgpr_private_segment_wavefront_offset 0
		.amdhsa_system_sgpr_workgroup_id_x 1
		.amdhsa_system_sgpr_workgroup_id_y 1
		.amdhsa_system_sgpr_workgroup_id_z 1
		.amdhsa_system_sgpr_workgroup_info 0
		.amdhsa_system_vgpr_workitem_id 1
		.amdhsa_next_free_vgpr 86
		.amdhsa_next_free_sgpr 32
		.amdhsa_accum_offset 88
		.amdhsa_reserve_vcc 1
		.amdhsa_reserve_flat_scratch 0
		.amdhsa_float_round_mode_32 0
		.amdhsa_float_round_mode_16_64 0
		.amdhsa_float_denorm_mode_32 3
		.amdhsa_float_denorm_mode_16_64 3
		.amdhsa_dx10_clamp 1
		.amdhsa_ieee_mode 1
		.amdhsa_fp16_overflow 0
		.amdhsa_tg_split 0
		.amdhsa_exception_fp_ieee_invalid_op 0
		.amdhsa_exception_fp_denorm_src 0
		.amdhsa_exception_fp_ieee_div_zero 0
		.amdhsa_exception_fp_ieee_overflow 0
		.amdhsa_exception_fp_ieee_underflow 0
		.amdhsa_exception_fp_ieee_inexact 0
		.amdhsa_exception_int_div_zero 0
	.end_amdhsa_kernel
	.section	.text._ZN12_GLOBAL__N_127rocblas_gemm_batched_kernelIdLi16ELi16ELi64ELi64ELi4ELi64ELi4ELi4ELi64ELc78ELc67EKdS1_dEEvlllT_PT11_llS4_llS2_PT12_llPT13_lli,"axG",@progbits,_ZN12_GLOBAL__N_127rocblas_gemm_batched_kernelIdLi16ELi16ELi64ELi64ELi4ELi64ELi4ELi4ELi64ELc78ELc67EKdS1_dEEvlllT_PT11_llS4_llS2_PT12_llPT13_lli,comdat
.Lfunc_end67:
	.size	_ZN12_GLOBAL__N_127rocblas_gemm_batched_kernelIdLi16ELi16ELi64ELi64ELi4ELi64ELi4ELi4ELi64ELc78ELc67EKdS1_dEEvlllT_PT11_llS4_llS2_PT12_llPT13_lli, .Lfunc_end67-_ZN12_GLOBAL__N_127rocblas_gemm_batched_kernelIdLi16ELi16ELi64ELi64ELi4ELi64ELi4ELi4ELi64ELc78ELc67EKdS1_dEEvlllT_PT11_llS4_llS2_PT12_llPT13_lli
                                        ; -- End function
	.section	.AMDGPU.csdata,"",@progbits
; Kernel info:
; codeLenInByte = 2292
; NumSgprs: 36
; NumVgprs: 86
; NumAgprs: 0
; TotalNumVgprs: 86
; ScratchSize: 0
; MemoryBound: 0
; FloatMode: 240
; IeeeMode: 1
; LDSByteSize: 4096 bytes/workgroup (compile time only)
; SGPRBlocks: 4
; VGPRBlocks: 10
; NumSGPRsForWavesPerEU: 36
; NumVGPRsForWavesPerEU: 86
; AccumOffset: 88
; Occupancy: 5
; WaveLimiterHint : 1
; COMPUTE_PGM_RSRC2:SCRATCH_EN: 0
; COMPUTE_PGM_RSRC2:USER_SGPR: 6
; COMPUTE_PGM_RSRC2:TRAP_HANDLER: 0
; COMPUTE_PGM_RSRC2:TGID_X_EN: 1
; COMPUTE_PGM_RSRC2:TGID_Y_EN: 1
; COMPUTE_PGM_RSRC2:TGID_Z_EN: 1
; COMPUTE_PGM_RSRC2:TIDIG_COMP_CNT: 1
; COMPUTE_PGM_RSRC3_GFX90A:ACCUM_OFFSET: 21
; COMPUTE_PGM_RSRC3_GFX90A:TG_SPLIT: 0
	.section	.text._ZN12_GLOBAL__N_127rocblas_gemm_batched_kernelIdLi16ELi16ELi64ELi64ELi4ELi64ELi4ELi4ELi64ELc84ELc67EKdS1_dEEvlllT_PT11_llS4_llS2_PT12_llPT13_lli,"axG",@progbits,_ZN12_GLOBAL__N_127rocblas_gemm_batched_kernelIdLi16ELi16ELi64ELi64ELi4ELi64ELi4ELi4ELi64ELc84ELc67EKdS1_dEEvlllT_PT11_llS4_llS2_PT12_llPT13_lli,comdat
	.globl	_ZN12_GLOBAL__N_127rocblas_gemm_batched_kernelIdLi16ELi16ELi64ELi64ELi4ELi64ELi4ELi4ELi64ELc84ELc67EKdS1_dEEvlllT_PT11_llS4_llS2_PT12_llPT13_lli ; -- Begin function _ZN12_GLOBAL__N_127rocblas_gemm_batched_kernelIdLi16ELi16ELi64ELi64ELi4ELi64ELi4ELi4ELi64ELc84ELc67EKdS1_dEEvlllT_PT11_llS4_llS2_PT12_llPT13_lli
	.p2align	8
	.type	_ZN12_GLOBAL__N_127rocblas_gemm_batched_kernelIdLi16ELi16ELi64ELi64ELi4ELi64ELi4ELi4ELi64ELc84ELc67EKdS1_dEEvlllT_PT11_llS4_llS2_PT12_llPT13_lli,@function
_ZN12_GLOBAL__N_127rocblas_gemm_batched_kernelIdLi16ELi16ELi64ELi64ELi4ELi64ELi4ELi4ELi64ELc84ELc67EKdS1_dEEvlllT_PT11_llS4_llS2_PT12_llPT13_lli: ; @_ZN12_GLOBAL__N_127rocblas_gemm_batched_kernelIdLi16ELi16ELi64ELi64ELi4ELi64ELi4ELi4ELi64ELc84ELc67EKdS1_dEEvlllT_PT11_llS4_llS2_PT12_llPT13_lli
; %bb.0:
	s_load_dwordx16 s[12:27], s[4:5], 0x10
	s_mov_b32 s2, s7
	s_ashr_i32 s7, s6, 31
	s_ashr_i32 s3, s2, 31
	v_bfe_u32 v43, v0, 10, 10
	s_waitcnt lgkmcnt(0)
	v_cmp_lt_i64_e64 s[10:11], s[12:13], 1
	v_and_b32_e32 v42, 0x3ff, v0
	s_lshl_b64 s[0:1], s[6:7], 6
	s_lshl_b64 s[2:3], s[2:3], 6
	s_mov_b64 s[6:7], 0
	s_and_b64 vcc, exec, s[10:11]
	s_cbranch_vccnz .LBB68_3
; %bb.1:
	v_lshl_add_u32 v2, v43, 4, v42
	v_and_b32_e32 v4, 63, v2
	v_lshrrev_b32_e32 v0, 2, v2
	v_and_b32_e32 v3, 3, v42
	v_lshrrev_b32_e32 v5, 6, v2
	v_lshlrev_b32_e32 v2, 3, v4
	v_lshl_or_b32 v44, v5, 9, v2
	v_lshlrev_b32_e32 v2, 3, v3
	v_mov_b32_e32 v1, 0
	v_lshl_or_b32 v2, v0, 5, v2
	s_mul_i32 s9, s27, s8
	s_mul_hi_u32 s10, s26, s8
	v_add_u32_e32 v45, 0x800, v2
	v_mov_b32_e32 v2, 0x800
	s_add_i32 s11, s10, s9
	s_mul_i32 s10, s26, s8
	v_mad_u64_u32 v[0:1], s[26:27], v3, s24, v[0:1]
	v_lshl_add_u32 v47, v43, 5, v2
	v_mov_b32_e32 v2, v1
	v_mad_u64_u32 v[2:3], s[26:27], v3, s25, v[2:3]
	s_lshl_b64 s[10:11], s[10:11], 3
	v_mov_b32_e32 v1, v2
	v_mov_b32_e32 v2, s3
	v_add_co_u32_e32 v0, vcc, s2, v0
	v_addc_co_u32_e32 v1, vcc, v1, v2, vcc
	s_add_u32 s9, s22, s10
	v_lshlrev_b64 v[0:1], 3, v[0:1]
	s_addc_u32 s10, s23, s11
	v_mov_b32_e32 v2, s10
	v_add_co_u32_e32 v32, vcc, s9, v0
	v_addc_co_u32_e32 v33, vcc, v2, v1, vcc
	v_mov_b32_e32 v0, s1
	v_add_co_u32_e32 v1, vcc, s0, v4
	v_addc_co_u32_e32 v0, vcc, 0, v0, vcc
	v_mul_lo_u32 v2, s19, v1
	v_mul_lo_u32 v3, s18, v0
	v_mad_u64_u32 v[0:1], s[18:19], s18, v1, 0
	s_mul_i32 s9, s21, s8
	s_mul_hi_u32 s18, s20, s8
	v_add3_u32 v1, v1, v3, v2
	s_add_i32 s19, s18, s9
	s_mul_i32 s18, s20, s8
	v_lshlrev_b64 v[0:1], 3, v[0:1]
	s_lshl_b64 s[18:19], s[18:19], 3
	v_mov_b32_e32 v2, s19
	v_add_co_u32_e32 v0, vcc, s18, v0
	v_addc_co_u32_e32 v1, vcc, v1, v2, vcc
	v_lshlrev_b32_e32 v2, 3, v5
	v_add_co_u32_e32 v0, vcc, v0, v2
	v_addc_co_u32_e32 v1, vcc, 0, v1, vcc
	s_lshl_b64 s[10:11], s[24:25], 5
	v_mov_b32_e32 v2, s17
	v_add_co_u32_e32 v34, vcc, s16, v0
	v_lshlrev_b32_e32 v46, 3, v42
	v_addc_co_u32_e32 v35, vcc, v2, v1, vcc
	v_pk_mov_b32 v[0:1], 0, 0
	v_mov_b32_e32 v48, s11
	v_pk_mov_b32 v[36:37], s[12:13], s[12:13] op_sel:[0,1]
	v_pk_mov_b32 v[2:3], 0, 0
	v_pk_mov_b32 v[4:5], 0, 0
	;; [unrolled: 1-line block ×15, first 2 shown]
.LBB68_2:                               ; =>This Inner Loop Header: Depth=1
	global_load_dwordx2 v[38:39], v[34:35], off
	global_load_dwordx2 v[40:41], v[32:33], off
	v_add_co_u32_e32 v32, vcc, s10, v32
	v_addc_co_u32_e32 v33, vcc, v33, v48, vcc
	s_add_u32 s6, s6, 4
	v_add_co_u32_e32 v34, vcc, 32, v34
	v_addc_co_u32_e32 v35, vcc, 0, v35, vcc
	s_addc_u32 s7, s7, 0
	v_cmp_lt_i64_e32 vcc, s[6:7], v[36:37]
	s_and_b64 vcc, exec, vcc
	s_waitcnt vmcnt(1)
	ds_write_b64 v44, v[38:39]
	s_waitcnt vmcnt(0)
	ds_write_b64 v45, v[40:41]
	s_waitcnt lgkmcnt(0)
	s_barrier
	ds_read2_b64 v[38:41], v46 offset1:16
	ds_read_b128 v[50:53], v47
	ds_read_b128 v[54:57], v47 offset:16
	ds_read_b128 v[58:61], v47 offset:512
	;; [unrolled: 1-line block ×6, first 2 shown]
	s_waitcnt lgkmcnt(6)
	v_fmac_f64_e32 v[30:31], v[38:39], v[50:51]
	v_fmac_f64_e32 v[28:29], v[40:41], v[50:51]
	s_waitcnt lgkmcnt(4)
	v_fmac_f64_e32 v[22:23], v[38:39], v[58:59]
	v_fmac_f64_e32 v[20:21], v[40:41], v[58:59]
	;; [unrolled: 3-line block ×4, first 2 shown]
	ds_read2_b64 v[38:41], v46 offset0:32 offset1:48
	ds_read2_b64 v[82:85], v46 offset0:96 offset1:112
	ds_read_b128 v[78:81], v47 offset:1552
	s_waitcnt lgkmcnt(2)
	v_fmac_f64_e32 v[26:27], v[38:39], v[50:51]
	v_fmac_f64_e32 v[24:25], v[40:41], v[50:51]
	;; [unrolled: 1-line block ×8, first 2 shown]
	ds_read2_b64 v[38:41], v46 offset0:64 offset1:80
	s_waitcnt lgkmcnt(2)
	v_fmac_f64_e32 v[26:27], v[82:83], v[52:53]
	v_fmac_f64_e32 v[24:25], v[84:85], v[52:53]
	;; [unrolled: 1-line block ×4, first 2 shown]
	s_waitcnt lgkmcnt(0)
	v_fmac_f64_e32 v[30:31], v[38:39], v[52:53]
	v_fmac_f64_e32 v[28:29], v[40:41], v[52:53]
	;; [unrolled: 1-line block ×6, first 2 shown]
	ds_read2_b64 v[50:53], v46 offset0:128 offset1:144
	v_fmac_f64_e32 v[6:7], v[38:39], v[76:77]
	v_fmac_f64_e32 v[4:5], v[40:41], v[76:77]
	ds_read2_b64 v[38:41], v46 offset0:160 offset1:176
	v_fmac_f64_e32 v[10:11], v[82:83], v[68:69]
	v_fmac_f64_e32 v[8:9], v[84:85], v[68:69]
	ds_read2_b64 v[58:61], v46 offset0:192 offset1:208
	ds_read2_b64 v[66:69], v46 offset0:224 offset1:240
	v_fmac_f64_e32 v[2:3], v[82:83], v[76:77]
	v_fmac_f64_e32 v[0:1], v[84:85], v[76:77]
	s_waitcnt lgkmcnt(3)
	v_fmac_f64_e32 v[30:31], v[50:51], v[54:55]
	v_fmac_f64_e32 v[28:29], v[52:53], v[54:55]
	;; [unrolled: 1-line block ×8, first 2 shown]
	s_waitcnt lgkmcnt(2)
	v_fmac_f64_e32 v[26:27], v[38:39], v[54:55]
	v_fmac_f64_e32 v[24:25], v[40:41], v[54:55]
	;; [unrolled: 1-line block ×8, first 2 shown]
	s_waitcnt lgkmcnt(1)
	v_fmac_f64_e32 v[30:31], v[58:59], v[56:57]
	v_fmac_f64_e32 v[28:29], v[60:61], v[56:57]
	s_waitcnt lgkmcnt(0)
	v_fmac_f64_e32 v[26:27], v[66:67], v[56:57]
	v_fmac_f64_e32 v[24:25], v[68:69], v[56:57]
	;; [unrolled: 1-line block ×14, first 2 shown]
	s_barrier
	s_cbranch_vccnz .LBB68_2
	s_branch .LBB68_4
.LBB68_3:
	v_pk_mov_b32 v[30:31], 0, 0
	v_pk_mov_b32 v[28:29], 0, 0
	;; [unrolled: 1-line block ×16, first 2 shown]
.LBB68_4:
	s_load_dwordx8 s[24:31], s[4:5], 0x70
	s_load_dwordx8 s[16:23], s[4:5], 0x50
	v_mov_b32_e32 v32, s3
	v_add_co_u32_e32 v34, vcc, s2, v43
	s_waitcnt lgkmcnt(0)
	s_mul_i32 s3, s8, s29
	s_mul_hi_u32 s5, s8, s28
	s_mul_i32 s4, s8, s28
	s_add_i32 s5, s5, s3
	v_addc_co_u32_e32 v37, vcc, 0, v32, vcc
	s_lshl_b64 s[4:5], s[4:5], 3
	v_mov_b32_e32 v33, s1
	v_add_co_u32_e32 v32, vcc, s0, v42
	s_add_u32 s4, s24, s4
	v_cmp_neq_f64_e64 s[6:7], s[16:17], 0
	v_addc_co_u32_e32 v33, vcc, 0, v33, vcc
	s_addc_u32 s5, s25, s5
	s_mov_b64 s[2:3], 0
	s_and_b64 vcc, exec, s[6:7]
	v_mul_lo_u32 v35, v37, s26
	v_mul_lo_u32 v36, v34, s27
	v_lshlrev_b64 v[32:33], 3, v[32:33]
	s_cbranch_vccnz .LBB68_8
; %bb.5:
	v_mad_u64_u32 v[38:39], s[0:1], v34, s26, 0
	v_add3_u32 v39, v39, v36, v35
	v_lshlrev_b64 v[38:39], 3, v[38:39]
	v_mov_b32_e32 v40, s5
	v_add_co_u32_e32 v41, vcc, s4, v38
	v_addc_co_u32_e32 v42, vcc, v40, v39, vcc
	v_add_co_u32_e32 v40, vcc, v41, v32
	v_mul_f64 v[38:39], v[30:31], s[14:15]
	v_addc_co_u32_e32 v41, vcc, v42, v33, vcc
	global_store_dwordx2 v[40:41], v[38:39], off
	v_mul_f64 v[38:39], v[28:29], s[14:15]
	global_store_dwordx2 v[40:41], v[38:39], off offset:128
	v_mul_f64 v[38:39], v[26:27], s[14:15]
	global_store_dwordx2 v[40:41], v[38:39], off offset:256
	v_mul_f64 v[38:39], v[24:25], s[14:15]
	s_lshl_b64 s[0:1], s[26:27], 7
	global_store_dwordx2 v[40:41], v[38:39], off offset:384
	v_mov_b32_e32 v42, s1
	v_add_co_u32_e32 v40, vcc, s0, v40
	v_mul_f64 v[38:39], v[22:23], s[14:15]
	v_addc_co_u32_e32 v41, vcc, v41, v42, vcc
	global_store_dwordx2 v[40:41], v[38:39], off
	v_mul_f64 v[38:39], v[20:21], s[14:15]
	global_store_dwordx2 v[40:41], v[38:39], off offset:128
	v_mul_f64 v[38:39], v[18:19], s[14:15]
	global_store_dwordx2 v[40:41], v[38:39], off offset:256
	v_mul_f64 v[38:39], v[16:17], s[14:15]
	global_store_dwordx2 v[40:41], v[38:39], off offset:384
	v_add_co_u32_e32 v40, vcc, s0, v40
	v_mul_f64 v[38:39], v[14:15], s[14:15]
	v_addc_co_u32_e32 v41, vcc, v41, v42, vcc
	global_store_dwordx2 v[40:41], v[38:39], off
	v_mul_f64 v[38:39], v[12:13], s[14:15]
	global_store_dwordx2 v[40:41], v[38:39], off offset:128
	v_mul_f64 v[38:39], v[10:11], s[14:15]
	global_store_dwordx2 v[40:41], v[38:39], off offset:256
	v_mul_f64 v[38:39], v[8:9], s[14:15]
	global_store_dwordx2 v[40:41], v[38:39], off offset:384
	;; [unrolled: 10-line block ×3, first 2 shown]
	s_andn2_b64 vcc, exec, s[2:3]
	s_cbranch_vccnz .LBB68_7
.LBB68_6:
	s_mul_i32 s0, s8, s23
	s_mul_hi_u32 s1, s8, s22
	s_add_i32 s1, s1, s0
	s_mul_i32 s0, s8, s22
	s_lshl_b64 s[0:1], s[0:1], 3
	s_add_u32 s2, s18, s0
	s_addc_u32 s3, s19, s1
	v_mul_lo_u32 v37, v37, s20
	v_mul_lo_u32 v40, v34, s21
	v_mad_u64_u32 v[38:39], s[0:1], v34, s20, 0
	v_add3_u32 v39, v39, v40, v37
	v_lshlrev_b64 v[38:39], 3, v[38:39]
	v_mov_b32_e32 v37, s3
	v_add_co_u32_e32 v38, vcc, s2, v38
	v_addc_co_u32_e32 v37, vcc, v37, v39, vcc
	v_add_co_u32_e32 v38, vcc, v38, v32
	v_addc_co_u32_e32 v39, vcc, v37, v33, vcc
	global_load_dwordx2 v[40:41], v[38:39], off
	v_mad_u64_u32 v[42:43], s[0:1], v34, s26, 0
	v_add3_u32 v43, v43, v36, v35
	v_lshlrev_b64 v[34:35], 3, v[42:43]
	v_mov_b32_e32 v37, s5
	v_add_co_u32_e32 v34, vcc, s4, v34
	v_addc_co_u32_e32 v35, vcc, v37, v35, vcc
	v_add_co_u32_e32 v32, vcc, v34, v32
	v_addc_co_u32_e32 v33, vcc, v35, v33, vcc
	s_lshl_b64 s[0:1], s[20:21], 7
	s_lshl_b64 s[2:3], s[26:27], 7
	s_waitcnt vmcnt(0)
	v_mul_f64 v[34:35], v[40:41], s[16:17]
	v_fmac_f64_e32 v[34:35], s[14:15], v[30:31]
	global_store_dwordx2 v[32:33], v[34:35], off
	global_load_dwordx2 v[30:31], v[38:39], off offset:128
	s_waitcnt vmcnt(0)
	v_mul_f64 v[30:31], v[30:31], s[16:17]
	v_fmac_f64_e32 v[30:31], s[14:15], v[28:29]
	global_store_dwordx2 v[32:33], v[30:31], off offset:128
	global_load_dwordx2 v[28:29], v[38:39], off offset:256
	v_mov_b32_e32 v30, s1
	v_mov_b32_e32 v31, s3
	s_waitcnt vmcnt(0)
	v_mul_f64 v[28:29], v[28:29], s[16:17]
	v_fmac_f64_e32 v[28:29], s[14:15], v[26:27]
	global_store_dwordx2 v[32:33], v[28:29], off offset:256
	global_load_dwordx2 v[26:27], v[38:39], off offset:384
	v_add_co_u32_e32 v28, vcc, s0, v38
	v_addc_co_u32_e32 v29, vcc, v39, v30, vcc
	s_waitcnt vmcnt(0)
	v_mul_f64 v[26:27], v[26:27], s[16:17]
	v_fmac_f64_e32 v[26:27], s[14:15], v[24:25]
	global_store_dwordx2 v[32:33], v[26:27], off offset:384
	global_load_dwordx2 v[24:25], v[28:29], off
	v_add_co_u32_e32 v26, vcc, s2, v32
	v_addc_co_u32_e32 v27, vcc, v33, v31, vcc
	s_waitcnt vmcnt(0)
	v_mul_f64 v[24:25], v[24:25], s[16:17]
	v_fmac_f64_e32 v[24:25], s[14:15], v[22:23]
	global_store_dwordx2 v[26:27], v[24:25], off
	global_load_dwordx2 v[22:23], v[28:29], off offset:128
	s_waitcnt vmcnt(0)
	v_mul_f64 v[22:23], v[22:23], s[16:17]
	v_fmac_f64_e32 v[22:23], s[14:15], v[20:21]
	global_store_dwordx2 v[26:27], v[22:23], off offset:128
	global_load_dwordx2 v[20:21], v[28:29], off offset:256
	s_waitcnt vmcnt(0)
	v_mul_f64 v[20:21], v[20:21], s[16:17]
	v_fmac_f64_e32 v[20:21], s[14:15], v[18:19]
	global_store_dwordx2 v[26:27], v[20:21], off offset:256
	global_load_dwordx2 v[18:19], v[28:29], off offset:384
	v_add_co_u32_e32 v20, vcc, s0, v28
	v_addc_co_u32_e32 v21, vcc, v29, v30, vcc
	s_waitcnt vmcnt(0)
	v_mul_f64 v[18:19], v[18:19], s[16:17]
	v_fmac_f64_e32 v[18:19], s[14:15], v[16:17]
	global_store_dwordx2 v[26:27], v[18:19], off offset:384
	global_load_dwordx2 v[16:17], v[20:21], off
	v_add_co_u32_e32 v18, vcc, s2, v26
	v_addc_co_u32_e32 v19, vcc, v27, v31, vcc
	s_waitcnt vmcnt(0)
	v_mul_f64 v[16:17], v[16:17], s[16:17]
	v_fmac_f64_e32 v[16:17], s[14:15], v[14:15]
	global_store_dwordx2 v[18:19], v[16:17], off
	global_load_dwordx2 v[14:15], v[20:21], off offset:128
	s_waitcnt vmcnt(0)
	v_mul_f64 v[14:15], v[14:15], s[16:17]
	v_fmac_f64_e32 v[14:15], s[14:15], v[12:13]
	global_store_dwordx2 v[18:19], v[14:15], off offset:128
	global_load_dwordx2 v[12:13], v[20:21], off offset:256
	s_waitcnt vmcnt(0)
	v_mul_f64 v[12:13], v[12:13], s[16:17]
	v_fmac_f64_e32 v[12:13], s[14:15], v[10:11]
	global_store_dwordx2 v[18:19], v[12:13], off offset:256
	global_load_dwordx2 v[10:11], v[20:21], off offset:384
	v_add_co_u32_e32 v12, vcc, s0, v20
	v_addc_co_u32_e32 v13, vcc, v21, v30, vcc
	s_waitcnt vmcnt(0)
	v_mul_f64 v[10:11], v[10:11], s[16:17]
	v_fmac_f64_e32 v[10:11], s[14:15], v[8:9]
	global_store_dwordx2 v[18:19], v[10:11], off offset:384
	global_load_dwordx2 v[8:9], v[12:13], off
	s_waitcnt vmcnt(0)
	v_mul_f64 v[8:9], v[8:9], s[16:17]
	v_fmac_f64_e32 v[8:9], s[14:15], v[6:7]
	v_add_co_u32_e32 v6, vcc, s2, v18
	v_addc_co_u32_e32 v7, vcc, v19, v31, vcc
	global_store_dwordx2 v[6:7], v[8:9], off
	global_load_dwordx2 v[8:9], v[12:13], off offset:128
	s_waitcnt vmcnt(0)
	v_mul_f64 v[8:9], v[8:9], s[16:17]
	v_fmac_f64_e32 v[8:9], s[14:15], v[4:5]
	global_store_dwordx2 v[6:7], v[8:9], off offset:128
	global_load_dwordx2 v[4:5], v[12:13], off offset:256
	s_waitcnt vmcnt(0)
	v_mul_f64 v[4:5], v[4:5], s[16:17]
	v_fmac_f64_e32 v[4:5], s[14:15], v[2:3]
	global_store_dwordx2 v[6:7], v[4:5], off offset:256
	;; [unrolled: 5-line block ×3, first 2 shown]
.LBB68_7:
	s_endpgm
.LBB68_8:
	s_branch .LBB68_6
	.section	.rodata,"a",@progbits
	.p2align	6, 0x0
	.amdhsa_kernel _ZN12_GLOBAL__N_127rocblas_gemm_batched_kernelIdLi16ELi16ELi64ELi64ELi4ELi64ELi4ELi4ELi64ELc84ELc67EKdS1_dEEvlllT_PT11_llS4_llS2_PT12_llPT13_lli
		.amdhsa_group_segment_fixed_size 4096
		.amdhsa_private_segment_fixed_size 0
		.amdhsa_kernarg_size 140
		.amdhsa_user_sgpr_count 6
		.amdhsa_user_sgpr_private_segment_buffer 1
		.amdhsa_user_sgpr_dispatch_ptr 0
		.amdhsa_user_sgpr_queue_ptr 0
		.amdhsa_user_sgpr_kernarg_segment_ptr 1
		.amdhsa_user_sgpr_dispatch_id 0
		.amdhsa_user_sgpr_flat_scratch_init 0
		.amdhsa_user_sgpr_kernarg_preload_length 0
		.amdhsa_user_sgpr_kernarg_preload_offset 0
		.amdhsa_user_sgpr_private_segment_size 0
		.amdhsa_uses_dynamic_stack 0
		.amdhsa_system_sgpr_private_segment_wavefront_offset 0
		.amdhsa_system_sgpr_workgroup_id_x 1
		.amdhsa_system_sgpr_workgroup_id_y 1
		.amdhsa_system_sgpr_workgroup_id_z 1
		.amdhsa_system_sgpr_workgroup_info 0
		.amdhsa_system_vgpr_workitem_id 1
		.amdhsa_next_free_vgpr 86
		.amdhsa_next_free_sgpr 32
		.amdhsa_accum_offset 88
		.amdhsa_reserve_vcc 1
		.amdhsa_reserve_flat_scratch 0
		.amdhsa_float_round_mode_32 0
		.amdhsa_float_round_mode_16_64 0
		.amdhsa_float_denorm_mode_32 3
		.amdhsa_float_denorm_mode_16_64 3
		.amdhsa_dx10_clamp 1
		.amdhsa_ieee_mode 1
		.amdhsa_fp16_overflow 0
		.amdhsa_tg_split 0
		.amdhsa_exception_fp_ieee_invalid_op 0
		.amdhsa_exception_fp_denorm_src 0
		.amdhsa_exception_fp_ieee_div_zero 0
		.amdhsa_exception_fp_ieee_overflow 0
		.amdhsa_exception_fp_ieee_underflow 0
		.amdhsa_exception_fp_ieee_inexact 0
		.amdhsa_exception_int_div_zero 0
	.end_amdhsa_kernel
	.section	.text._ZN12_GLOBAL__N_127rocblas_gemm_batched_kernelIdLi16ELi16ELi64ELi64ELi4ELi64ELi4ELi4ELi64ELc84ELc67EKdS1_dEEvlllT_PT11_llS4_llS2_PT12_llPT13_lli,"axG",@progbits,_ZN12_GLOBAL__N_127rocblas_gemm_batched_kernelIdLi16ELi16ELi64ELi64ELi4ELi64ELi4ELi4ELi64ELc84ELc67EKdS1_dEEvlllT_PT11_llS4_llS2_PT12_llPT13_lli,comdat
.Lfunc_end68:
	.size	_ZN12_GLOBAL__N_127rocblas_gemm_batched_kernelIdLi16ELi16ELi64ELi64ELi4ELi64ELi4ELi4ELi64ELc84ELc67EKdS1_dEEvlllT_PT11_llS4_llS2_PT12_llPT13_lli, .Lfunc_end68-_ZN12_GLOBAL__N_127rocblas_gemm_batched_kernelIdLi16ELi16ELi64ELi64ELi4ELi64ELi4ELi4ELi64ELc84ELc67EKdS1_dEEvlllT_PT11_llS4_llS2_PT12_llPT13_lli
                                        ; -- End function
	.section	.AMDGPU.csdata,"",@progbits
; Kernel info:
; codeLenInByte = 2304
; NumSgprs: 36
; NumVgprs: 86
; NumAgprs: 0
; TotalNumVgprs: 86
; ScratchSize: 0
; MemoryBound: 0
; FloatMode: 240
; IeeeMode: 1
; LDSByteSize: 4096 bytes/workgroup (compile time only)
; SGPRBlocks: 4
; VGPRBlocks: 10
; NumSGPRsForWavesPerEU: 36
; NumVGPRsForWavesPerEU: 86
; AccumOffset: 88
; Occupancy: 5
; WaveLimiterHint : 1
; COMPUTE_PGM_RSRC2:SCRATCH_EN: 0
; COMPUTE_PGM_RSRC2:USER_SGPR: 6
; COMPUTE_PGM_RSRC2:TRAP_HANDLER: 0
; COMPUTE_PGM_RSRC2:TGID_X_EN: 1
; COMPUTE_PGM_RSRC2:TGID_Y_EN: 1
; COMPUTE_PGM_RSRC2:TGID_Z_EN: 1
; COMPUTE_PGM_RSRC2:TIDIG_COMP_CNT: 1
; COMPUTE_PGM_RSRC3_GFX90A:ACCUM_OFFSET: 21
; COMPUTE_PGM_RSRC3_GFX90A:TG_SPLIT: 0
	.section	.text._ZN12_GLOBAL__N_127rocblas_gemm_batched_kernelIdLi16ELi16ELi32ELi32ELi8ELi32ELi8ELi8ELi32ELc78ELc78EKdS1_dEEvlllT_PT11_llS4_llS2_PT12_llPT13_lli,"axG",@progbits,_ZN12_GLOBAL__N_127rocblas_gemm_batched_kernelIdLi16ELi16ELi32ELi32ELi8ELi32ELi8ELi8ELi32ELc78ELc78EKdS1_dEEvlllT_PT11_llS4_llS2_PT12_llPT13_lli,comdat
	.globl	_ZN12_GLOBAL__N_127rocblas_gemm_batched_kernelIdLi16ELi16ELi32ELi32ELi8ELi32ELi8ELi8ELi32ELc78ELc78EKdS1_dEEvlllT_PT11_llS4_llS2_PT12_llPT13_lli ; -- Begin function _ZN12_GLOBAL__N_127rocblas_gemm_batched_kernelIdLi16ELi16ELi32ELi32ELi8ELi32ELi8ELi8ELi32ELc78ELc78EKdS1_dEEvlllT_PT11_llS4_llS2_PT12_llPT13_lli
	.p2align	8
	.type	_ZN12_GLOBAL__N_127rocblas_gemm_batched_kernelIdLi16ELi16ELi32ELi32ELi8ELi32ELi8ELi8ELi32ELc78ELc78EKdS1_dEEvlllT_PT11_llS4_llS2_PT12_llPT13_lli,@function
_ZN12_GLOBAL__N_127rocblas_gemm_batched_kernelIdLi16ELi16ELi32ELi32ELi8ELi32ELi8ELi8ELi32ELc78ELc78EKdS1_dEEvlllT_PT11_llS4_llS2_PT12_llPT13_lli: ; @_ZN12_GLOBAL__N_127rocblas_gemm_batched_kernelIdLi16ELi16ELi32ELi32ELi8ELi32ELi8ELi8ELi32ELc78ELc78EKdS1_dEEvlllT_PT11_llS4_llS2_PT12_llPT13_lli
; %bb.0:
	s_load_dwordx16 s[12:27], s[4:5], 0x10
	s_mov_b32 s2, s7
	s_ashr_i32 s7, s6, 31
	s_ashr_i32 s3, s2, 31
	v_bfe_u32 v15, v0, 10, 10
	s_waitcnt lgkmcnt(0)
	v_cmp_lt_i64_e64 s[10:11], s[12:13], 1
	v_and_b32_e32 v14, 0x3ff, v0
	s_lshl_b64 s[0:1], s[6:7], 5
	s_lshl_b64 s[2:3], s[2:3], 5
	s_mov_b64 s[6:7], 0
	s_and_b64 vcc, exec, s[10:11]
	s_cbranch_vccnz .LBB69_3
; %bb.1:
	v_lshl_add_u32 v0, v15, 4, v14
	v_and_b32_e32 v4, 7, v14
	v_and_b32_e32 v5, 31, v0
	v_lshrrev_b32_e32 v1, 3, v0
	v_lshrrev_b32_e32 v6, 5, v0
	v_lshlrev_b32_e32 v0, 3, v5
	v_lshlrev_b32_e32 v4, 3, v4
	v_lshl_or_b32 v16, v6, 8, v0
	v_lshl_or_b32 v0, v1, 6, v4
	v_mov_b32_e32 v2, s3
	v_add_co_u32_e32 v3, vcc, s2, v1
	v_add_u32_e32 v17, 0x800, v0
	v_mov_b32_e32 v0, 0x800
	v_addc_co_u32_e32 v2, vcc, 0, v2, vcc
	v_lshl_add_u32 v19, v15, 6, v0
	v_mad_u64_u32 v[0:1], s[10:11], s24, v3, 0
	v_mul_lo_u32 v7, s25, v3
	v_mul_lo_u32 v2, s24, v2
	s_mul_i32 s9, s27, s8
	s_mul_hi_u32 s10, s26, s8
	v_add3_u32 v1, v1, v2, v7
	s_add_i32 s11, s10, s9
	s_mul_i32 s10, s26, s8
	v_lshlrev_b64 v[0:1], 3, v[0:1]
	s_lshl_b64 s[10:11], s[10:11], 3
	v_mov_b32_e32 v2, s11
	v_add_co_u32_e32 v0, vcc, s10, v0
	v_addc_co_u32_e32 v1, vcc, v1, v2, vcc
	v_add_co_u32_e32 v0, vcc, v0, v4
	v_addc_co_u32_e32 v1, vcc, 0, v1, vcc
	v_mov_b32_e32 v2, s23
	v_add_co_u32_e32 v8, vcc, s22, v0
	v_addc_co_u32_e32 v9, vcc, v2, v1, vcc
	s_mul_i32 s9, s21, s8
	s_mul_hi_u32 s10, s20, s8
	v_pk_mov_b32 v[0:1], s[0:1], s[0:1] op_sel:[0,1]
	s_add_i32 s11, s10, s9
	s_mul_i32 s10, s20, s8
	v_mad_u64_u32 v[0:1], s[20:21], v6, s18, v[0:1]
	v_mov_b32_e32 v2, v1
	v_mad_u64_u32 v[2:3], s[20:21], v6, s19, v[2:3]
	s_lshl_b64 s[10:11], s[10:11], 3
	v_mov_b32_e32 v1, v2
	v_add_co_u32_e32 v0, vcc, v0, v5
	v_addc_co_u32_e32 v1, vcc, 0, v1, vcc
	s_add_u32 s9, s16, s10
	v_lshlrev_b64 v[0:1], 3, v[0:1]
	s_addc_u32 s10, s17, s11
	v_mov_b32_e32 v2, s10
	v_add_co_u32_e32 v10, vcc, s9, v0
	s_lshl_b64 s[10:11], s[18:19], 6
	v_lshlrev_b32_e32 v18, 3, v14
	v_addc_co_u32_e32 v11, vcc, v2, v1, vcc
	v_pk_mov_b32 v[0:1], 0, 0
	v_mov_b32_e32 v20, s11
	v_pk_mov_b32 v[12:13], s[12:13], s[12:13] op_sel:[0,1]
	v_pk_mov_b32 v[2:3], 0, 0
	v_pk_mov_b32 v[4:5], 0, 0
	;; [unrolled: 1-line block ×3, first 2 shown]
.LBB69_2:                               ; =>This Inner Loop Header: Depth=1
	global_load_dwordx2 v[22:23], v[10:11], off
	global_load_dwordx2 v[24:25], v[8:9], off
	v_add_co_u32_e32 v8, vcc, 64, v8
	v_addc_co_u32_e32 v9, vcc, 0, v9, vcc
	s_add_u32 s6, s6, 8
	v_add_co_u32_e32 v10, vcc, s10, v10
	v_addc_co_u32_e32 v11, vcc, v11, v20, vcc
	s_addc_u32 s7, s7, 0
	v_cmp_lt_i64_e32 vcc, s[6:7], v[12:13]
	s_and_b64 vcc, exec, vcc
	s_waitcnt vmcnt(1)
	ds_write_b64 v16, v[22:23]
	s_waitcnt vmcnt(0)
	ds_write_b64 v17, v[24:25]
	s_waitcnt lgkmcnt(0)
	s_barrier
	ds_read_b128 v[22:25], v19
	ds_read_b128 v[26:29], v19 offset:16
	ds_read_b128 v[30:33], v19 offset:32
	;; [unrolled: 1-line block ×3, first 2 shown]
	ds_read2_b64 v[38:41], v18 offset1:16
	ds_read2_b64 v[42:45], v18 offset0:32 offset1:48
	ds_read2_b64 v[46:49], v18 offset0:64 offset1:80
	ds_read_b128 v[50:53], v19 offset:1024
	ds_read_b128 v[54:57], v19 offset:1040
	ds_read2_b64 v[58:61], v18 offset0:96 offset1:112
	s_waitcnt lgkmcnt(5)
	v_fmac_f64_e32 v[6:7], v[38:39], v[22:23]
	v_fmac_f64_e32 v[4:5], v[40:41], v[22:23]
	s_waitcnt lgkmcnt(2)
	v_fmac_f64_e32 v[2:3], v[38:39], v[50:51]
	v_fmac_f64_e32 v[0:1], v[40:41], v[50:51]
	ds_read2_b64 v[38:41], v18 offset0:128 offset1:144
	v_fmac_f64_e32 v[6:7], v[42:43], v[24:25]
	v_fmac_f64_e32 v[4:5], v[44:45], v[24:25]
	ds_read2_b64 v[22:25], v18 offset0:160 offset1:176
	;; [unrolled: 3-line block ×3, first 2 shown]
	ds_read_b128 v[50:53], v19 offset:1056
	v_fmac_f64_e32 v[6:7], v[46:47], v[26:27]
	v_fmac_f64_e32 v[4:5], v[48:49], v[26:27]
	s_waitcnt lgkmcnt(5)
	v_fmac_f64_e32 v[2:3], v[46:47], v[54:55]
	v_fmac_f64_e32 v[0:1], v[48:49], v[54:55]
	ds_read_b128 v[46:49], v19 offset:1072
	s_waitcnt lgkmcnt(5)
	v_fmac_f64_e32 v[6:7], v[58:59], v[28:29]
	v_fmac_f64_e32 v[4:5], v[60:61], v[28:29]
	ds_read2_b64 v[26:29], v18 offset0:224 offset1:240
	v_fmac_f64_e32 v[2:3], v[58:59], v[56:57]
	v_fmac_f64_e32 v[0:1], v[60:61], v[56:57]
	s_waitcnt lgkmcnt(5)
	v_fmac_f64_e32 v[6:7], v[38:39], v[30:31]
	v_fmac_f64_e32 v[4:5], v[40:41], v[30:31]
	s_waitcnt lgkmcnt(2)
	v_fmac_f64_e32 v[2:3], v[38:39], v[50:51]
	v_fmac_f64_e32 v[0:1], v[40:41], v[50:51]
	;; [unrolled: 1-line block ×8, first 2 shown]
	s_waitcnt lgkmcnt(1)
	v_fmac_f64_e32 v[2:3], v[42:43], v[46:47]
	v_fmac_f64_e32 v[0:1], v[44:45], v[46:47]
	s_waitcnt lgkmcnt(0)
	v_fmac_f64_e32 v[6:7], v[26:27], v[36:37]
	v_fmac_f64_e32 v[4:5], v[28:29], v[36:37]
	;; [unrolled: 1-line block ×4, first 2 shown]
	s_barrier
	s_cbranch_vccnz .LBB69_2
	s_branch .LBB69_4
.LBB69_3:
	v_pk_mov_b32 v[6:7], 0, 0
	v_pk_mov_b32 v[4:5], 0, 0
	;; [unrolled: 1-line block ×4, first 2 shown]
.LBB69_4:
	s_load_dwordx8 s[24:31], s[4:5], 0x70
	s_load_dwordx8 s[16:23], s[4:5], 0x50
	v_mov_b32_e32 v8, s3
	v_add_co_u32_e32 v10, vcc, s2, v15
	s_waitcnt lgkmcnt(0)
	s_mul_i32 s3, s8, s29
	s_mul_hi_u32 s5, s8, s28
	s_mul_i32 s4, s8, s28
	s_add_i32 s5, s5, s3
	v_addc_co_u32_e32 v13, vcc, 0, v8, vcc
	s_lshl_b64 s[4:5], s[4:5], 3
	v_mov_b32_e32 v9, s1
	v_add_co_u32_e32 v8, vcc, s0, v14
	s_add_u32 s4, s24, s4
	v_cmp_neq_f64_e64 s[6:7], s[16:17], 0
	v_addc_co_u32_e32 v9, vcc, 0, v9, vcc
	s_addc_u32 s5, s25, s5
	s_mov_b64 s[2:3], 0
	s_and_b64 vcc, exec, s[6:7]
	v_mul_lo_u32 v11, v13, s26
	v_mul_lo_u32 v12, v10, s27
	v_lshlrev_b64 v[8:9], 3, v[8:9]
	s_cbranch_vccnz .LBB69_8
; %bb.5:
	v_mad_u64_u32 v[14:15], s[0:1], v10, s26, 0
	v_add3_u32 v15, v15, v12, v11
	v_lshlrev_b64 v[14:15], 3, v[14:15]
	v_mov_b32_e32 v16, s5
	v_add_co_u32_e32 v17, vcc, s4, v14
	v_addc_co_u32_e32 v18, vcc, v16, v15, vcc
	v_add_co_u32_e32 v16, vcc, v17, v8
	v_mul_f64 v[14:15], v[6:7], s[14:15]
	v_addc_co_u32_e32 v17, vcc, v18, v9, vcc
	global_store_dwordx2 v[16:17], v[14:15], off
	v_mul_f64 v[14:15], v[4:5], s[14:15]
	s_lshl_b64 s[0:1], s[26:27], 7
	global_store_dwordx2 v[16:17], v[14:15], off offset:128
	v_mov_b32_e32 v18, s1
	v_add_co_u32_e32 v16, vcc, s0, v16
	v_mul_f64 v[14:15], v[2:3], s[14:15]
	v_addc_co_u32_e32 v17, vcc, v17, v18, vcc
	global_store_dwordx2 v[16:17], v[14:15], off
	v_mul_f64 v[14:15], v[0:1], s[14:15]
	global_store_dwordx2 v[16:17], v[14:15], off offset:128
	s_andn2_b64 vcc, exec, s[2:3]
	s_cbranch_vccnz .LBB69_7
.LBB69_6:
	s_mul_i32 s0, s8, s23
	s_mul_hi_u32 s1, s8, s22
	s_add_i32 s1, s1, s0
	s_mul_i32 s0, s8, s22
	s_lshl_b64 s[0:1], s[0:1], 3
	s_add_u32 s2, s18, s0
	s_addc_u32 s3, s19, s1
	v_mul_lo_u32 v13, v13, s20
	v_mul_lo_u32 v16, v10, s21
	v_mad_u64_u32 v[14:15], s[0:1], v10, s20, 0
	v_add3_u32 v15, v15, v16, v13
	v_lshlrev_b64 v[14:15], 3, v[14:15]
	v_mov_b32_e32 v13, s3
	v_add_co_u32_e32 v14, vcc, s2, v14
	v_addc_co_u32_e32 v13, vcc, v13, v15, vcc
	v_add_co_u32_e32 v14, vcc, v14, v8
	v_addc_co_u32_e32 v15, vcc, v13, v9, vcc
	global_load_dwordx2 v[16:17], v[14:15], off
	v_mad_u64_u32 v[18:19], s[0:1], v10, s26, 0
	v_add3_u32 v19, v19, v12, v11
	v_lshlrev_b64 v[10:11], 3, v[18:19]
	v_mov_b32_e32 v13, s5
	v_add_co_u32_e32 v10, vcc, s4, v10
	v_addc_co_u32_e32 v11, vcc, v13, v11, vcc
	v_add_co_u32_e32 v8, vcc, v10, v8
	v_addc_co_u32_e32 v9, vcc, v11, v9, vcc
	s_lshl_b64 s[0:1], s[20:21], 7
	s_waitcnt vmcnt(0)
	v_mul_f64 v[10:11], v[16:17], s[16:17]
	v_fmac_f64_e32 v[10:11], s[14:15], v[6:7]
	global_store_dwordx2 v[8:9], v[10:11], off
	global_load_dwordx2 v[6:7], v[14:15], off offset:128
	v_mov_b32_e32 v11, s1
	v_add_co_u32_e32 v10, vcc, s0, v14
	v_addc_co_u32_e32 v11, vcc, v15, v11, vcc
	s_lshl_b64 s[0:1], s[26:27], 7
	s_waitcnt vmcnt(0)
	v_mul_f64 v[6:7], v[6:7], s[16:17]
	v_fmac_f64_e32 v[6:7], s[14:15], v[4:5]
	global_store_dwordx2 v[8:9], v[6:7], off offset:128
	global_load_dwordx2 v[4:5], v[10:11], off
	v_mov_b32_e32 v6, s1
	s_waitcnt vmcnt(0)
	v_mul_f64 v[4:5], v[4:5], s[16:17]
	v_fmac_f64_e32 v[4:5], s[14:15], v[2:3]
	v_add_co_u32_e32 v2, vcc, s0, v8
	v_addc_co_u32_e32 v3, vcc, v9, v6, vcc
	global_store_dwordx2 v[2:3], v[4:5], off
	global_load_dwordx2 v[4:5], v[10:11], off offset:128
	s_waitcnt vmcnt(0)
	v_mul_f64 v[4:5], v[4:5], s[16:17]
	v_fmac_f64_e32 v[4:5], s[14:15], v[0:1]
	global_store_dwordx2 v[2:3], v[4:5], off offset:128
.LBB69_7:
	s_endpgm
.LBB69_8:
	s_branch .LBB69_6
	.section	.rodata,"a",@progbits
	.p2align	6, 0x0
	.amdhsa_kernel _ZN12_GLOBAL__N_127rocblas_gemm_batched_kernelIdLi16ELi16ELi32ELi32ELi8ELi32ELi8ELi8ELi32ELc78ELc78EKdS1_dEEvlllT_PT11_llS4_llS2_PT12_llPT13_lli
		.amdhsa_group_segment_fixed_size 4096
		.amdhsa_private_segment_fixed_size 0
		.amdhsa_kernarg_size 140
		.amdhsa_user_sgpr_count 6
		.amdhsa_user_sgpr_private_segment_buffer 1
		.amdhsa_user_sgpr_dispatch_ptr 0
		.amdhsa_user_sgpr_queue_ptr 0
		.amdhsa_user_sgpr_kernarg_segment_ptr 1
		.amdhsa_user_sgpr_dispatch_id 0
		.amdhsa_user_sgpr_flat_scratch_init 0
		.amdhsa_user_sgpr_kernarg_preload_length 0
		.amdhsa_user_sgpr_kernarg_preload_offset 0
		.amdhsa_user_sgpr_private_segment_size 0
		.amdhsa_uses_dynamic_stack 0
		.amdhsa_system_sgpr_private_segment_wavefront_offset 0
		.amdhsa_system_sgpr_workgroup_id_x 1
		.amdhsa_system_sgpr_workgroup_id_y 1
		.amdhsa_system_sgpr_workgroup_id_z 1
		.amdhsa_system_sgpr_workgroup_info 0
		.amdhsa_system_vgpr_workitem_id 1
		.amdhsa_next_free_vgpr 62
		.amdhsa_next_free_sgpr 32
		.amdhsa_accum_offset 64
		.amdhsa_reserve_vcc 1
		.amdhsa_reserve_flat_scratch 0
		.amdhsa_float_round_mode_32 0
		.amdhsa_float_round_mode_16_64 0
		.amdhsa_float_denorm_mode_32 3
		.amdhsa_float_denorm_mode_16_64 3
		.amdhsa_dx10_clamp 1
		.amdhsa_ieee_mode 1
		.amdhsa_fp16_overflow 0
		.amdhsa_tg_split 0
		.amdhsa_exception_fp_ieee_invalid_op 0
		.amdhsa_exception_fp_denorm_src 0
		.amdhsa_exception_fp_ieee_div_zero 0
		.amdhsa_exception_fp_ieee_overflow 0
		.amdhsa_exception_fp_ieee_underflow 0
		.amdhsa_exception_fp_ieee_inexact 0
		.amdhsa_exception_int_div_zero 0
	.end_amdhsa_kernel
	.section	.text._ZN12_GLOBAL__N_127rocblas_gemm_batched_kernelIdLi16ELi16ELi32ELi32ELi8ELi32ELi8ELi8ELi32ELc78ELc78EKdS1_dEEvlllT_PT11_llS4_llS2_PT12_llPT13_lli,"axG",@progbits,_ZN12_GLOBAL__N_127rocblas_gemm_batched_kernelIdLi16ELi16ELi32ELi32ELi8ELi32ELi8ELi8ELi32ELc78ELc78EKdS1_dEEvlllT_PT11_llS4_llS2_PT12_llPT13_lli,comdat
.Lfunc_end69:
	.size	_ZN12_GLOBAL__N_127rocblas_gemm_batched_kernelIdLi16ELi16ELi32ELi32ELi8ELi32ELi8ELi8ELi32ELc78ELc78EKdS1_dEEvlllT_PT11_llS4_llS2_PT12_llPT13_lli, .Lfunc_end69-_ZN12_GLOBAL__N_127rocblas_gemm_batched_kernelIdLi16ELi16ELi32ELi32ELi8ELi32ELi8ELi8ELi32ELc78ELc78EKdS1_dEEvlllT_PT11_llS4_llS2_PT12_llPT13_lli
                                        ; -- End function
	.section	.AMDGPU.csdata,"",@progbits
; Kernel info:
; codeLenInByte = 1344
; NumSgprs: 36
; NumVgprs: 62
; NumAgprs: 0
; TotalNumVgprs: 62
; ScratchSize: 0
; MemoryBound: 0
; FloatMode: 240
; IeeeMode: 1
; LDSByteSize: 4096 bytes/workgroup (compile time only)
; SGPRBlocks: 4
; VGPRBlocks: 7
; NumSGPRsForWavesPerEU: 36
; NumVGPRsForWavesPerEU: 62
; AccumOffset: 64
; Occupancy: 8
; WaveLimiterHint : 1
; COMPUTE_PGM_RSRC2:SCRATCH_EN: 0
; COMPUTE_PGM_RSRC2:USER_SGPR: 6
; COMPUTE_PGM_RSRC2:TRAP_HANDLER: 0
; COMPUTE_PGM_RSRC2:TGID_X_EN: 1
; COMPUTE_PGM_RSRC2:TGID_Y_EN: 1
; COMPUTE_PGM_RSRC2:TGID_Z_EN: 1
; COMPUTE_PGM_RSRC2:TIDIG_COMP_CNT: 1
; COMPUTE_PGM_RSRC3_GFX90A:ACCUM_OFFSET: 15
; COMPUTE_PGM_RSRC3_GFX90A:TG_SPLIT: 0
	.section	.text._ZN12_GLOBAL__N_127rocblas_gemm_batched_kernelIdLi16ELi16ELi32ELi32ELi8ELi32ELi8ELi8ELi32ELc84ELc78EKdS1_dEEvlllT_PT11_llS4_llS2_PT12_llPT13_lli,"axG",@progbits,_ZN12_GLOBAL__N_127rocblas_gemm_batched_kernelIdLi16ELi16ELi32ELi32ELi8ELi32ELi8ELi8ELi32ELc84ELc78EKdS1_dEEvlllT_PT11_llS4_llS2_PT12_llPT13_lli,comdat
	.globl	_ZN12_GLOBAL__N_127rocblas_gemm_batched_kernelIdLi16ELi16ELi32ELi32ELi8ELi32ELi8ELi8ELi32ELc84ELc78EKdS1_dEEvlllT_PT11_llS4_llS2_PT12_llPT13_lli ; -- Begin function _ZN12_GLOBAL__N_127rocblas_gemm_batched_kernelIdLi16ELi16ELi32ELi32ELi8ELi32ELi8ELi8ELi32ELc84ELc78EKdS1_dEEvlllT_PT11_llS4_llS2_PT12_llPT13_lli
	.p2align	8
	.type	_ZN12_GLOBAL__N_127rocblas_gemm_batched_kernelIdLi16ELi16ELi32ELi32ELi8ELi32ELi8ELi8ELi32ELc84ELc78EKdS1_dEEvlllT_PT11_llS4_llS2_PT12_llPT13_lli,@function
_ZN12_GLOBAL__N_127rocblas_gemm_batched_kernelIdLi16ELi16ELi32ELi32ELi8ELi32ELi8ELi8ELi32ELc84ELc78EKdS1_dEEvlllT_PT11_llS4_llS2_PT12_llPT13_lli: ; @_ZN12_GLOBAL__N_127rocblas_gemm_batched_kernelIdLi16ELi16ELi32ELi32ELi8ELi32ELi8ELi8ELi32ELc84ELc78EKdS1_dEEvlllT_PT11_llS4_llS2_PT12_llPT13_lli
; %bb.0:
	s_load_dwordx16 s[12:27], s[4:5], 0x10
	s_mov_b32 s2, s7
	s_ashr_i32 s7, s6, 31
	s_ashr_i32 s3, s2, 31
	v_bfe_u32 v15, v0, 10, 10
	s_waitcnt lgkmcnt(0)
	v_cmp_lt_i64_e64 s[10:11], s[12:13], 1
	v_and_b32_e32 v14, 0x3ff, v0
	s_lshl_b64 s[0:1], s[6:7], 5
	s_lshl_b64 s[2:3], s[2:3], 5
	s_mov_b64 s[6:7], 0
	s_and_b64 vcc, exec, s[10:11]
	s_cbranch_vccnz .LBB70_3
; %bb.1:
	v_lshl_add_u32 v0, v15, 4, v14
	v_and_b32_e32 v4, 7, v14
	v_and_b32_e32 v5, 31, v0
	v_lshrrev_b32_e32 v1, 3, v0
	v_lshrrev_b32_e32 v6, 5, v0
	v_lshlrev_b32_e32 v0, 3, v5
	v_lshlrev_b32_e32 v4, 3, v4
	v_lshl_or_b32 v16, v6, 8, v0
	v_lshl_or_b32 v0, v1, 6, v4
	v_mov_b32_e32 v2, s3
	v_add_co_u32_e32 v3, vcc, s2, v1
	v_add_u32_e32 v17, 0x800, v0
	v_mov_b32_e32 v0, 0x800
	v_addc_co_u32_e32 v2, vcc, 0, v2, vcc
	v_lshl_add_u32 v19, v15, 6, v0
	v_mad_u64_u32 v[0:1], s[10:11], s24, v3, 0
	v_mul_lo_u32 v7, s25, v3
	v_mul_lo_u32 v2, s24, v2
	s_mul_i32 s9, s27, s8
	s_mul_hi_u32 s10, s26, s8
	v_add3_u32 v1, v1, v2, v7
	s_add_i32 s11, s10, s9
	s_mul_i32 s10, s26, s8
	v_lshlrev_b64 v[0:1], 3, v[0:1]
	s_lshl_b64 s[10:11], s[10:11], 3
	v_mov_b32_e32 v2, s11
	v_add_co_u32_e32 v0, vcc, s10, v0
	v_addc_co_u32_e32 v1, vcc, v1, v2, vcc
	v_add_co_u32_e32 v0, vcc, v0, v4
	v_addc_co_u32_e32 v1, vcc, 0, v1, vcc
	v_mov_b32_e32 v2, s23
	v_add_co_u32_e32 v8, vcc, s22, v0
	v_addc_co_u32_e32 v9, vcc, v2, v1, vcc
	v_mov_b32_e32 v0, s1
	v_add_co_u32_e32 v1, vcc, s0, v5
	v_addc_co_u32_e32 v0, vcc, 0, v0, vcc
	v_mul_lo_u32 v2, s19, v1
	v_mul_lo_u32 v3, s18, v0
	v_mad_u64_u32 v[0:1], s[10:11], s18, v1, 0
	s_mul_i32 s9, s21, s8
	s_mul_hi_u32 s10, s20, s8
	v_add3_u32 v1, v1, v3, v2
	s_add_i32 s11, s10, s9
	s_mul_i32 s10, s20, s8
	v_lshlrev_b64 v[0:1], 3, v[0:1]
	s_lshl_b64 s[10:11], s[10:11], 3
	v_mov_b32_e32 v2, s11
	v_add_co_u32_e32 v0, vcc, s10, v0
	v_addc_co_u32_e32 v1, vcc, v1, v2, vcc
	v_lshlrev_b32_e32 v2, 3, v6
	v_add_co_u32_e32 v0, vcc, v0, v2
	v_addc_co_u32_e32 v1, vcc, 0, v1, vcc
	v_mov_b32_e32 v2, s17
	v_add_co_u32_e32 v10, vcc, s16, v0
	v_lshlrev_b32_e32 v18, 3, v14
	v_addc_co_u32_e32 v11, vcc, v2, v1, vcc
	v_pk_mov_b32 v[0:1], 0, 0
	v_pk_mov_b32 v[12:13], s[12:13], s[12:13] op_sel:[0,1]
	v_pk_mov_b32 v[2:3], 0, 0
	v_pk_mov_b32 v[4:5], 0, 0
	;; [unrolled: 1-line block ×3, first 2 shown]
.LBB70_2:                               ; =>This Inner Loop Header: Depth=1
	global_load_dwordx2 v[20:21], v[10:11], off
	global_load_dwordx2 v[22:23], v[8:9], off
	v_add_co_u32_e32 v8, vcc, 64, v8
	v_addc_co_u32_e32 v9, vcc, 0, v9, vcc
	s_add_u32 s6, s6, 8
	v_add_co_u32_e32 v10, vcc, 64, v10
	v_addc_co_u32_e32 v11, vcc, 0, v11, vcc
	s_addc_u32 s7, s7, 0
	v_cmp_lt_i64_e32 vcc, s[6:7], v[12:13]
	s_and_b64 vcc, exec, vcc
	s_waitcnt vmcnt(1)
	ds_write_b64 v16, v[20:21]
	s_waitcnt vmcnt(0)
	ds_write_b64 v17, v[22:23]
	s_waitcnt lgkmcnt(0)
	s_barrier
	ds_read_b128 v[20:23], v19
	ds_read_b128 v[24:27], v19 offset:16
	ds_read_b128 v[28:31], v19 offset:32
	;; [unrolled: 1-line block ×3, first 2 shown]
	ds_read2_b64 v[36:39], v18 offset1:16
	ds_read2_b64 v[40:43], v18 offset0:32 offset1:48
	ds_read2_b64 v[44:47], v18 offset0:64 offset1:80
	ds_read_b128 v[48:51], v19 offset:1024
	ds_read_b128 v[52:55], v19 offset:1040
	ds_read2_b64 v[56:59], v18 offset0:96 offset1:112
	s_waitcnt lgkmcnt(5)
	v_fmac_f64_e32 v[6:7], v[36:37], v[20:21]
	v_fmac_f64_e32 v[4:5], v[38:39], v[20:21]
	s_waitcnt lgkmcnt(2)
	v_fmac_f64_e32 v[2:3], v[36:37], v[48:49]
	v_fmac_f64_e32 v[0:1], v[38:39], v[48:49]
	ds_read2_b64 v[36:39], v18 offset0:128 offset1:144
	v_fmac_f64_e32 v[6:7], v[40:41], v[22:23]
	v_fmac_f64_e32 v[4:5], v[42:43], v[22:23]
	ds_read2_b64 v[20:23], v18 offset0:160 offset1:176
	;; [unrolled: 3-line block ×3, first 2 shown]
	ds_read_b128 v[48:51], v19 offset:1056
	v_fmac_f64_e32 v[6:7], v[44:45], v[24:25]
	v_fmac_f64_e32 v[4:5], v[46:47], v[24:25]
	s_waitcnt lgkmcnt(5)
	v_fmac_f64_e32 v[2:3], v[44:45], v[52:53]
	v_fmac_f64_e32 v[0:1], v[46:47], v[52:53]
	ds_read_b128 v[44:47], v19 offset:1072
	s_waitcnt lgkmcnt(5)
	v_fmac_f64_e32 v[6:7], v[56:57], v[26:27]
	v_fmac_f64_e32 v[4:5], v[58:59], v[26:27]
	ds_read2_b64 v[24:27], v18 offset0:224 offset1:240
	v_fmac_f64_e32 v[2:3], v[56:57], v[54:55]
	v_fmac_f64_e32 v[0:1], v[58:59], v[54:55]
	s_waitcnt lgkmcnt(5)
	v_fmac_f64_e32 v[6:7], v[36:37], v[28:29]
	v_fmac_f64_e32 v[4:5], v[38:39], v[28:29]
	s_waitcnt lgkmcnt(2)
	v_fmac_f64_e32 v[2:3], v[36:37], v[48:49]
	v_fmac_f64_e32 v[0:1], v[38:39], v[48:49]
	v_fmac_f64_e32 v[6:7], v[20:21], v[30:31]
	v_fmac_f64_e32 v[4:5], v[22:23], v[30:31]
	v_fmac_f64_e32 v[2:3], v[20:21], v[50:51]
	v_fmac_f64_e32 v[0:1], v[22:23], v[50:51]
	v_fmac_f64_e32 v[6:7], v[40:41], v[32:33]
	v_fmac_f64_e32 v[4:5], v[42:43], v[32:33]
	s_waitcnt lgkmcnt(1)
	v_fmac_f64_e32 v[2:3], v[40:41], v[44:45]
	v_fmac_f64_e32 v[0:1], v[42:43], v[44:45]
	s_waitcnt lgkmcnt(0)
	v_fmac_f64_e32 v[6:7], v[24:25], v[34:35]
	v_fmac_f64_e32 v[4:5], v[26:27], v[34:35]
	;; [unrolled: 1-line block ×4, first 2 shown]
	s_barrier
	s_cbranch_vccnz .LBB70_2
	s_branch .LBB70_4
.LBB70_3:
	v_pk_mov_b32 v[6:7], 0, 0
	v_pk_mov_b32 v[4:5], 0, 0
	;; [unrolled: 1-line block ×4, first 2 shown]
.LBB70_4:
	s_load_dwordx8 s[24:31], s[4:5], 0x70
	s_load_dwordx8 s[16:23], s[4:5], 0x50
	v_mov_b32_e32 v8, s3
	v_add_co_u32_e32 v10, vcc, s2, v15
	s_waitcnt lgkmcnt(0)
	s_mul_i32 s3, s8, s29
	s_mul_hi_u32 s5, s8, s28
	s_mul_i32 s4, s8, s28
	s_add_i32 s5, s5, s3
	v_addc_co_u32_e32 v13, vcc, 0, v8, vcc
	s_lshl_b64 s[4:5], s[4:5], 3
	v_mov_b32_e32 v9, s1
	v_add_co_u32_e32 v8, vcc, s0, v14
	s_add_u32 s4, s24, s4
	v_cmp_neq_f64_e64 s[6:7], s[16:17], 0
	v_addc_co_u32_e32 v9, vcc, 0, v9, vcc
	s_addc_u32 s5, s25, s5
	s_mov_b64 s[2:3], 0
	s_and_b64 vcc, exec, s[6:7]
	v_mul_lo_u32 v11, v13, s26
	v_mul_lo_u32 v12, v10, s27
	v_lshlrev_b64 v[8:9], 3, v[8:9]
	s_cbranch_vccnz .LBB70_8
; %bb.5:
	v_mad_u64_u32 v[14:15], s[0:1], v10, s26, 0
	v_add3_u32 v15, v15, v12, v11
	v_lshlrev_b64 v[14:15], 3, v[14:15]
	v_mov_b32_e32 v16, s5
	v_add_co_u32_e32 v17, vcc, s4, v14
	v_addc_co_u32_e32 v18, vcc, v16, v15, vcc
	v_add_co_u32_e32 v16, vcc, v17, v8
	v_mul_f64 v[14:15], v[6:7], s[14:15]
	v_addc_co_u32_e32 v17, vcc, v18, v9, vcc
	global_store_dwordx2 v[16:17], v[14:15], off
	v_mul_f64 v[14:15], v[4:5], s[14:15]
	s_lshl_b64 s[0:1], s[26:27], 7
	global_store_dwordx2 v[16:17], v[14:15], off offset:128
	v_mov_b32_e32 v18, s1
	v_add_co_u32_e32 v16, vcc, s0, v16
	v_mul_f64 v[14:15], v[2:3], s[14:15]
	v_addc_co_u32_e32 v17, vcc, v17, v18, vcc
	global_store_dwordx2 v[16:17], v[14:15], off
	v_mul_f64 v[14:15], v[0:1], s[14:15]
	global_store_dwordx2 v[16:17], v[14:15], off offset:128
	s_andn2_b64 vcc, exec, s[2:3]
	s_cbranch_vccnz .LBB70_7
.LBB70_6:
	s_mul_i32 s0, s8, s23
	s_mul_hi_u32 s1, s8, s22
	s_add_i32 s1, s1, s0
	s_mul_i32 s0, s8, s22
	s_lshl_b64 s[0:1], s[0:1], 3
	s_add_u32 s2, s18, s0
	s_addc_u32 s3, s19, s1
	v_mul_lo_u32 v13, v13, s20
	v_mul_lo_u32 v16, v10, s21
	v_mad_u64_u32 v[14:15], s[0:1], v10, s20, 0
	v_add3_u32 v15, v15, v16, v13
	v_lshlrev_b64 v[14:15], 3, v[14:15]
	v_mov_b32_e32 v13, s3
	v_add_co_u32_e32 v14, vcc, s2, v14
	v_addc_co_u32_e32 v13, vcc, v13, v15, vcc
	v_add_co_u32_e32 v14, vcc, v14, v8
	v_addc_co_u32_e32 v15, vcc, v13, v9, vcc
	global_load_dwordx2 v[16:17], v[14:15], off
	v_mad_u64_u32 v[18:19], s[0:1], v10, s26, 0
	v_add3_u32 v19, v19, v12, v11
	v_lshlrev_b64 v[10:11], 3, v[18:19]
	v_mov_b32_e32 v13, s5
	v_add_co_u32_e32 v10, vcc, s4, v10
	v_addc_co_u32_e32 v11, vcc, v13, v11, vcc
	v_add_co_u32_e32 v8, vcc, v10, v8
	v_addc_co_u32_e32 v9, vcc, v11, v9, vcc
	s_lshl_b64 s[0:1], s[20:21], 7
	s_waitcnt vmcnt(0)
	v_mul_f64 v[10:11], v[16:17], s[16:17]
	v_fmac_f64_e32 v[10:11], s[14:15], v[6:7]
	global_store_dwordx2 v[8:9], v[10:11], off
	global_load_dwordx2 v[6:7], v[14:15], off offset:128
	v_mov_b32_e32 v11, s1
	v_add_co_u32_e32 v10, vcc, s0, v14
	v_addc_co_u32_e32 v11, vcc, v15, v11, vcc
	s_lshl_b64 s[0:1], s[26:27], 7
	s_waitcnt vmcnt(0)
	v_mul_f64 v[6:7], v[6:7], s[16:17]
	v_fmac_f64_e32 v[6:7], s[14:15], v[4:5]
	global_store_dwordx2 v[8:9], v[6:7], off offset:128
	global_load_dwordx2 v[4:5], v[10:11], off
	v_mov_b32_e32 v6, s1
	s_waitcnt vmcnt(0)
	v_mul_f64 v[4:5], v[4:5], s[16:17]
	v_fmac_f64_e32 v[4:5], s[14:15], v[2:3]
	v_add_co_u32_e32 v2, vcc, s0, v8
	v_addc_co_u32_e32 v3, vcc, v9, v6, vcc
	global_store_dwordx2 v[2:3], v[4:5], off
	global_load_dwordx2 v[4:5], v[10:11], off offset:128
	s_waitcnt vmcnt(0)
	v_mul_f64 v[4:5], v[4:5], s[16:17]
	v_fmac_f64_e32 v[4:5], s[14:15], v[0:1]
	global_store_dwordx2 v[2:3], v[4:5], off offset:128
.LBB70_7:
	s_endpgm
.LBB70_8:
	s_branch .LBB70_6
	.section	.rodata,"a",@progbits
	.p2align	6, 0x0
	.amdhsa_kernel _ZN12_GLOBAL__N_127rocblas_gemm_batched_kernelIdLi16ELi16ELi32ELi32ELi8ELi32ELi8ELi8ELi32ELc84ELc78EKdS1_dEEvlllT_PT11_llS4_llS2_PT12_llPT13_lli
		.amdhsa_group_segment_fixed_size 4096
		.amdhsa_private_segment_fixed_size 0
		.amdhsa_kernarg_size 140
		.amdhsa_user_sgpr_count 6
		.amdhsa_user_sgpr_private_segment_buffer 1
		.amdhsa_user_sgpr_dispatch_ptr 0
		.amdhsa_user_sgpr_queue_ptr 0
		.amdhsa_user_sgpr_kernarg_segment_ptr 1
		.amdhsa_user_sgpr_dispatch_id 0
		.amdhsa_user_sgpr_flat_scratch_init 0
		.amdhsa_user_sgpr_kernarg_preload_length 0
		.amdhsa_user_sgpr_kernarg_preload_offset 0
		.amdhsa_user_sgpr_private_segment_size 0
		.amdhsa_uses_dynamic_stack 0
		.amdhsa_system_sgpr_private_segment_wavefront_offset 0
		.amdhsa_system_sgpr_workgroup_id_x 1
		.amdhsa_system_sgpr_workgroup_id_y 1
		.amdhsa_system_sgpr_workgroup_id_z 1
		.amdhsa_system_sgpr_workgroup_info 0
		.amdhsa_system_vgpr_workitem_id 1
		.amdhsa_next_free_vgpr 60
		.amdhsa_next_free_sgpr 32
		.amdhsa_accum_offset 60
		.amdhsa_reserve_vcc 1
		.amdhsa_reserve_flat_scratch 0
		.amdhsa_float_round_mode_32 0
		.amdhsa_float_round_mode_16_64 0
		.amdhsa_float_denorm_mode_32 3
		.amdhsa_float_denorm_mode_16_64 3
		.amdhsa_dx10_clamp 1
		.amdhsa_ieee_mode 1
		.amdhsa_fp16_overflow 0
		.amdhsa_tg_split 0
		.amdhsa_exception_fp_ieee_invalid_op 0
		.amdhsa_exception_fp_denorm_src 0
		.amdhsa_exception_fp_ieee_div_zero 0
		.amdhsa_exception_fp_ieee_overflow 0
		.amdhsa_exception_fp_ieee_underflow 0
		.amdhsa_exception_fp_ieee_inexact 0
		.amdhsa_exception_int_div_zero 0
	.end_amdhsa_kernel
	.section	.text._ZN12_GLOBAL__N_127rocblas_gemm_batched_kernelIdLi16ELi16ELi32ELi32ELi8ELi32ELi8ELi8ELi32ELc84ELc78EKdS1_dEEvlllT_PT11_llS4_llS2_PT12_llPT13_lli,"axG",@progbits,_ZN12_GLOBAL__N_127rocblas_gemm_batched_kernelIdLi16ELi16ELi32ELi32ELi8ELi32ELi8ELi8ELi32ELc84ELc78EKdS1_dEEvlllT_PT11_llS4_llS2_PT12_llPT13_lli,comdat
.Lfunc_end70:
	.size	_ZN12_GLOBAL__N_127rocblas_gemm_batched_kernelIdLi16ELi16ELi32ELi32ELi8ELi32ELi8ELi8ELi32ELc84ELc78EKdS1_dEEvlllT_PT11_llS4_llS2_PT12_llPT13_lli, .Lfunc_end70-_ZN12_GLOBAL__N_127rocblas_gemm_batched_kernelIdLi16ELi16ELi32ELi32ELi8ELi32ELi8ELi8ELi32ELc84ELc78EKdS1_dEEvlllT_PT11_llS4_llS2_PT12_llPT13_lli
                                        ; -- End function
	.section	.AMDGPU.csdata,"",@progbits
; Kernel info:
; codeLenInByte = 1356
; NumSgprs: 36
; NumVgprs: 60
; NumAgprs: 0
; TotalNumVgprs: 60
; ScratchSize: 0
; MemoryBound: 0
; FloatMode: 240
; IeeeMode: 1
; LDSByteSize: 4096 bytes/workgroup (compile time only)
; SGPRBlocks: 4
; VGPRBlocks: 7
; NumSGPRsForWavesPerEU: 36
; NumVGPRsForWavesPerEU: 60
; AccumOffset: 60
; Occupancy: 8
; WaveLimiterHint : 1
; COMPUTE_PGM_RSRC2:SCRATCH_EN: 0
; COMPUTE_PGM_RSRC2:USER_SGPR: 6
; COMPUTE_PGM_RSRC2:TRAP_HANDLER: 0
; COMPUTE_PGM_RSRC2:TGID_X_EN: 1
; COMPUTE_PGM_RSRC2:TGID_Y_EN: 1
; COMPUTE_PGM_RSRC2:TGID_Z_EN: 1
; COMPUTE_PGM_RSRC2:TIDIG_COMP_CNT: 1
; COMPUTE_PGM_RSRC3_GFX90A:ACCUM_OFFSET: 14
; COMPUTE_PGM_RSRC3_GFX90A:TG_SPLIT: 0
	.section	.text._ZN12_GLOBAL__N_127rocblas_gemm_batched_kernelIdLi16ELi16ELi32ELi32ELi8ELi32ELi8ELi8ELi32ELc78ELc84EKdS1_dEEvlllT_PT11_llS4_llS2_PT12_llPT13_lli,"axG",@progbits,_ZN12_GLOBAL__N_127rocblas_gemm_batched_kernelIdLi16ELi16ELi32ELi32ELi8ELi32ELi8ELi8ELi32ELc78ELc84EKdS1_dEEvlllT_PT11_llS4_llS2_PT12_llPT13_lli,comdat
	.globl	_ZN12_GLOBAL__N_127rocblas_gemm_batched_kernelIdLi16ELi16ELi32ELi32ELi8ELi32ELi8ELi8ELi32ELc78ELc84EKdS1_dEEvlllT_PT11_llS4_llS2_PT12_llPT13_lli ; -- Begin function _ZN12_GLOBAL__N_127rocblas_gemm_batched_kernelIdLi16ELi16ELi32ELi32ELi8ELi32ELi8ELi8ELi32ELc78ELc84EKdS1_dEEvlllT_PT11_llS4_llS2_PT12_llPT13_lli
	.p2align	8
	.type	_ZN12_GLOBAL__N_127rocblas_gemm_batched_kernelIdLi16ELi16ELi32ELi32ELi8ELi32ELi8ELi8ELi32ELc78ELc84EKdS1_dEEvlllT_PT11_llS4_llS2_PT12_llPT13_lli,@function
_ZN12_GLOBAL__N_127rocblas_gemm_batched_kernelIdLi16ELi16ELi32ELi32ELi8ELi32ELi8ELi8ELi32ELc78ELc84EKdS1_dEEvlllT_PT11_llS4_llS2_PT12_llPT13_lli: ; @_ZN12_GLOBAL__N_127rocblas_gemm_batched_kernelIdLi16ELi16ELi32ELi32ELi8ELi32ELi8ELi8ELi32ELc78ELc84EKdS1_dEEvlllT_PT11_llS4_llS2_PT12_llPT13_lli
; %bb.0:
	s_load_dwordx16 s[12:27], s[4:5], 0x10
	s_mov_b32 s2, s7
	s_ashr_i32 s7, s6, 31
	s_ashr_i32 s3, s2, 31
	v_bfe_u32 v15, v0, 10, 10
	s_waitcnt lgkmcnt(0)
	v_cmp_lt_i64_e64 s[10:11], s[12:13], 1
	v_and_b32_e32 v14, 0x3ff, v0
	s_lshl_b64 s[0:1], s[6:7], 5
	s_lshl_b64 s[2:3], s[2:3], 5
	s_mov_b64 s[6:7], 0
	s_and_b64 vcc, exec, s[10:11]
	s_cbranch_vccnz .LBB71_3
; %bb.1:
	v_lshl_add_u32 v2, v15, 4, v14
	v_and_b32_e32 v4, 31, v2
	v_lshrrev_b32_e32 v0, 3, v2
	v_and_b32_e32 v3, 7, v14
	v_lshrrev_b32_e32 v5, 5, v2
	v_lshlrev_b32_e32 v2, 3, v4
	v_lshl_or_b32 v16, v5, 8, v2
	v_lshlrev_b32_e32 v2, 3, v3
	v_mov_b32_e32 v1, 0
	v_lshl_or_b32 v2, v0, 6, v2
	s_mul_i32 s9, s27, s8
	s_mul_hi_u32 s10, s26, s8
	v_add_u32_e32 v17, 0x800, v2
	v_mov_b32_e32 v2, 0x800
	s_add_i32 s11, s10, s9
	s_mul_i32 s10, s26, s8
	v_mad_u64_u32 v[0:1], s[26:27], v3, s24, v[0:1]
	v_lshl_add_u32 v19, v15, 6, v2
	v_mov_b32_e32 v2, v1
	v_mad_u64_u32 v[2:3], s[26:27], v3, s25, v[2:3]
	s_lshl_b64 s[10:11], s[10:11], 3
	v_mov_b32_e32 v1, v2
	v_mov_b32_e32 v2, s3
	v_add_co_u32_e32 v0, vcc, s2, v0
	v_addc_co_u32_e32 v1, vcc, v1, v2, vcc
	s_add_u32 s9, s22, s10
	v_lshlrev_b64 v[0:1], 3, v[0:1]
	s_addc_u32 s10, s23, s11
	v_mov_b32_e32 v2, s10
	v_add_co_u32_e32 v8, vcc, s9, v0
	v_addc_co_u32_e32 v9, vcc, v2, v1, vcc
	v_pk_mov_b32 v[0:1], s[0:1], s[0:1] op_sel:[0,1]
	v_mad_u64_u32 v[0:1], s[22:23], v5, s18, v[0:1]
	s_mul_i32 s9, s21, s8
	s_mul_hi_u32 s21, s20, s8
	v_mov_b32_e32 v2, v1
	s_add_i32 s21, s21, s9
	s_mul_i32 s20, s20, s8
	v_mad_u64_u32 v[2:3], s[22:23], v5, s19, v[2:3]
	s_lshl_b64 s[10:11], s[24:25], 6
	s_lshl_b64 s[20:21], s[20:21], 3
	v_mov_b32_e32 v1, v2
	v_add_co_u32_e32 v0, vcc, v0, v4
	v_addc_co_u32_e32 v1, vcc, 0, v1, vcc
	s_add_u32 s9, s16, s20
	v_lshlrev_b64 v[0:1], 3, v[0:1]
	s_addc_u32 s16, s17, s21
	v_mov_b32_e32 v2, s16
	v_add_co_u32_e32 v10, vcc, s9, v0
	s_lshl_b64 s[16:17], s[18:19], 6
	v_lshlrev_b32_e32 v18, 3, v14
	v_addc_co_u32_e32 v11, vcc, v2, v1, vcc
	v_pk_mov_b32 v[0:1], 0, 0
	v_mov_b32_e32 v20, s11
	v_mov_b32_e32 v21, s17
	v_pk_mov_b32 v[12:13], s[12:13], s[12:13] op_sel:[0,1]
	v_pk_mov_b32 v[2:3], 0, 0
	v_pk_mov_b32 v[4:5], 0, 0
	;; [unrolled: 1-line block ×3, first 2 shown]
.LBB71_2:                               ; =>This Inner Loop Header: Depth=1
	global_load_dwordx2 v[22:23], v[10:11], off
	global_load_dwordx2 v[24:25], v[8:9], off
	v_add_co_u32_e32 v8, vcc, s10, v8
	v_addc_co_u32_e32 v9, vcc, v9, v20, vcc
	s_add_u32 s6, s6, 8
	v_add_co_u32_e32 v10, vcc, s16, v10
	v_addc_co_u32_e32 v11, vcc, v11, v21, vcc
	s_addc_u32 s7, s7, 0
	v_cmp_lt_i64_e32 vcc, s[6:7], v[12:13]
	s_and_b64 vcc, exec, vcc
	s_waitcnt vmcnt(1)
	ds_write_b64 v16, v[22:23]
	s_waitcnt vmcnt(0)
	ds_write_b64 v17, v[24:25]
	s_waitcnt lgkmcnt(0)
	s_barrier
	ds_read_b128 v[22:25], v19
	ds_read_b128 v[26:29], v19 offset:16
	ds_read_b128 v[30:33], v19 offset:32
	;; [unrolled: 1-line block ×3, first 2 shown]
	ds_read2_b64 v[38:41], v18 offset1:16
	ds_read2_b64 v[42:45], v18 offset0:32 offset1:48
	ds_read2_b64 v[46:49], v18 offset0:64 offset1:80
	ds_read_b128 v[50:53], v19 offset:1024
	ds_read_b128 v[54:57], v19 offset:1040
	ds_read2_b64 v[58:61], v18 offset0:96 offset1:112
	s_waitcnt lgkmcnt(5)
	v_fmac_f64_e32 v[6:7], v[38:39], v[22:23]
	v_fmac_f64_e32 v[4:5], v[40:41], v[22:23]
	s_waitcnt lgkmcnt(2)
	v_fmac_f64_e32 v[2:3], v[38:39], v[50:51]
	v_fmac_f64_e32 v[0:1], v[40:41], v[50:51]
	ds_read2_b64 v[38:41], v18 offset0:128 offset1:144
	v_fmac_f64_e32 v[6:7], v[42:43], v[24:25]
	v_fmac_f64_e32 v[4:5], v[44:45], v[24:25]
	ds_read2_b64 v[22:25], v18 offset0:160 offset1:176
	;; [unrolled: 3-line block ×3, first 2 shown]
	ds_read_b128 v[50:53], v19 offset:1056
	v_fmac_f64_e32 v[6:7], v[46:47], v[26:27]
	v_fmac_f64_e32 v[4:5], v[48:49], v[26:27]
	s_waitcnt lgkmcnt(5)
	v_fmac_f64_e32 v[2:3], v[46:47], v[54:55]
	v_fmac_f64_e32 v[0:1], v[48:49], v[54:55]
	ds_read_b128 v[46:49], v19 offset:1072
	s_waitcnt lgkmcnt(5)
	v_fmac_f64_e32 v[6:7], v[58:59], v[28:29]
	v_fmac_f64_e32 v[4:5], v[60:61], v[28:29]
	ds_read2_b64 v[26:29], v18 offset0:224 offset1:240
	v_fmac_f64_e32 v[2:3], v[58:59], v[56:57]
	v_fmac_f64_e32 v[0:1], v[60:61], v[56:57]
	s_waitcnt lgkmcnt(5)
	v_fmac_f64_e32 v[6:7], v[38:39], v[30:31]
	v_fmac_f64_e32 v[4:5], v[40:41], v[30:31]
	s_waitcnt lgkmcnt(2)
	v_fmac_f64_e32 v[2:3], v[38:39], v[50:51]
	v_fmac_f64_e32 v[0:1], v[40:41], v[50:51]
	;; [unrolled: 1-line block ×8, first 2 shown]
	s_waitcnt lgkmcnt(1)
	v_fmac_f64_e32 v[2:3], v[42:43], v[46:47]
	v_fmac_f64_e32 v[0:1], v[44:45], v[46:47]
	s_waitcnt lgkmcnt(0)
	v_fmac_f64_e32 v[6:7], v[26:27], v[36:37]
	v_fmac_f64_e32 v[4:5], v[28:29], v[36:37]
	;; [unrolled: 1-line block ×4, first 2 shown]
	s_barrier
	s_cbranch_vccnz .LBB71_2
	s_branch .LBB71_4
.LBB71_3:
	v_pk_mov_b32 v[6:7], 0, 0
	v_pk_mov_b32 v[4:5], 0, 0
	;; [unrolled: 1-line block ×4, first 2 shown]
.LBB71_4:
	s_load_dwordx8 s[24:31], s[4:5], 0x70
	s_load_dwordx8 s[16:23], s[4:5], 0x50
	v_mov_b32_e32 v8, s3
	v_add_co_u32_e32 v10, vcc, s2, v15
	s_waitcnt lgkmcnt(0)
	s_mul_i32 s3, s8, s29
	s_mul_hi_u32 s5, s8, s28
	s_mul_i32 s4, s8, s28
	s_add_i32 s5, s5, s3
	v_addc_co_u32_e32 v13, vcc, 0, v8, vcc
	s_lshl_b64 s[4:5], s[4:5], 3
	v_mov_b32_e32 v9, s1
	v_add_co_u32_e32 v8, vcc, s0, v14
	s_add_u32 s4, s24, s4
	v_cmp_neq_f64_e64 s[6:7], s[16:17], 0
	v_addc_co_u32_e32 v9, vcc, 0, v9, vcc
	s_addc_u32 s5, s25, s5
	s_mov_b64 s[2:3], 0
	s_and_b64 vcc, exec, s[6:7]
	v_mul_lo_u32 v11, v13, s26
	v_mul_lo_u32 v12, v10, s27
	v_lshlrev_b64 v[8:9], 3, v[8:9]
	s_cbranch_vccnz .LBB71_8
; %bb.5:
	v_mad_u64_u32 v[14:15], s[0:1], v10, s26, 0
	v_add3_u32 v15, v15, v12, v11
	v_lshlrev_b64 v[14:15], 3, v[14:15]
	v_mov_b32_e32 v16, s5
	v_add_co_u32_e32 v17, vcc, s4, v14
	v_addc_co_u32_e32 v18, vcc, v16, v15, vcc
	v_add_co_u32_e32 v16, vcc, v17, v8
	v_mul_f64 v[14:15], v[6:7], s[14:15]
	v_addc_co_u32_e32 v17, vcc, v18, v9, vcc
	global_store_dwordx2 v[16:17], v[14:15], off
	v_mul_f64 v[14:15], v[4:5], s[14:15]
	s_lshl_b64 s[0:1], s[26:27], 7
	global_store_dwordx2 v[16:17], v[14:15], off offset:128
	v_mov_b32_e32 v18, s1
	v_add_co_u32_e32 v16, vcc, s0, v16
	v_mul_f64 v[14:15], v[2:3], s[14:15]
	v_addc_co_u32_e32 v17, vcc, v17, v18, vcc
	global_store_dwordx2 v[16:17], v[14:15], off
	v_mul_f64 v[14:15], v[0:1], s[14:15]
	global_store_dwordx2 v[16:17], v[14:15], off offset:128
	s_andn2_b64 vcc, exec, s[2:3]
	s_cbranch_vccnz .LBB71_7
.LBB71_6:
	s_mul_i32 s0, s8, s23
	s_mul_hi_u32 s1, s8, s22
	s_add_i32 s1, s1, s0
	s_mul_i32 s0, s8, s22
	s_lshl_b64 s[0:1], s[0:1], 3
	s_add_u32 s2, s18, s0
	s_addc_u32 s3, s19, s1
	v_mul_lo_u32 v13, v13, s20
	v_mul_lo_u32 v16, v10, s21
	v_mad_u64_u32 v[14:15], s[0:1], v10, s20, 0
	v_add3_u32 v15, v15, v16, v13
	v_lshlrev_b64 v[14:15], 3, v[14:15]
	v_mov_b32_e32 v13, s3
	v_add_co_u32_e32 v14, vcc, s2, v14
	v_addc_co_u32_e32 v13, vcc, v13, v15, vcc
	v_add_co_u32_e32 v14, vcc, v14, v8
	v_addc_co_u32_e32 v15, vcc, v13, v9, vcc
	global_load_dwordx2 v[16:17], v[14:15], off
	v_mad_u64_u32 v[18:19], s[0:1], v10, s26, 0
	v_add3_u32 v19, v19, v12, v11
	v_lshlrev_b64 v[10:11], 3, v[18:19]
	v_mov_b32_e32 v13, s5
	v_add_co_u32_e32 v10, vcc, s4, v10
	v_addc_co_u32_e32 v11, vcc, v13, v11, vcc
	v_add_co_u32_e32 v8, vcc, v10, v8
	v_addc_co_u32_e32 v9, vcc, v11, v9, vcc
	s_lshl_b64 s[0:1], s[20:21], 7
	s_waitcnt vmcnt(0)
	v_mul_f64 v[10:11], v[16:17], s[16:17]
	v_fmac_f64_e32 v[10:11], s[14:15], v[6:7]
	global_store_dwordx2 v[8:9], v[10:11], off
	global_load_dwordx2 v[6:7], v[14:15], off offset:128
	v_mov_b32_e32 v11, s1
	v_add_co_u32_e32 v10, vcc, s0, v14
	v_addc_co_u32_e32 v11, vcc, v15, v11, vcc
	s_lshl_b64 s[0:1], s[26:27], 7
	s_waitcnt vmcnt(0)
	v_mul_f64 v[6:7], v[6:7], s[16:17]
	v_fmac_f64_e32 v[6:7], s[14:15], v[4:5]
	global_store_dwordx2 v[8:9], v[6:7], off offset:128
	global_load_dwordx2 v[4:5], v[10:11], off
	v_mov_b32_e32 v6, s1
	s_waitcnt vmcnt(0)
	v_mul_f64 v[4:5], v[4:5], s[16:17]
	v_fmac_f64_e32 v[4:5], s[14:15], v[2:3]
	v_add_co_u32_e32 v2, vcc, s0, v8
	v_addc_co_u32_e32 v3, vcc, v9, v6, vcc
	global_store_dwordx2 v[2:3], v[4:5], off
	global_load_dwordx2 v[4:5], v[10:11], off offset:128
	s_waitcnt vmcnt(0)
	v_mul_f64 v[4:5], v[4:5], s[16:17]
	v_fmac_f64_e32 v[4:5], s[14:15], v[0:1]
	global_store_dwordx2 v[2:3], v[4:5], off offset:128
.LBB71_7:
	s_endpgm
.LBB71_8:
	s_branch .LBB71_6
	.section	.rodata,"a",@progbits
	.p2align	6, 0x0
	.amdhsa_kernel _ZN12_GLOBAL__N_127rocblas_gemm_batched_kernelIdLi16ELi16ELi32ELi32ELi8ELi32ELi8ELi8ELi32ELc78ELc84EKdS1_dEEvlllT_PT11_llS4_llS2_PT12_llPT13_lli
		.amdhsa_group_segment_fixed_size 4096
		.amdhsa_private_segment_fixed_size 0
		.amdhsa_kernarg_size 140
		.amdhsa_user_sgpr_count 6
		.amdhsa_user_sgpr_private_segment_buffer 1
		.amdhsa_user_sgpr_dispatch_ptr 0
		.amdhsa_user_sgpr_queue_ptr 0
		.amdhsa_user_sgpr_kernarg_segment_ptr 1
		.amdhsa_user_sgpr_dispatch_id 0
		.amdhsa_user_sgpr_flat_scratch_init 0
		.amdhsa_user_sgpr_kernarg_preload_length 0
		.amdhsa_user_sgpr_kernarg_preload_offset 0
		.amdhsa_user_sgpr_private_segment_size 0
		.amdhsa_uses_dynamic_stack 0
		.amdhsa_system_sgpr_private_segment_wavefront_offset 0
		.amdhsa_system_sgpr_workgroup_id_x 1
		.amdhsa_system_sgpr_workgroup_id_y 1
		.amdhsa_system_sgpr_workgroup_id_z 1
		.amdhsa_system_sgpr_workgroup_info 0
		.amdhsa_system_vgpr_workitem_id 1
		.amdhsa_next_free_vgpr 62
		.amdhsa_next_free_sgpr 32
		.amdhsa_accum_offset 64
		.amdhsa_reserve_vcc 1
		.amdhsa_reserve_flat_scratch 0
		.amdhsa_float_round_mode_32 0
		.amdhsa_float_round_mode_16_64 0
		.amdhsa_float_denorm_mode_32 3
		.amdhsa_float_denorm_mode_16_64 3
		.amdhsa_dx10_clamp 1
		.amdhsa_ieee_mode 1
		.amdhsa_fp16_overflow 0
		.amdhsa_tg_split 0
		.amdhsa_exception_fp_ieee_invalid_op 0
		.amdhsa_exception_fp_denorm_src 0
		.amdhsa_exception_fp_ieee_div_zero 0
		.amdhsa_exception_fp_ieee_overflow 0
		.amdhsa_exception_fp_ieee_underflow 0
		.amdhsa_exception_fp_ieee_inexact 0
		.amdhsa_exception_int_div_zero 0
	.end_amdhsa_kernel
	.section	.text._ZN12_GLOBAL__N_127rocblas_gemm_batched_kernelIdLi16ELi16ELi32ELi32ELi8ELi32ELi8ELi8ELi32ELc78ELc84EKdS1_dEEvlllT_PT11_llS4_llS2_PT12_llPT13_lli,"axG",@progbits,_ZN12_GLOBAL__N_127rocblas_gemm_batched_kernelIdLi16ELi16ELi32ELi32ELi8ELi32ELi8ELi8ELi32ELc78ELc84EKdS1_dEEvlllT_PT11_llS4_llS2_PT12_llPT13_lli,comdat
.Lfunc_end71:
	.size	_ZN12_GLOBAL__N_127rocblas_gemm_batched_kernelIdLi16ELi16ELi32ELi32ELi8ELi32ELi8ELi8ELi32ELc78ELc84EKdS1_dEEvlllT_PT11_llS4_llS2_PT12_llPT13_lli, .Lfunc_end71-_ZN12_GLOBAL__N_127rocblas_gemm_batched_kernelIdLi16ELi16ELi32ELi32ELi8ELi32ELi8ELi8ELi32ELc78ELc84EKdS1_dEEvlllT_PT11_llS4_llS2_PT12_llPT13_lli
                                        ; -- End function
	.section	.AMDGPU.csdata,"",@progbits
; Kernel info:
; codeLenInByte = 1336
; NumSgprs: 36
; NumVgprs: 62
; NumAgprs: 0
; TotalNumVgprs: 62
; ScratchSize: 0
; MemoryBound: 0
; FloatMode: 240
; IeeeMode: 1
; LDSByteSize: 4096 bytes/workgroup (compile time only)
; SGPRBlocks: 4
; VGPRBlocks: 7
; NumSGPRsForWavesPerEU: 36
; NumVGPRsForWavesPerEU: 62
; AccumOffset: 64
; Occupancy: 8
; WaveLimiterHint : 1
; COMPUTE_PGM_RSRC2:SCRATCH_EN: 0
; COMPUTE_PGM_RSRC2:USER_SGPR: 6
; COMPUTE_PGM_RSRC2:TRAP_HANDLER: 0
; COMPUTE_PGM_RSRC2:TGID_X_EN: 1
; COMPUTE_PGM_RSRC2:TGID_Y_EN: 1
; COMPUTE_PGM_RSRC2:TGID_Z_EN: 1
; COMPUTE_PGM_RSRC2:TIDIG_COMP_CNT: 1
; COMPUTE_PGM_RSRC3_GFX90A:ACCUM_OFFSET: 15
; COMPUTE_PGM_RSRC3_GFX90A:TG_SPLIT: 0
	.section	.text._ZN12_GLOBAL__N_127rocblas_gemm_batched_kernelIdLi16ELi16ELi32ELi32ELi8ELi32ELi8ELi8ELi32ELc84ELc84EKdS1_dEEvlllT_PT11_llS4_llS2_PT12_llPT13_lli,"axG",@progbits,_ZN12_GLOBAL__N_127rocblas_gemm_batched_kernelIdLi16ELi16ELi32ELi32ELi8ELi32ELi8ELi8ELi32ELc84ELc84EKdS1_dEEvlllT_PT11_llS4_llS2_PT12_llPT13_lli,comdat
	.globl	_ZN12_GLOBAL__N_127rocblas_gemm_batched_kernelIdLi16ELi16ELi32ELi32ELi8ELi32ELi8ELi8ELi32ELc84ELc84EKdS1_dEEvlllT_PT11_llS4_llS2_PT12_llPT13_lli ; -- Begin function _ZN12_GLOBAL__N_127rocblas_gemm_batched_kernelIdLi16ELi16ELi32ELi32ELi8ELi32ELi8ELi8ELi32ELc84ELc84EKdS1_dEEvlllT_PT11_llS4_llS2_PT12_llPT13_lli
	.p2align	8
	.type	_ZN12_GLOBAL__N_127rocblas_gemm_batched_kernelIdLi16ELi16ELi32ELi32ELi8ELi32ELi8ELi8ELi32ELc84ELc84EKdS1_dEEvlllT_PT11_llS4_llS2_PT12_llPT13_lli,@function
_ZN12_GLOBAL__N_127rocblas_gemm_batched_kernelIdLi16ELi16ELi32ELi32ELi8ELi32ELi8ELi8ELi32ELc84ELc84EKdS1_dEEvlllT_PT11_llS4_llS2_PT12_llPT13_lli: ; @_ZN12_GLOBAL__N_127rocblas_gemm_batched_kernelIdLi16ELi16ELi32ELi32ELi8ELi32ELi8ELi8ELi32ELc84ELc84EKdS1_dEEvlllT_PT11_llS4_llS2_PT12_llPT13_lli
; %bb.0:
	s_load_dwordx16 s[12:27], s[4:5], 0x10
	s_mov_b32 s2, s7
	s_ashr_i32 s7, s6, 31
	s_ashr_i32 s3, s2, 31
	v_bfe_u32 v15, v0, 10, 10
	s_waitcnt lgkmcnt(0)
	v_cmp_lt_i64_e64 s[10:11], s[12:13], 1
	v_and_b32_e32 v14, 0x3ff, v0
	s_lshl_b64 s[0:1], s[6:7], 5
	s_lshl_b64 s[2:3], s[2:3], 5
	s_mov_b64 s[6:7], 0
	s_and_b64 vcc, exec, s[10:11]
	s_cbranch_vccnz .LBB72_3
; %bb.1:
	v_lshl_add_u32 v2, v15, 4, v14
	v_and_b32_e32 v4, 31, v2
	v_lshrrev_b32_e32 v0, 3, v2
	v_and_b32_e32 v3, 7, v14
	v_lshrrev_b32_e32 v5, 5, v2
	v_lshlrev_b32_e32 v2, 3, v4
	v_lshl_or_b32 v16, v5, 8, v2
	v_lshlrev_b32_e32 v2, 3, v3
	v_mov_b32_e32 v1, 0
	v_lshl_or_b32 v2, v0, 6, v2
	s_mul_i32 s9, s27, s8
	s_mul_hi_u32 s10, s26, s8
	v_add_u32_e32 v17, 0x800, v2
	v_mov_b32_e32 v2, 0x800
	s_add_i32 s11, s10, s9
	s_mul_i32 s10, s26, s8
	v_mad_u64_u32 v[0:1], s[26:27], v3, s24, v[0:1]
	v_lshl_add_u32 v19, v15, 6, v2
	v_mov_b32_e32 v2, v1
	v_mad_u64_u32 v[2:3], s[26:27], v3, s25, v[2:3]
	s_lshl_b64 s[10:11], s[10:11], 3
	v_mov_b32_e32 v1, v2
	v_mov_b32_e32 v2, s3
	v_add_co_u32_e32 v0, vcc, s2, v0
	v_addc_co_u32_e32 v1, vcc, v1, v2, vcc
	s_add_u32 s9, s22, s10
	v_lshlrev_b64 v[0:1], 3, v[0:1]
	s_addc_u32 s10, s23, s11
	v_mov_b32_e32 v2, s10
	v_add_co_u32_e32 v8, vcc, s9, v0
	v_addc_co_u32_e32 v9, vcc, v2, v1, vcc
	v_mov_b32_e32 v0, s1
	v_add_co_u32_e32 v1, vcc, s0, v4
	v_addc_co_u32_e32 v0, vcc, 0, v0, vcc
	v_mul_lo_u32 v2, s19, v1
	v_mul_lo_u32 v3, s18, v0
	v_mad_u64_u32 v[0:1], s[18:19], s18, v1, 0
	s_mul_i32 s9, s21, s8
	s_mul_hi_u32 s18, s20, s8
	v_add3_u32 v1, v1, v3, v2
	s_add_i32 s19, s18, s9
	s_mul_i32 s18, s20, s8
	v_lshlrev_b64 v[0:1], 3, v[0:1]
	s_lshl_b64 s[18:19], s[18:19], 3
	v_mov_b32_e32 v2, s19
	v_add_co_u32_e32 v0, vcc, s18, v0
	v_addc_co_u32_e32 v1, vcc, v1, v2, vcc
	v_lshlrev_b32_e32 v2, 3, v5
	v_add_co_u32_e32 v0, vcc, v0, v2
	v_addc_co_u32_e32 v1, vcc, 0, v1, vcc
	s_lshl_b64 s[10:11], s[24:25], 6
	v_mov_b32_e32 v2, s17
	v_add_co_u32_e32 v10, vcc, s16, v0
	v_lshlrev_b32_e32 v18, 3, v14
	v_addc_co_u32_e32 v11, vcc, v2, v1, vcc
	v_pk_mov_b32 v[0:1], 0, 0
	v_mov_b32_e32 v20, s11
	v_pk_mov_b32 v[12:13], s[12:13], s[12:13] op_sel:[0,1]
	v_pk_mov_b32 v[2:3], 0, 0
	v_pk_mov_b32 v[4:5], 0, 0
	;; [unrolled: 1-line block ×3, first 2 shown]
.LBB72_2:                               ; =>This Inner Loop Header: Depth=1
	global_load_dwordx2 v[22:23], v[10:11], off
	global_load_dwordx2 v[24:25], v[8:9], off
	v_add_co_u32_e32 v8, vcc, s10, v8
	v_addc_co_u32_e32 v9, vcc, v9, v20, vcc
	s_add_u32 s6, s6, 8
	v_add_co_u32_e32 v10, vcc, 64, v10
	v_addc_co_u32_e32 v11, vcc, 0, v11, vcc
	s_addc_u32 s7, s7, 0
	v_cmp_lt_i64_e32 vcc, s[6:7], v[12:13]
	s_and_b64 vcc, exec, vcc
	s_waitcnt vmcnt(1)
	ds_write_b64 v16, v[22:23]
	s_waitcnt vmcnt(0)
	ds_write_b64 v17, v[24:25]
	s_waitcnt lgkmcnt(0)
	s_barrier
	ds_read_b128 v[22:25], v19
	ds_read_b128 v[26:29], v19 offset:16
	ds_read_b128 v[30:33], v19 offset:32
	;; [unrolled: 1-line block ×3, first 2 shown]
	ds_read2_b64 v[38:41], v18 offset1:16
	ds_read2_b64 v[42:45], v18 offset0:32 offset1:48
	ds_read2_b64 v[46:49], v18 offset0:64 offset1:80
	ds_read_b128 v[50:53], v19 offset:1024
	ds_read_b128 v[54:57], v19 offset:1040
	ds_read2_b64 v[58:61], v18 offset0:96 offset1:112
	s_waitcnt lgkmcnt(5)
	v_fmac_f64_e32 v[6:7], v[38:39], v[22:23]
	v_fmac_f64_e32 v[4:5], v[40:41], v[22:23]
	s_waitcnt lgkmcnt(2)
	v_fmac_f64_e32 v[2:3], v[38:39], v[50:51]
	v_fmac_f64_e32 v[0:1], v[40:41], v[50:51]
	ds_read2_b64 v[38:41], v18 offset0:128 offset1:144
	v_fmac_f64_e32 v[6:7], v[42:43], v[24:25]
	v_fmac_f64_e32 v[4:5], v[44:45], v[24:25]
	ds_read2_b64 v[22:25], v18 offset0:160 offset1:176
	;; [unrolled: 3-line block ×3, first 2 shown]
	ds_read_b128 v[50:53], v19 offset:1056
	v_fmac_f64_e32 v[6:7], v[46:47], v[26:27]
	v_fmac_f64_e32 v[4:5], v[48:49], v[26:27]
	s_waitcnt lgkmcnt(5)
	v_fmac_f64_e32 v[2:3], v[46:47], v[54:55]
	v_fmac_f64_e32 v[0:1], v[48:49], v[54:55]
	ds_read_b128 v[46:49], v19 offset:1072
	s_waitcnt lgkmcnt(5)
	v_fmac_f64_e32 v[6:7], v[58:59], v[28:29]
	v_fmac_f64_e32 v[4:5], v[60:61], v[28:29]
	ds_read2_b64 v[26:29], v18 offset0:224 offset1:240
	v_fmac_f64_e32 v[2:3], v[58:59], v[56:57]
	v_fmac_f64_e32 v[0:1], v[60:61], v[56:57]
	s_waitcnt lgkmcnt(5)
	v_fmac_f64_e32 v[6:7], v[38:39], v[30:31]
	v_fmac_f64_e32 v[4:5], v[40:41], v[30:31]
	s_waitcnt lgkmcnt(2)
	v_fmac_f64_e32 v[2:3], v[38:39], v[50:51]
	v_fmac_f64_e32 v[0:1], v[40:41], v[50:51]
	;; [unrolled: 1-line block ×8, first 2 shown]
	s_waitcnt lgkmcnt(1)
	v_fmac_f64_e32 v[2:3], v[42:43], v[46:47]
	v_fmac_f64_e32 v[0:1], v[44:45], v[46:47]
	s_waitcnt lgkmcnt(0)
	v_fmac_f64_e32 v[6:7], v[26:27], v[36:37]
	v_fmac_f64_e32 v[4:5], v[28:29], v[36:37]
	;; [unrolled: 1-line block ×4, first 2 shown]
	s_barrier
	s_cbranch_vccnz .LBB72_2
	s_branch .LBB72_4
.LBB72_3:
	v_pk_mov_b32 v[6:7], 0, 0
	v_pk_mov_b32 v[4:5], 0, 0
	;; [unrolled: 1-line block ×4, first 2 shown]
.LBB72_4:
	s_load_dwordx8 s[24:31], s[4:5], 0x70
	s_load_dwordx8 s[16:23], s[4:5], 0x50
	v_mov_b32_e32 v8, s3
	v_add_co_u32_e32 v10, vcc, s2, v15
	s_waitcnt lgkmcnt(0)
	s_mul_i32 s3, s8, s29
	s_mul_hi_u32 s5, s8, s28
	s_mul_i32 s4, s8, s28
	s_add_i32 s5, s5, s3
	v_addc_co_u32_e32 v13, vcc, 0, v8, vcc
	s_lshl_b64 s[4:5], s[4:5], 3
	v_mov_b32_e32 v9, s1
	v_add_co_u32_e32 v8, vcc, s0, v14
	s_add_u32 s4, s24, s4
	v_cmp_neq_f64_e64 s[6:7], s[16:17], 0
	v_addc_co_u32_e32 v9, vcc, 0, v9, vcc
	s_addc_u32 s5, s25, s5
	s_mov_b64 s[2:3], 0
	s_and_b64 vcc, exec, s[6:7]
	v_mul_lo_u32 v11, v13, s26
	v_mul_lo_u32 v12, v10, s27
	v_lshlrev_b64 v[8:9], 3, v[8:9]
	s_cbranch_vccnz .LBB72_8
; %bb.5:
	v_mad_u64_u32 v[14:15], s[0:1], v10, s26, 0
	v_add3_u32 v15, v15, v12, v11
	v_lshlrev_b64 v[14:15], 3, v[14:15]
	v_mov_b32_e32 v16, s5
	v_add_co_u32_e32 v17, vcc, s4, v14
	v_addc_co_u32_e32 v18, vcc, v16, v15, vcc
	v_add_co_u32_e32 v16, vcc, v17, v8
	v_mul_f64 v[14:15], v[6:7], s[14:15]
	v_addc_co_u32_e32 v17, vcc, v18, v9, vcc
	global_store_dwordx2 v[16:17], v[14:15], off
	v_mul_f64 v[14:15], v[4:5], s[14:15]
	s_lshl_b64 s[0:1], s[26:27], 7
	global_store_dwordx2 v[16:17], v[14:15], off offset:128
	v_mov_b32_e32 v18, s1
	v_add_co_u32_e32 v16, vcc, s0, v16
	v_mul_f64 v[14:15], v[2:3], s[14:15]
	v_addc_co_u32_e32 v17, vcc, v17, v18, vcc
	global_store_dwordx2 v[16:17], v[14:15], off
	v_mul_f64 v[14:15], v[0:1], s[14:15]
	global_store_dwordx2 v[16:17], v[14:15], off offset:128
	s_andn2_b64 vcc, exec, s[2:3]
	s_cbranch_vccnz .LBB72_7
.LBB72_6:
	s_mul_i32 s0, s8, s23
	s_mul_hi_u32 s1, s8, s22
	s_add_i32 s1, s1, s0
	s_mul_i32 s0, s8, s22
	s_lshl_b64 s[0:1], s[0:1], 3
	s_add_u32 s2, s18, s0
	s_addc_u32 s3, s19, s1
	v_mul_lo_u32 v13, v13, s20
	v_mul_lo_u32 v16, v10, s21
	v_mad_u64_u32 v[14:15], s[0:1], v10, s20, 0
	v_add3_u32 v15, v15, v16, v13
	v_lshlrev_b64 v[14:15], 3, v[14:15]
	v_mov_b32_e32 v13, s3
	v_add_co_u32_e32 v14, vcc, s2, v14
	v_addc_co_u32_e32 v13, vcc, v13, v15, vcc
	v_add_co_u32_e32 v14, vcc, v14, v8
	v_addc_co_u32_e32 v15, vcc, v13, v9, vcc
	global_load_dwordx2 v[16:17], v[14:15], off
	v_mad_u64_u32 v[18:19], s[0:1], v10, s26, 0
	v_add3_u32 v19, v19, v12, v11
	v_lshlrev_b64 v[10:11], 3, v[18:19]
	v_mov_b32_e32 v13, s5
	v_add_co_u32_e32 v10, vcc, s4, v10
	v_addc_co_u32_e32 v11, vcc, v13, v11, vcc
	v_add_co_u32_e32 v8, vcc, v10, v8
	v_addc_co_u32_e32 v9, vcc, v11, v9, vcc
	s_lshl_b64 s[0:1], s[20:21], 7
	s_waitcnt vmcnt(0)
	v_mul_f64 v[10:11], v[16:17], s[16:17]
	v_fmac_f64_e32 v[10:11], s[14:15], v[6:7]
	global_store_dwordx2 v[8:9], v[10:11], off
	global_load_dwordx2 v[6:7], v[14:15], off offset:128
	v_mov_b32_e32 v11, s1
	v_add_co_u32_e32 v10, vcc, s0, v14
	v_addc_co_u32_e32 v11, vcc, v15, v11, vcc
	s_lshl_b64 s[0:1], s[26:27], 7
	s_waitcnt vmcnt(0)
	v_mul_f64 v[6:7], v[6:7], s[16:17]
	v_fmac_f64_e32 v[6:7], s[14:15], v[4:5]
	global_store_dwordx2 v[8:9], v[6:7], off offset:128
	global_load_dwordx2 v[4:5], v[10:11], off
	v_mov_b32_e32 v6, s1
	s_waitcnt vmcnt(0)
	v_mul_f64 v[4:5], v[4:5], s[16:17]
	v_fmac_f64_e32 v[4:5], s[14:15], v[2:3]
	v_add_co_u32_e32 v2, vcc, s0, v8
	v_addc_co_u32_e32 v3, vcc, v9, v6, vcc
	global_store_dwordx2 v[2:3], v[4:5], off
	global_load_dwordx2 v[4:5], v[10:11], off offset:128
	s_waitcnt vmcnt(0)
	v_mul_f64 v[4:5], v[4:5], s[16:17]
	v_fmac_f64_e32 v[4:5], s[14:15], v[0:1]
	global_store_dwordx2 v[2:3], v[4:5], off offset:128
.LBB72_7:
	s_endpgm
.LBB72_8:
	s_branch .LBB72_6
	.section	.rodata,"a",@progbits
	.p2align	6, 0x0
	.amdhsa_kernel _ZN12_GLOBAL__N_127rocblas_gemm_batched_kernelIdLi16ELi16ELi32ELi32ELi8ELi32ELi8ELi8ELi32ELc84ELc84EKdS1_dEEvlllT_PT11_llS4_llS2_PT12_llPT13_lli
		.amdhsa_group_segment_fixed_size 4096
		.amdhsa_private_segment_fixed_size 0
		.amdhsa_kernarg_size 140
		.amdhsa_user_sgpr_count 6
		.amdhsa_user_sgpr_private_segment_buffer 1
		.amdhsa_user_sgpr_dispatch_ptr 0
		.amdhsa_user_sgpr_queue_ptr 0
		.amdhsa_user_sgpr_kernarg_segment_ptr 1
		.amdhsa_user_sgpr_dispatch_id 0
		.amdhsa_user_sgpr_flat_scratch_init 0
		.amdhsa_user_sgpr_kernarg_preload_length 0
		.amdhsa_user_sgpr_kernarg_preload_offset 0
		.amdhsa_user_sgpr_private_segment_size 0
		.amdhsa_uses_dynamic_stack 0
		.amdhsa_system_sgpr_private_segment_wavefront_offset 0
		.amdhsa_system_sgpr_workgroup_id_x 1
		.amdhsa_system_sgpr_workgroup_id_y 1
		.amdhsa_system_sgpr_workgroup_id_z 1
		.amdhsa_system_sgpr_workgroup_info 0
		.amdhsa_system_vgpr_workitem_id 1
		.amdhsa_next_free_vgpr 62
		.amdhsa_next_free_sgpr 32
		.amdhsa_accum_offset 64
		.amdhsa_reserve_vcc 1
		.amdhsa_reserve_flat_scratch 0
		.amdhsa_float_round_mode_32 0
		.amdhsa_float_round_mode_16_64 0
		.amdhsa_float_denorm_mode_32 3
		.amdhsa_float_denorm_mode_16_64 3
		.amdhsa_dx10_clamp 1
		.amdhsa_ieee_mode 1
		.amdhsa_fp16_overflow 0
		.amdhsa_tg_split 0
		.amdhsa_exception_fp_ieee_invalid_op 0
		.amdhsa_exception_fp_denorm_src 0
		.amdhsa_exception_fp_ieee_div_zero 0
		.amdhsa_exception_fp_ieee_overflow 0
		.amdhsa_exception_fp_ieee_underflow 0
		.amdhsa_exception_fp_ieee_inexact 0
		.amdhsa_exception_int_div_zero 0
	.end_amdhsa_kernel
	.section	.text._ZN12_GLOBAL__N_127rocblas_gemm_batched_kernelIdLi16ELi16ELi32ELi32ELi8ELi32ELi8ELi8ELi32ELc84ELc84EKdS1_dEEvlllT_PT11_llS4_llS2_PT12_llPT13_lli,"axG",@progbits,_ZN12_GLOBAL__N_127rocblas_gemm_batched_kernelIdLi16ELi16ELi32ELi32ELi8ELi32ELi8ELi8ELi32ELc84ELc84EKdS1_dEEvlllT_PT11_llS4_llS2_PT12_llPT13_lli,comdat
.Lfunc_end72:
	.size	_ZN12_GLOBAL__N_127rocblas_gemm_batched_kernelIdLi16ELi16ELi32ELi32ELi8ELi32ELi8ELi8ELi32ELc84ELc84EKdS1_dEEvlllT_PT11_llS4_llS2_PT12_llPT13_lli, .Lfunc_end72-_ZN12_GLOBAL__N_127rocblas_gemm_batched_kernelIdLi16ELi16ELi32ELi32ELi8ELi32ELi8ELi8ELi32ELc84ELc84EKdS1_dEEvlllT_PT11_llS4_llS2_PT12_llPT13_lli
                                        ; -- End function
	.section	.AMDGPU.csdata,"",@progbits
; Kernel info:
; codeLenInByte = 1348
; NumSgprs: 36
; NumVgprs: 62
; NumAgprs: 0
; TotalNumVgprs: 62
; ScratchSize: 0
; MemoryBound: 0
; FloatMode: 240
; IeeeMode: 1
; LDSByteSize: 4096 bytes/workgroup (compile time only)
; SGPRBlocks: 4
; VGPRBlocks: 7
; NumSGPRsForWavesPerEU: 36
; NumVGPRsForWavesPerEU: 62
; AccumOffset: 64
; Occupancy: 8
; WaveLimiterHint : 1
; COMPUTE_PGM_RSRC2:SCRATCH_EN: 0
; COMPUTE_PGM_RSRC2:USER_SGPR: 6
; COMPUTE_PGM_RSRC2:TRAP_HANDLER: 0
; COMPUTE_PGM_RSRC2:TGID_X_EN: 1
; COMPUTE_PGM_RSRC2:TGID_Y_EN: 1
; COMPUTE_PGM_RSRC2:TGID_Z_EN: 1
; COMPUTE_PGM_RSRC2:TIDIG_COMP_CNT: 1
; COMPUTE_PGM_RSRC3_GFX90A:ACCUM_OFFSET: 15
; COMPUTE_PGM_RSRC3_GFX90A:TG_SPLIT: 0
	.section	.text._ZN12_GLOBAL__N_127rocblas_gemm_batched_kernelIdLi16ELi16ELi32ELi32ELi8ELi32ELi8ELi8ELi32ELc67ELc67EKdS1_dEEvlllT_PT11_llS4_llS2_PT12_llPT13_lli,"axG",@progbits,_ZN12_GLOBAL__N_127rocblas_gemm_batched_kernelIdLi16ELi16ELi32ELi32ELi8ELi32ELi8ELi8ELi32ELc67ELc67EKdS1_dEEvlllT_PT11_llS4_llS2_PT12_llPT13_lli,comdat
	.globl	_ZN12_GLOBAL__N_127rocblas_gemm_batched_kernelIdLi16ELi16ELi32ELi32ELi8ELi32ELi8ELi8ELi32ELc67ELc67EKdS1_dEEvlllT_PT11_llS4_llS2_PT12_llPT13_lli ; -- Begin function _ZN12_GLOBAL__N_127rocblas_gemm_batched_kernelIdLi16ELi16ELi32ELi32ELi8ELi32ELi8ELi8ELi32ELc67ELc67EKdS1_dEEvlllT_PT11_llS4_llS2_PT12_llPT13_lli
	.p2align	8
	.type	_ZN12_GLOBAL__N_127rocblas_gemm_batched_kernelIdLi16ELi16ELi32ELi32ELi8ELi32ELi8ELi8ELi32ELc67ELc67EKdS1_dEEvlllT_PT11_llS4_llS2_PT12_llPT13_lli,@function
_ZN12_GLOBAL__N_127rocblas_gemm_batched_kernelIdLi16ELi16ELi32ELi32ELi8ELi32ELi8ELi8ELi32ELc67ELc67EKdS1_dEEvlllT_PT11_llS4_llS2_PT12_llPT13_lli: ; @_ZN12_GLOBAL__N_127rocblas_gemm_batched_kernelIdLi16ELi16ELi32ELi32ELi8ELi32ELi8ELi8ELi32ELc67ELc67EKdS1_dEEvlllT_PT11_llS4_llS2_PT12_llPT13_lli
; %bb.0:
	s_load_dwordx16 s[12:27], s[4:5], 0x10
	s_mov_b32 s2, s7
	s_ashr_i32 s7, s6, 31
	s_ashr_i32 s3, s2, 31
	v_bfe_u32 v15, v0, 10, 10
	s_waitcnt lgkmcnt(0)
	v_cmp_lt_i64_e64 s[10:11], s[12:13], 1
	v_and_b32_e32 v14, 0x3ff, v0
	s_lshl_b64 s[0:1], s[6:7], 5
	s_lshl_b64 s[2:3], s[2:3], 5
	s_mov_b64 s[6:7], 0
	s_and_b64 vcc, exec, s[10:11]
	s_cbranch_vccnz .LBB73_3
; %bb.1:
	v_lshl_add_u32 v2, v15, 4, v14
	v_and_b32_e32 v4, 31, v2
	v_lshrrev_b32_e32 v0, 3, v2
	v_and_b32_e32 v3, 7, v14
	v_lshrrev_b32_e32 v5, 5, v2
	v_lshlrev_b32_e32 v2, 3, v4
	v_lshl_or_b32 v16, v5, 8, v2
	v_lshlrev_b32_e32 v2, 3, v3
	v_mov_b32_e32 v1, 0
	v_lshl_or_b32 v2, v0, 6, v2
	s_mul_i32 s9, s27, s8
	s_mul_hi_u32 s10, s26, s8
	v_add_u32_e32 v17, 0x800, v2
	v_mov_b32_e32 v2, 0x800
	s_add_i32 s11, s10, s9
	s_mul_i32 s10, s26, s8
	v_mad_u64_u32 v[0:1], s[26:27], v3, s24, v[0:1]
	v_lshl_add_u32 v19, v15, 6, v2
	v_mov_b32_e32 v2, v1
	v_mad_u64_u32 v[2:3], s[26:27], v3, s25, v[2:3]
	s_lshl_b64 s[10:11], s[10:11], 3
	v_mov_b32_e32 v1, v2
	v_mov_b32_e32 v2, s3
	v_add_co_u32_e32 v0, vcc, s2, v0
	v_addc_co_u32_e32 v1, vcc, v1, v2, vcc
	s_add_u32 s9, s22, s10
	v_lshlrev_b64 v[0:1], 3, v[0:1]
	s_addc_u32 s10, s23, s11
	v_mov_b32_e32 v2, s10
	v_add_co_u32_e32 v8, vcc, s9, v0
	v_addc_co_u32_e32 v9, vcc, v2, v1, vcc
	v_mov_b32_e32 v0, s1
	v_add_co_u32_e32 v1, vcc, s0, v4
	v_addc_co_u32_e32 v0, vcc, 0, v0, vcc
	v_mul_lo_u32 v2, s19, v1
	v_mul_lo_u32 v3, s18, v0
	v_mad_u64_u32 v[0:1], s[18:19], s18, v1, 0
	s_mul_i32 s9, s21, s8
	s_mul_hi_u32 s18, s20, s8
	v_add3_u32 v1, v1, v3, v2
	s_add_i32 s19, s18, s9
	s_mul_i32 s18, s20, s8
	v_lshlrev_b64 v[0:1], 3, v[0:1]
	s_lshl_b64 s[18:19], s[18:19], 3
	v_mov_b32_e32 v2, s19
	v_add_co_u32_e32 v0, vcc, s18, v0
	v_addc_co_u32_e32 v1, vcc, v1, v2, vcc
	v_lshlrev_b32_e32 v2, 3, v5
	v_add_co_u32_e32 v0, vcc, v0, v2
	v_addc_co_u32_e32 v1, vcc, 0, v1, vcc
	s_lshl_b64 s[10:11], s[24:25], 6
	v_mov_b32_e32 v2, s17
	v_add_co_u32_e32 v10, vcc, s16, v0
	v_lshlrev_b32_e32 v18, 3, v14
	v_addc_co_u32_e32 v11, vcc, v2, v1, vcc
	v_pk_mov_b32 v[0:1], 0, 0
	v_mov_b32_e32 v20, s11
	v_pk_mov_b32 v[12:13], s[12:13], s[12:13] op_sel:[0,1]
	v_pk_mov_b32 v[2:3], 0, 0
	v_pk_mov_b32 v[4:5], 0, 0
	;; [unrolled: 1-line block ×3, first 2 shown]
.LBB73_2:                               ; =>This Inner Loop Header: Depth=1
	global_load_dwordx2 v[22:23], v[10:11], off
	global_load_dwordx2 v[24:25], v[8:9], off
	v_add_co_u32_e32 v8, vcc, s10, v8
	v_addc_co_u32_e32 v9, vcc, v9, v20, vcc
	s_add_u32 s6, s6, 8
	v_add_co_u32_e32 v10, vcc, 64, v10
	v_addc_co_u32_e32 v11, vcc, 0, v11, vcc
	s_addc_u32 s7, s7, 0
	v_cmp_lt_i64_e32 vcc, s[6:7], v[12:13]
	s_and_b64 vcc, exec, vcc
	s_waitcnt vmcnt(1)
	ds_write_b64 v16, v[22:23]
	s_waitcnt vmcnt(0)
	ds_write_b64 v17, v[24:25]
	s_waitcnt lgkmcnt(0)
	s_barrier
	ds_read_b128 v[22:25], v19
	ds_read_b128 v[26:29], v19 offset:16
	ds_read_b128 v[30:33], v19 offset:32
	ds_read_b128 v[34:37], v19 offset:48
	ds_read2_b64 v[38:41], v18 offset1:16
	ds_read2_b64 v[42:45], v18 offset0:32 offset1:48
	ds_read2_b64 v[46:49], v18 offset0:64 offset1:80
	ds_read_b128 v[50:53], v19 offset:1024
	ds_read_b128 v[54:57], v19 offset:1040
	ds_read2_b64 v[58:61], v18 offset0:96 offset1:112
	s_waitcnt lgkmcnt(5)
	v_fmac_f64_e32 v[6:7], v[38:39], v[22:23]
	v_fmac_f64_e32 v[4:5], v[40:41], v[22:23]
	s_waitcnt lgkmcnt(2)
	v_fmac_f64_e32 v[2:3], v[38:39], v[50:51]
	v_fmac_f64_e32 v[0:1], v[40:41], v[50:51]
	ds_read2_b64 v[38:41], v18 offset0:128 offset1:144
	v_fmac_f64_e32 v[6:7], v[42:43], v[24:25]
	v_fmac_f64_e32 v[4:5], v[44:45], v[24:25]
	ds_read2_b64 v[22:25], v18 offset0:160 offset1:176
	;; [unrolled: 3-line block ×3, first 2 shown]
	ds_read_b128 v[50:53], v19 offset:1056
	v_fmac_f64_e32 v[6:7], v[46:47], v[26:27]
	v_fmac_f64_e32 v[4:5], v[48:49], v[26:27]
	s_waitcnt lgkmcnt(5)
	v_fmac_f64_e32 v[2:3], v[46:47], v[54:55]
	v_fmac_f64_e32 v[0:1], v[48:49], v[54:55]
	ds_read_b128 v[46:49], v19 offset:1072
	s_waitcnt lgkmcnt(5)
	v_fmac_f64_e32 v[6:7], v[58:59], v[28:29]
	v_fmac_f64_e32 v[4:5], v[60:61], v[28:29]
	ds_read2_b64 v[26:29], v18 offset0:224 offset1:240
	v_fmac_f64_e32 v[2:3], v[58:59], v[56:57]
	v_fmac_f64_e32 v[0:1], v[60:61], v[56:57]
	s_waitcnt lgkmcnt(5)
	v_fmac_f64_e32 v[6:7], v[38:39], v[30:31]
	v_fmac_f64_e32 v[4:5], v[40:41], v[30:31]
	s_waitcnt lgkmcnt(2)
	v_fmac_f64_e32 v[2:3], v[38:39], v[50:51]
	v_fmac_f64_e32 v[0:1], v[40:41], v[50:51]
	;; [unrolled: 1-line block ×8, first 2 shown]
	s_waitcnt lgkmcnt(1)
	v_fmac_f64_e32 v[2:3], v[42:43], v[46:47]
	v_fmac_f64_e32 v[0:1], v[44:45], v[46:47]
	s_waitcnt lgkmcnt(0)
	v_fmac_f64_e32 v[6:7], v[26:27], v[36:37]
	v_fmac_f64_e32 v[4:5], v[28:29], v[36:37]
	;; [unrolled: 1-line block ×4, first 2 shown]
	s_barrier
	s_cbranch_vccnz .LBB73_2
	s_branch .LBB73_4
.LBB73_3:
	v_pk_mov_b32 v[6:7], 0, 0
	v_pk_mov_b32 v[4:5], 0, 0
	;; [unrolled: 1-line block ×4, first 2 shown]
.LBB73_4:
	s_load_dwordx8 s[24:31], s[4:5], 0x70
	s_load_dwordx8 s[16:23], s[4:5], 0x50
	v_mov_b32_e32 v8, s3
	v_add_co_u32_e32 v10, vcc, s2, v15
	s_waitcnt lgkmcnt(0)
	s_mul_i32 s3, s8, s29
	s_mul_hi_u32 s5, s8, s28
	s_mul_i32 s4, s8, s28
	s_add_i32 s5, s5, s3
	v_addc_co_u32_e32 v13, vcc, 0, v8, vcc
	s_lshl_b64 s[4:5], s[4:5], 3
	v_mov_b32_e32 v9, s1
	v_add_co_u32_e32 v8, vcc, s0, v14
	s_add_u32 s4, s24, s4
	v_cmp_neq_f64_e64 s[6:7], s[16:17], 0
	v_addc_co_u32_e32 v9, vcc, 0, v9, vcc
	s_addc_u32 s5, s25, s5
	s_mov_b64 s[2:3], 0
	s_and_b64 vcc, exec, s[6:7]
	v_mul_lo_u32 v11, v13, s26
	v_mul_lo_u32 v12, v10, s27
	v_lshlrev_b64 v[8:9], 3, v[8:9]
	s_cbranch_vccnz .LBB73_8
; %bb.5:
	v_mad_u64_u32 v[14:15], s[0:1], v10, s26, 0
	v_add3_u32 v15, v15, v12, v11
	v_lshlrev_b64 v[14:15], 3, v[14:15]
	v_mov_b32_e32 v16, s5
	v_add_co_u32_e32 v17, vcc, s4, v14
	v_addc_co_u32_e32 v18, vcc, v16, v15, vcc
	v_add_co_u32_e32 v16, vcc, v17, v8
	v_mul_f64 v[14:15], v[6:7], s[14:15]
	v_addc_co_u32_e32 v17, vcc, v18, v9, vcc
	global_store_dwordx2 v[16:17], v[14:15], off
	v_mul_f64 v[14:15], v[4:5], s[14:15]
	s_lshl_b64 s[0:1], s[26:27], 7
	global_store_dwordx2 v[16:17], v[14:15], off offset:128
	v_mov_b32_e32 v18, s1
	v_add_co_u32_e32 v16, vcc, s0, v16
	v_mul_f64 v[14:15], v[2:3], s[14:15]
	v_addc_co_u32_e32 v17, vcc, v17, v18, vcc
	global_store_dwordx2 v[16:17], v[14:15], off
	v_mul_f64 v[14:15], v[0:1], s[14:15]
	global_store_dwordx2 v[16:17], v[14:15], off offset:128
	s_andn2_b64 vcc, exec, s[2:3]
	s_cbranch_vccnz .LBB73_7
.LBB73_6:
	s_mul_i32 s0, s8, s23
	s_mul_hi_u32 s1, s8, s22
	s_add_i32 s1, s1, s0
	s_mul_i32 s0, s8, s22
	s_lshl_b64 s[0:1], s[0:1], 3
	s_add_u32 s2, s18, s0
	s_addc_u32 s3, s19, s1
	v_mul_lo_u32 v13, v13, s20
	v_mul_lo_u32 v16, v10, s21
	v_mad_u64_u32 v[14:15], s[0:1], v10, s20, 0
	v_add3_u32 v15, v15, v16, v13
	v_lshlrev_b64 v[14:15], 3, v[14:15]
	v_mov_b32_e32 v13, s3
	v_add_co_u32_e32 v14, vcc, s2, v14
	v_addc_co_u32_e32 v13, vcc, v13, v15, vcc
	v_add_co_u32_e32 v14, vcc, v14, v8
	v_addc_co_u32_e32 v15, vcc, v13, v9, vcc
	global_load_dwordx2 v[16:17], v[14:15], off
	v_mad_u64_u32 v[18:19], s[0:1], v10, s26, 0
	v_add3_u32 v19, v19, v12, v11
	v_lshlrev_b64 v[10:11], 3, v[18:19]
	v_mov_b32_e32 v13, s5
	v_add_co_u32_e32 v10, vcc, s4, v10
	v_addc_co_u32_e32 v11, vcc, v13, v11, vcc
	v_add_co_u32_e32 v8, vcc, v10, v8
	v_addc_co_u32_e32 v9, vcc, v11, v9, vcc
	s_lshl_b64 s[0:1], s[20:21], 7
	s_waitcnt vmcnt(0)
	v_mul_f64 v[10:11], v[16:17], s[16:17]
	v_fmac_f64_e32 v[10:11], s[14:15], v[6:7]
	global_store_dwordx2 v[8:9], v[10:11], off
	global_load_dwordx2 v[6:7], v[14:15], off offset:128
	v_mov_b32_e32 v11, s1
	v_add_co_u32_e32 v10, vcc, s0, v14
	v_addc_co_u32_e32 v11, vcc, v15, v11, vcc
	s_lshl_b64 s[0:1], s[26:27], 7
	s_waitcnt vmcnt(0)
	v_mul_f64 v[6:7], v[6:7], s[16:17]
	v_fmac_f64_e32 v[6:7], s[14:15], v[4:5]
	global_store_dwordx2 v[8:9], v[6:7], off offset:128
	global_load_dwordx2 v[4:5], v[10:11], off
	v_mov_b32_e32 v6, s1
	s_waitcnt vmcnt(0)
	v_mul_f64 v[4:5], v[4:5], s[16:17]
	v_fmac_f64_e32 v[4:5], s[14:15], v[2:3]
	v_add_co_u32_e32 v2, vcc, s0, v8
	v_addc_co_u32_e32 v3, vcc, v9, v6, vcc
	global_store_dwordx2 v[2:3], v[4:5], off
	global_load_dwordx2 v[4:5], v[10:11], off offset:128
	s_waitcnt vmcnt(0)
	v_mul_f64 v[4:5], v[4:5], s[16:17]
	v_fmac_f64_e32 v[4:5], s[14:15], v[0:1]
	global_store_dwordx2 v[2:3], v[4:5], off offset:128
.LBB73_7:
	s_endpgm
.LBB73_8:
	s_branch .LBB73_6
	.section	.rodata,"a",@progbits
	.p2align	6, 0x0
	.amdhsa_kernel _ZN12_GLOBAL__N_127rocblas_gemm_batched_kernelIdLi16ELi16ELi32ELi32ELi8ELi32ELi8ELi8ELi32ELc67ELc67EKdS1_dEEvlllT_PT11_llS4_llS2_PT12_llPT13_lli
		.amdhsa_group_segment_fixed_size 4096
		.amdhsa_private_segment_fixed_size 0
		.amdhsa_kernarg_size 140
		.amdhsa_user_sgpr_count 6
		.amdhsa_user_sgpr_private_segment_buffer 1
		.amdhsa_user_sgpr_dispatch_ptr 0
		.amdhsa_user_sgpr_queue_ptr 0
		.amdhsa_user_sgpr_kernarg_segment_ptr 1
		.amdhsa_user_sgpr_dispatch_id 0
		.amdhsa_user_sgpr_flat_scratch_init 0
		.amdhsa_user_sgpr_kernarg_preload_length 0
		.amdhsa_user_sgpr_kernarg_preload_offset 0
		.amdhsa_user_sgpr_private_segment_size 0
		.amdhsa_uses_dynamic_stack 0
		.amdhsa_system_sgpr_private_segment_wavefront_offset 0
		.amdhsa_system_sgpr_workgroup_id_x 1
		.amdhsa_system_sgpr_workgroup_id_y 1
		.amdhsa_system_sgpr_workgroup_id_z 1
		.amdhsa_system_sgpr_workgroup_info 0
		.amdhsa_system_vgpr_workitem_id 1
		.amdhsa_next_free_vgpr 62
		.amdhsa_next_free_sgpr 32
		.amdhsa_accum_offset 64
		.amdhsa_reserve_vcc 1
		.amdhsa_reserve_flat_scratch 0
		.amdhsa_float_round_mode_32 0
		.amdhsa_float_round_mode_16_64 0
		.amdhsa_float_denorm_mode_32 3
		.amdhsa_float_denorm_mode_16_64 3
		.amdhsa_dx10_clamp 1
		.amdhsa_ieee_mode 1
		.amdhsa_fp16_overflow 0
		.amdhsa_tg_split 0
		.amdhsa_exception_fp_ieee_invalid_op 0
		.amdhsa_exception_fp_denorm_src 0
		.amdhsa_exception_fp_ieee_div_zero 0
		.amdhsa_exception_fp_ieee_overflow 0
		.amdhsa_exception_fp_ieee_underflow 0
		.amdhsa_exception_fp_ieee_inexact 0
		.amdhsa_exception_int_div_zero 0
	.end_amdhsa_kernel
	.section	.text._ZN12_GLOBAL__N_127rocblas_gemm_batched_kernelIdLi16ELi16ELi32ELi32ELi8ELi32ELi8ELi8ELi32ELc67ELc67EKdS1_dEEvlllT_PT11_llS4_llS2_PT12_llPT13_lli,"axG",@progbits,_ZN12_GLOBAL__N_127rocblas_gemm_batched_kernelIdLi16ELi16ELi32ELi32ELi8ELi32ELi8ELi8ELi32ELc67ELc67EKdS1_dEEvlllT_PT11_llS4_llS2_PT12_llPT13_lli,comdat
.Lfunc_end73:
	.size	_ZN12_GLOBAL__N_127rocblas_gemm_batched_kernelIdLi16ELi16ELi32ELi32ELi8ELi32ELi8ELi8ELi32ELc67ELc67EKdS1_dEEvlllT_PT11_llS4_llS2_PT12_llPT13_lli, .Lfunc_end73-_ZN12_GLOBAL__N_127rocblas_gemm_batched_kernelIdLi16ELi16ELi32ELi32ELi8ELi32ELi8ELi8ELi32ELc67ELc67EKdS1_dEEvlllT_PT11_llS4_llS2_PT12_llPT13_lli
                                        ; -- End function
	.section	.AMDGPU.csdata,"",@progbits
; Kernel info:
; codeLenInByte = 1348
; NumSgprs: 36
; NumVgprs: 62
; NumAgprs: 0
; TotalNumVgprs: 62
; ScratchSize: 0
; MemoryBound: 0
; FloatMode: 240
; IeeeMode: 1
; LDSByteSize: 4096 bytes/workgroup (compile time only)
; SGPRBlocks: 4
; VGPRBlocks: 7
; NumSGPRsForWavesPerEU: 36
; NumVGPRsForWavesPerEU: 62
; AccumOffset: 64
; Occupancy: 8
; WaveLimiterHint : 1
; COMPUTE_PGM_RSRC2:SCRATCH_EN: 0
; COMPUTE_PGM_RSRC2:USER_SGPR: 6
; COMPUTE_PGM_RSRC2:TRAP_HANDLER: 0
; COMPUTE_PGM_RSRC2:TGID_X_EN: 1
; COMPUTE_PGM_RSRC2:TGID_Y_EN: 1
; COMPUTE_PGM_RSRC2:TGID_Z_EN: 1
; COMPUTE_PGM_RSRC2:TIDIG_COMP_CNT: 1
; COMPUTE_PGM_RSRC3_GFX90A:ACCUM_OFFSET: 15
; COMPUTE_PGM_RSRC3_GFX90A:TG_SPLIT: 0
	.section	.text._ZN12_GLOBAL__N_127rocblas_gemm_batched_kernelIdLi16ELi16ELi32ELi32ELi8ELi32ELi8ELi8ELi32ELc67ELc78EKdS1_dEEvlllT_PT11_llS4_llS2_PT12_llPT13_lli,"axG",@progbits,_ZN12_GLOBAL__N_127rocblas_gemm_batched_kernelIdLi16ELi16ELi32ELi32ELi8ELi32ELi8ELi8ELi32ELc67ELc78EKdS1_dEEvlllT_PT11_llS4_llS2_PT12_llPT13_lli,comdat
	.globl	_ZN12_GLOBAL__N_127rocblas_gemm_batched_kernelIdLi16ELi16ELi32ELi32ELi8ELi32ELi8ELi8ELi32ELc67ELc78EKdS1_dEEvlllT_PT11_llS4_llS2_PT12_llPT13_lli ; -- Begin function _ZN12_GLOBAL__N_127rocblas_gemm_batched_kernelIdLi16ELi16ELi32ELi32ELi8ELi32ELi8ELi8ELi32ELc67ELc78EKdS1_dEEvlllT_PT11_llS4_llS2_PT12_llPT13_lli
	.p2align	8
	.type	_ZN12_GLOBAL__N_127rocblas_gemm_batched_kernelIdLi16ELi16ELi32ELi32ELi8ELi32ELi8ELi8ELi32ELc67ELc78EKdS1_dEEvlllT_PT11_llS4_llS2_PT12_llPT13_lli,@function
_ZN12_GLOBAL__N_127rocblas_gemm_batched_kernelIdLi16ELi16ELi32ELi32ELi8ELi32ELi8ELi8ELi32ELc67ELc78EKdS1_dEEvlllT_PT11_llS4_llS2_PT12_llPT13_lli: ; @_ZN12_GLOBAL__N_127rocblas_gemm_batched_kernelIdLi16ELi16ELi32ELi32ELi8ELi32ELi8ELi8ELi32ELc67ELc78EKdS1_dEEvlllT_PT11_llS4_llS2_PT12_llPT13_lli
; %bb.0:
	s_load_dwordx16 s[12:27], s[4:5], 0x10
	s_mov_b32 s2, s7
	s_ashr_i32 s7, s6, 31
	s_ashr_i32 s3, s2, 31
	v_bfe_u32 v15, v0, 10, 10
	s_waitcnt lgkmcnt(0)
	v_cmp_lt_i64_e64 s[10:11], s[12:13], 1
	v_and_b32_e32 v14, 0x3ff, v0
	s_lshl_b64 s[0:1], s[6:7], 5
	s_lshl_b64 s[2:3], s[2:3], 5
	s_mov_b64 s[6:7], 0
	s_and_b64 vcc, exec, s[10:11]
	s_cbranch_vccnz .LBB74_3
; %bb.1:
	v_lshl_add_u32 v0, v15, 4, v14
	v_and_b32_e32 v4, 7, v14
	v_and_b32_e32 v5, 31, v0
	v_lshrrev_b32_e32 v1, 3, v0
	v_lshrrev_b32_e32 v6, 5, v0
	v_lshlrev_b32_e32 v0, 3, v5
	v_lshlrev_b32_e32 v4, 3, v4
	v_lshl_or_b32 v16, v6, 8, v0
	v_lshl_or_b32 v0, v1, 6, v4
	v_mov_b32_e32 v2, s3
	v_add_co_u32_e32 v3, vcc, s2, v1
	v_add_u32_e32 v17, 0x800, v0
	v_mov_b32_e32 v0, 0x800
	v_addc_co_u32_e32 v2, vcc, 0, v2, vcc
	v_lshl_add_u32 v19, v15, 6, v0
	v_mad_u64_u32 v[0:1], s[10:11], s24, v3, 0
	v_mul_lo_u32 v7, s25, v3
	v_mul_lo_u32 v2, s24, v2
	s_mul_i32 s9, s27, s8
	s_mul_hi_u32 s10, s26, s8
	v_add3_u32 v1, v1, v2, v7
	s_add_i32 s11, s10, s9
	s_mul_i32 s10, s26, s8
	v_lshlrev_b64 v[0:1], 3, v[0:1]
	s_lshl_b64 s[10:11], s[10:11], 3
	v_mov_b32_e32 v2, s11
	v_add_co_u32_e32 v0, vcc, s10, v0
	v_addc_co_u32_e32 v1, vcc, v1, v2, vcc
	v_add_co_u32_e32 v0, vcc, v0, v4
	v_addc_co_u32_e32 v1, vcc, 0, v1, vcc
	v_mov_b32_e32 v2, s23
	v_add_co_u32_e32 v8, vcc, s22, v0
	v_addc_co_u32_e32 v9, vcc, v2, v1, vcc
	v_mov_b32_e32 v0, s1
	v_add_co_u32_e32 v1, vcc, s0, v5
	v_addc_co_u32_e32 v0, vcc, 0, v0, vcc
	v_mul_lo_u32 v2, s19, v1
	v_mul_lo_u32 v3, s18, v0
	v_mad_u64_u32 v[0:1], s[10:11], s18, v1, 0
	s_mul_i32 s9, s21, s8
	s_mul_hi_u32 s10, s20, s8
	v_add3_u32 v1, v1, v3, v2
	s_add_i32 s11, s10, s9
	s_mul_i32 s10, s20, s8
	v_lshlrev_b64 v[0:1], 3, v[0:1]
	s_lshl_b64 s[10:11], s[10:11], 3
	v_mov_b32_e32 v2, s11
	v_add_co_u32_e32 v0, vcc, s10, v0
	v_addc_co_u32_e32 v1, vcc, v1, v2, vcc
	v_lshlrev_b32_e32 v2, 3, v6
	v_add_co_u32_e32 v0, vcc, v0, v2
	v_addc_co_u32_e32 v1, vcc, 0, v1, vcc
	v_mov_b32_e32 v2, s17
	v_add_co_u32_e32 v10, vcc, s16, v0
	v_lshlrev_b32_e32 v18, 3, v14
	v_addc_co_u32_e32 v11, vcc, v2, v1, vcc
	v_pk_mov_b32 v[0:1], 0, 0
	v_pk_mov_b32 v[12:13], s[12:13], s[12:13] op_sel:[0,1]
	v_pk_mov_b32 v[2:3], 0, 0
	v_pk_mov_b32 v[4:5], 0, 0
	v_pk_mov_b32 v[6:7], 0, 0
.LBB74_2:                               ; =>This Inner Loop Header: Depth=1
	global_load_dwordx2 v[20:21], v[10:11], off
	global_load_dwordx2 v[22:23], v[8:9], off
	v_add_co_u32_e32 v8, vcc, 64, v8
	v_addc_co_u32_e32 v9, vcc, 0, v9, vcc
	s_add_u32 s6, s6, 8
	v_add_co_u32_e32 v10, vcc, 64, v10
	v_addc_co_u32_e32 v11, vcc, 0, v11, vcc
	s_addc_u32 s7, s7, 0
	v_cmp_lt_i64_e32 vcc, s[6:7], v[12:13]
	s_and_b64 vcc, exec, vcc
	s_waitcnt vmcnt(1)
	ds_write_b64 v16, v[20:21]
	s_waitcnt vmcnt(0)
	ds_write_b64 v17, v[22:23]
	s_waitcnt lgkmcnt(0)
	s_barrier
	ds_read_b128 v[20:23], v19
	ds_read_b128 v[24:27], v19 offset:16
	ds_read_b128 v[28:31], v19 offset:32
	;; [unrolled: 1-line block ×3, first 2 shown]
	ds_read2_b64 v[36:39], v18 offset1:16
	ds_read2_b64 v[40:43], v18 offset0:32 offset1:48
	ds_read2_b64 v[44:47], v18 offset0:64 offset1:80
	ds_read_b128 v[48:51], v19 offset:1024
	ds_read_b128 v[52:55], v19 offset:1040
	ds_read2_b64 v[56:59], v18 offset0:96 offset1:112
	s_waitcnt lgkmcnt(5)
	v_fmac_f64_e32 v[6:7], v[36:37], v[20:21]
	v_fmac_f64_e32 v[4:5], v[38:39], v[20:21]
	s_waitcnt lgkmcnt(2)
	v_fmac_f64_e32 v[2:3], v[36:37], v[48:49]
	v_fmac_f64_e32 v[0:1], v[38:39], v[48:49]
	ds_read2_b64 v[36:39], v18 offset0:128 offset1:144
	v_fmac_f64_e32 v[6:7], v[40:41], v[22:23]
	v_fmac_f64_e32 v[4:5], v[42:43], v[22:23]
	ds_read2_b64 v[20:23], v18 offset0:160 offset1:176
	;; [unrolled: 3-line block ×3, first 2 shown]
	ds_read_b128 v[48:51], v19 offset:1056
	v_fmac_f64_e32 v[6:7], v[44:45], v[24:25]
	v_fmac_f64_e32 v[4:5], v[46:47], v[24:25]
	s_waitcnt lgkmcnt(5)
	v_fmac_f64_e32 v[2:3], v[44:45], v[52:53]
	v_fmac_f64_e32 v[0:1], v[46:47], v[52:53]
	ds_read_b128 v[44:47], v19 offset:1072
	s_waitcnt lgkmcnt(5)
	v_fmac_f64_e32 v[6:7], v[56:57], v[26:27]
	v_fmac_f64_e32 v[4:5], v[58:59], v[26:27]
	ds_read2_b64 v[24:27], v18 offset0:224 offset1:240
	v_fmac_f64_e32 v[2:3], v[56:57], v[54:55]
	v_fmac_f64_e32 v[0:1], v[58:59], v[54:55]
	s_waitcnt lgkmcnt(5)
	v_fmac_f64_e32 v[6:7], v[36:37], v[28:29]
	v_fmac_f64_e32 v[4:5], v[38:39], v[28:29]
	s_waitcnt lgkmcnt(2)
	v_fmac_f64_e32 v[2:3], v[36:37], v[48:49]
	v_fmac_f64_e32 v[0:1], v[38:39], v[48:49]
	;; [unrolled: 1-line block ×8, first 2 shown]
	s_waitcnt lgkmcnt(1)
	v_fmac_f64_e32 v[2:3], v[40:41], v[44:45]
	v_fmac_f64_e32 v[0:1], v[42:43], v[44:45]
	s_waitcnt lgkmcnt(0)
	v_fmac_f64_e32 v[6:7], v[24:25], v[34:35]
	v_fmac_f64_e32 v[4:5], v[26:27], v[34:35]
	v_fmac_f64_e32 v[2:3], v[24:25], v[46:47]
	v_fmac_f64_e32 v[0:1], v[26:27], v[46:47]
	s_barrier
	s_cbranch_vccnz .LBB74_2
	s_branch .LBB74_4
.LBB74_3:
	v_pk_mov_b32 v[6:7], 0, 0
	v_pk_mov_b32 v[4:5], 0, 0
	;; [unrolled: 1-line block ×4, first 2 shown]
.LBB74_4:
	s_load_dwordx8 s[24:31], s[4:5], 0x70
	s_load_dwordx8 s[16:23], s[4:5], 0x50
	v_mov_b32_e32 v8, s3
	v_add_co_u32_e32 v10, vcc, s2, v15
	s_waitcnt lgkmcnt(0)
	s_mul_i32 s3, s8, s29
	s_mul_hi_u32 s5, s8, s28
	s_mul_i32 s4, s8, s28
	s_add_i32 s5, s5, s3
	v_addc_co_u32_e32 v13, vcc, 0, v8, vcc
	s_lshl_b64 s[4:5], s[4:5], 3
	v_mov_b32_e32 v9, s1
	v_add_co_u32_e32 v8, vcc, s0, v14
	s_add_u32 s4, s24, s4
	v_cmp_neq_f64_e64 s[6:7], s[16:17], 0
	v_addc_co_u32_e32 v9, vcc, 0, v9, vcc
	s_addc_u32 s5, s25, s5
	s_mov_b64 s[2:3], 0
	s_and_b64 vcc, exec, s[6:7]
	v_mul_lo_u32 v11, v13, s26
	v_mul_lo_u32 v12, v10, s27
	v_lshlrev_b64 v[8:9], 3, v[8:9]
	s_cbranch_vccnz .LBB74_8
; %bb.5:
	v_mad_u64_u32 v[14:15], s[0:1], v10, s26, 0
	v_add3_u32 v15, v15, v12, v11
	v_lshlrev_b64 v[14:15], 3, v[14:15]
	v_mov_b32_e32 v16, s5
	v_add_co_u32_e32 v17, vcc, s4, v14
	v_addc_co_u32_e32 v18, vcc, v16, v15, vcc
	v_add_co_u32_e32 v16, vcc, v17, v8
	v_mul_f64 v[14:15], v[6:7], s[14:15]
	v_addc_co_u32_e32 v17, vcc, v18, v9, vcc
	global_store_dwordx2 v[16:17], v[14:15], off
	v_mul_f64 v[14:15], v[4:5], s[14:15]
	s_lshl_b64 s[0:1], s[26:27], 7
	global_store_dwordx2 v[16:17], v[14:15], off offset:128
	v_mov_b32_e32 v18, s1
	v_add_co_u32_e32 v16, vcc, s0, v16
	v_mul_f64 v[14:15], v[2:3], s[14:15]
	v_addc_co_u32_e32 v17, vcc, v17, v18, vcc
	global_store_dwordx2 v[16:17], v[14:15], off
	v_mul_f64 v[14:15], v[0:1], s[14:15]
	global_store_dwordx2 v[16:17], v[14:15], off offset:128
	s_andn2_b64 vcc, exec, s[2:3]
	s_cbranch_vccnz .LBB74_7
.LBB74_6:
	s_mul_i32 s0, s8, s23
	s_mul_hi_u32 s1, s8, s22
	s_add_i32 s1, s1, s0
	s_mul_i32 s0, s8, s22
	s_lshl_b64 s[0:1], s[0:1], 3
	s_add_u32 s2, s18, s0
	s_addc_u32 s3, s19, s1
	v_mul_lo_u32 v13, v13, s20
	v_mul_lo_u32 v16, v10, s21
	v_mad_u64_u32 v[14:15], s[0:1], v10, s20, 0
	v_add3_u32 v15, v15, v16, v13
	v_lshlrev_b64 v[14:15], 3, v[14:15]
	v_mov_b32_e32 v13, s3
	v_add_co_u32_e32 v14, vcc, s2, v14
	v_addc_co_u32_e32 v13, vcc, v13, v15, vcc
	v_add_co_u32_e32 v14, vcc, v14, v8
	v_addc_co_u32_e32 v15, vcc, v13, v9, vcc
	global_load_dwordx2 v[16:17], v[14:15], off
	v_mad_u64_u32 v[18:19], s[0:1], v10, s26, 0
	v_add3_u32 v19, v19, v12, v11
	v_lshlrev_b64 v[10:11], 3, v[18:19]
	v_mov_b32_e32 v13, s5
	v_add_co_u32_e32 v10, vcc, s4, v10
	v_addc_co_u32_e32 v11, vcc, v13, v11, vcc
	v_add_co_u32_e32 v8, vcc, v10, v8
	v_addc_co_u32_e32 v9, vcc, v11, v9, vcc
	s_lshl_b64 s[0:1], s[20:21], 7
	s_waitcnt vmcnt(0)
	v_mul_f64 v[10:11], v[16:17], s[16:17]
	v_fmac_f64_e32 v[10:11], s[14:15], v[6:7]
	global_store_dwordx2 v[8:9], v[10:11], off
	global_load_dwordx2 v[6:7], v[14:15], off offset:128
	v_mov_b32_e32 v11, s1
	v_add_co_u32_e32 v10, vcc, s0, v14
	v_addc_co_u32_e32 v11, vcc, v15, v11, vcc
	s_lshl_b64 s[0:1], s[26:27], 7
	s_waitcnt vmcnt(0)
	v_mul_f64 v[6:7], v[6:7], s[16:17]
	v_fmac_f64_e32 v[6:7], s[14:15], v[4:5]
	global_store_dwordx2 v[8:9], v[6:7], off offset:128
	global_load_dwordx2 v[4:5], v[10:11], off
	v_mov_b32_e32 v6, s1
	s_waitcnt vmcnt(0)
	v_mul_f64 v[4:5], v[4:5], s[16:17]
	v_fmac_f64_e32 v[4:5], s[14:15], v[2:3]
	v_add_co_u32_e32 v2, vcc, s0, v8
	v_addc_co_u32_e32 v3, vcc, v9, v6, vcc
	global_store_dwordx2 v[2:3], v[4:5], off
	global_load_dwordx2 v[4:5], v[10:11], off offset:128
	s_waitcnt vmcnt(0)
	v_mul_f64 v[4:5], v[4:5], s[16:17]
	v_fmac_f64_e32 v[4:5], s[14:15], v[0:1]
	global_store_dwordx2 v[2:3], v[4:5], off offset:128
.LBB74_7:
	s_endpgm
.LBB74_8:
	s_branch .LBB74_6
	.section	.rodata,"a",@progbits
	.p2align	6, 0x0
	.amdhsa_kernel _ZN12_GLOBAL__N_127rocblas_gemm_batched_kernelIdLi16ELi16ELi32ELi32ELi8ELi32ELi8ELi8ELi32ELc67ELc78EKdS1_dEEvlllT_PT11_llS4_llS2_PT12_llPT13_lli
		.amdhsa_group_segment_fixed_size 4096
		.amdhsa_private_segment_fixed_size 0
		.amdhsa_kernarg_size 140
		.amdhsa_user_sgpr_count 6
		.amdhsa_user_sgpr_private_segment_buffer 1
		.amdhsa_user_sgpr_dispatch_ptr 0
		.amdhsa_user_sgpr_queue_ptr 0
		.amdhsa_user_sgpr_kernarg_segment_ptr 1
		.amdhsa_user_sgpr_dispatch_id 0
		.amdhsa_user_sgpr_flat_scratch_init 0
		.amdhsa_user_sgpr_kernarg_preload_length 0
		.amdhsa_user_sgpr_kernarg_preload_offset 0
		.amdhsa_user_sgpr_private_segment_size 0
		.amdhsa_uses_dynamic_stack 0
		.amdhsa_system_sgpr_private_segment_wavefront_offset 0
		.amdhsa_system_sgpr_workgroup_id_x 1
		.amdhsa_system_sgpr_workgroup_id_y 1
		.amdhsa_system_sgpr_workgroup_id_z 1
		.amdhsa_system_sgpr_workgroup_info 0
		.amdhsa_system_vgpr_workitem_id 1
		.amdhsa_next_free_vgpr 60
		.amdhsa_next_free_sgpr 32
		.amdhsa_accum_offset 60
		.amdhsa_reserve_vcc 1
		.amdhsa_reserve_flat_scratch 0
		.amdhsa_float_round_mode_32 0
		.amdhsa_float_round_mode_16_64 0
		.amdhsa_float_denorm_mode_32 3
		.amdhsa_float_denorm_mode_16_64 3
		.amdhsa_dx10_clamp 1
		.amdhsa_ieee_mode 1
		.amdhsa_fp16_overflow 0
		.amdhsa_tg_split 0
		.amdhsa_exception_fp_ieee_invalid_op 0
		.amdhsa_exception_fp_denorm_src 0
		.amdhsa_exception_fp_ieee_div_zero 0
		.amdhsa_exception_fp_ieee_overflow 0
		.amdhsa_exception_fp_ieee_underflow 0
		.amdhsa_exception_fp_ieee_inexact 0
		.amdhsa_exception_int_div_zero 0
	.end_amdhsa_kernel
	.section	.text._ZN12_GLOBAL__N_127rocblas_gemm_batched_kernelIdLi16ELi16ELi32ELi32ELi8ELi32ELi8ELi8ELi32ELc67ELc78EKdS1_dEEvlllT_PT11_llS4_llS2_PT12_llPT13_lli,"axG",@progbits,_ZN12_GLOBAL__N_127rocblas_gemm_batched_kernelIdLi16ELi16ELi32ELi32ELi8ELi32ELi8ELi8ELi32ELc67ELc78EKdS1_dEEvlllT_PT11_llS4_llS2_PT12_llPT13_lli,comdat
.Lfunc_end74:
	.size	_ZN12_GLOBAL__N_127rocblas_gemm_batched_kernelIdLi16ELi16ELi32ELi32ELi8ELi32ELi8ELi8ELi32ELc67ELc78EKdS1_dEEvlllT_PT11_llS4_llS2_PT12_llPT13_lli, .Lfunc_end74-_ZN12_GLOBAL__N_127rocblas_gemm_batched_kernelIdLi16ELi16ELi32ELi32ELi8ELi32ELi8ELi8ELi32ELc67ELc78EKdS1_dEEvlllT_PT11_llS4_llS2_PT12_llPT13_lli
                                        ; -- End function
	.section	.AMDGPU.csdata,"",@progbits
; Kernel info:
; codeLenInByte = 1356
; NumSgprs: 36
; NumVgprs: 60
; NumAgprs: 0
; TotalNumVgprs: 60
; ScratchSize: 0
; MemoryBound: 0
; FloatMode: 240
; IeeeMode: 1
; LDSByteSize: 4096 bytes/workgroup (compile time only)
; SGPRBlocks: 4
; VGPRBlocks: 7
; NumSGPRsForWavesPerEU: 36
; NumVGPRsForWavesPerEU: 60
; AccumOffset: 60
; Occupancy: 8
; WaveLimiterHint : 1
; COMPUTE_PGM_RSRC2:SCRATCH_EN: 0
; COMPUTE_PGM_RSRC2:USER_SGPR: 6
; COMPUTE_PGM_RSRC2:TRAP_HANDLER: 0
; COMPUTE_PGM_RSRC2:TGID_X_EN: 1
; COMPUTE_PGM_RSRC2:TGID_Y_EN: 1
; COMPUTE_PGM_RSRC2:TGID_Z_EN: 1
; COMPUTE_PGM_RSRC2:TIDIG_COMP_CNT: 1
; COMPUTE_PGM_RSRC3_GFX90A:ACCUM_OFFSET: 14
; COMPUTE_PGM_RSRC3_GFX90A:TG_SPLIT: 0
	.section	.text._ZN12_GLOBAL__N_127rocblas_gemm_batched_kernelIdLi16ELi16ELi32ELi32ELi8ELi32ELi8ELi8ELi32ELc67ELc84EKdS1_dEEvlllT_PT11_llS4_llS2_PT12_llPT13_lli,"axG",@progbits,_ZN12_GLOBAL__N_127rocblas_gemm_batched_kernelIdLi16ELi16ELi32ELi32ELi8ELi32ELi8ELi8ELi32ELc67ELc84EKdS1_dEEvlllT_PT11_llS4_llS2_PT12_llPT13_lli,comdat
	.globl	_ZN12_GLOBAL__N_127rocblas_gemm_batched_kernelIdLi16ELi16ELi32ELi32ELi8ELi32ELi8ELi8ELi32ELc67ELc84EKdS1_dEEvlllT_PT11_llS4_llS2_PT12_llPT13_lli ; -- Begin function _ZN12_GLOBAL__N_127rocblas_gemm_batched_kernelIdLi16ELi16ELi32ELi32ELi8ELi32ELi8ELi8ELi32ELc67ELc84EKdS1_dEEvlllT_PT11_llS4_llS2_PT12_llPT13_lli
	.p2align	8
	.type	_ZN12_GLOBAL__N_127rocblas_gemm_batched_kernelIdLi16ELi16ELi32ELi32ELi8ELi32ELi8ELi8ELi32ELc67ELc84EKdS1_dEEvlllT_PT11_llS4_llS2_PT12_llPT13_lli,@function
_ZN12_GLOBAL__N_127rocblas_gemm_batched_kernelIdLi16ELi16ELi32ELi32ELi8ELi32ELi8ELi8ELi32ELc67ELc84EKdS1_dEEvlllT_PT11_llS4_llS2_PT12_llPT13_lli: ; @_ZN12_GLOBAL__N_127rocblas_gemm_batched_kernelIdLi16ELi16ELi32ELi32ELi8ELi32ELi8ELi8ELi32ELc67ELc84EKdS1_dEEvlllT_PT11_llS4_llS2_PT12_llPT13_lli
; %bb.0:
	s_load_dwordx16 s[12:27], s[4:5], 0x10
	s_mov_b32 s2, s7
	s_ashr_i32 s7, s6, 31
	s_ashr_i32 s3, s2, 31
	v_bfe_u32 v15, v0, 10, 10
	s_waitcnt lgkmcnt(0)
	v_cmp_lt_i64_e64 s[10:11], s[12:13], 1
	v_and_b32_e32 v14, 0x3ff, v0
	s_lshl_b64 s[0:1], s[6:7], 5
	s_lshl_b64 s[2:3], s[2:3], 5
	s_mov_b64 s[6:7], 0
	s_and_b64 vcc, exec, s[10:11]
	s_cbranch_vccnz .LBB75_3
; %bb.1:
	v_lshl_add_u32 v2, v15, 4, v14
	v_and_b32_e32 v4, 31, v2
	v_lshrrev_b32_e32 v0, 3, v2
	v_and_b32_e32 v3, 7, v14
	v_lshrrev_b32_e32 v5, 5, v2
	v_lshlrev_b32_e32 v2, 3, v4
	v_lshl_or_b32 v16, v5, 8, v2
	v_lshlrev_b32_e32 v2, 3, v3
	v_mov_b32_e32 v1, 0
	v_lshl_or_b32 v2, v0, 6, v2
	s_mul_i32 s9, s27, s8
	s_mul_hi_u32 s10, s26, s8
	v_add_u32_e32 v17, 0x800, v2
	v_mov_b32_e32 v2, 0x800
	s_add_i32 s11, s10, s9
	s_mul_i32 s10, s26, s8
	v_mad_u64_u32 v[0:1], s[26:27], v3, s24, v[0:1]
	v_lshl_add_u32 v19, v15, 6, v2
	v_mov_b32_e32 v2, v1
	v_mad_u64_u32 v[2:3], s[26:27], v3, s25, v[2:3]
	s_lshl_b64 s[10:11], s[10:11], 3
	v_mov_b32_e32 v1, v2
	v_mov_b32_e32 v2, s3
	v_add_co_u32_e32 v0, vcc, s2, v0
	v_addc_co_u32_e32 v1, vcc, v1, v2, vcc
	s_add_u32 s9, s22, s10
	v_lshlrev_b64 v[0:1], 3, v[0:1]
	s_addc_u32 s10, s23, s11
	v_mov_b32_e32 v2, s10
	v_add_co_u32_e32 v8, vcc, s9, v0
	v_addc_co_u32_e32 v9, vcc, v2, v1, vcc
	v_mov_b32_e32 v0, s1
	v_add_co_u32_e32 v1, vcc, s0, v4
	v_addc_co_u32_e32 v0, vcc, 0, v0, vcc
	v_mul_lo_u32 v2, s19, v1
	v_mul_lo_u32 v3, s18, v0
	v_mad_u64_u32 v[0:1], s[18:19], s18, v1, 0
	s_mul_i32 s9, s21, s8
	s_mul_hi_u32 s18, s20, s8
	v_add3_u32 v1, v1, v3, v2
	s_add_i32 s19, s18, s9
	s_mul_i32 s18, s20, s8
	v_lshlrev_b64 v[0:1], 3, v[0:1]
	s_lshl_b64 s[18:19], s[18:19], 3
	v_mov_b32_e32 v2, s19
	v_add_co_u32_e32 v0, vcc, s18, v0
	v_addc_co_u32_e32 v1, vcc, v1, v2, vcc
	v_lshlrev_b32_e32 v2, 3, v5
	v_add_co_u32_e32 v0, vcc, v0, v2
	v_addc_co_u32_e32 v1, vcc, 0, v1, vcc
	s_lshl_b64 s[10:11], s[24:25], 6
	v_mov_b32_e32 v2, s17
	v_add_co_u32_e32 v10, vcc, s16, v0
	v_lshlrev_b32_e32 v18, 3, v14
	v_addc_co_u32_e32 v11, vcc, v2, v1, vcc
	v_pk_mov_b32 v[0:1], 0, 0
	v_mov_b32_e32 v20, s11
	v_pk_mov_b32 v[12:13], s[12:13], s[12:13] op_sel:[0,1]
	v_pk_mov_b32 v[2:3], 0, 0
	v_pk_mov_b32 v[4:5], 0, 0
	;; [unrolled: 1-line block ×3, first 2 shown]
.LBB75_2:                               ; =>This Inner Loop Header: Depth=1
	global_load_dwordx2 v[22:23], v[10:11], off
	global_load_dwordx2 v[24:25], v[8:9], off
	v_add_co_u32_e32 v8, vcc, s10, v8
	v_addc_co_u32_e32 v9, vcc, v9, v20, vcc
	s_add_u32 s6, s6, 8
	v_add_co_u32_e32 v10, vcc, 64, v10
	v_addc_co_u32_e32 v11, vcc, 0, v11, vcc
	s_addc_u32 s7, s7, 0
	v_cmp_lt_i64_e32 vcc, s[6:7], v[12:13]
	s_and_b64 vcc, exec, vcc
	s_waitcnt vmcnt(1)
	ds_write_b64 v16, v[22:23]
	s_waitcnt vmcnt(0)
	ds_write_b64 v17, v[24:25]
	s_waitcnt lgkmcnt(0)
	s_barrier
	ds_read_b128 v[22:25], v19
	ds_read_b128 v[26:29], v19 offset:16
	ds_read_b128 v[30:33], v19 offset:32
	;; [unrolled: 1-line block ×3, first 2 shown]
	ds_read2_b64 v[38:41], v18 offset1:16
	ds_read2_b64 v[42:45], v18 offset0:32 offset1:48
	ds_read2_b64 v[46:49], v18 offset0:64 offset1:80
	ds_read_b128 v[50:53], v19 offset:1024
	ds_read_b128 v[54:57], v19 offset:1040
	ds_read2_b64 v[58:61], v18 offset0:96 offset1:112
	s_waitcnt lgkmcnt(5)
	v_fmac_f64_e32 v[6:7], v[38:39], v[22:23]
	v_fmac_f64_e32 v[4:5], v[40:41], v[22:23]
	s_waitcnt lgkmcnt(2)
	v_fmac_f64_e32 v[2:3], v[38:39], v[50:51]
	v_fmac_f64_e32 v[0:1], v[40:41], v[50:51]
	ds_read2_b64 v[38:41], v18 offset0:128 offset1:144
	v_fmac_f64_e32 v[6:7], v[42:43], v[24:25]
	v_fmac_f64_e32 v[4:5], v[44:45], v[24:25]
	ds_read2_b64 v[22:25], v18 offset0:160 offset1:176
	;; [unrolled: 3-line block ×3, first 2 shown]
	ds_read_b128 v[50:53], v19 offset:1056
	v_fmac_f64_e32 v[6:7], v[46:47], v[26:27]
	v_fmac_f64_e32 v[4:5], v[48:49], v[26:27]
	s_waitcnt lgkmcnt(5)
	v_fmac_f64_e32 v[2:3], v[46:47], v[54:55]
	v_fmac_f64_e32 v[0:1], v[48:49], v[54:55]
	ds_read_b128 v[46:49], v19 offset:1072
	s_waitcnt lgkmcnt(5)
	v_fmac_f64_e32 v[6:7], v[58:59], v[28:29]
	v_fmac_f64_e32 v[4:5], v[60:61], v[28:29]
	ds_read2_b64 v[26:29], v18 offset0:224 offset1:240
	v_fmac_f64_e32 v[2:3], v[58:59], v[56:57]
	v_fmac_f64_e32 v[0:1], v[60:61], v[56:57]
	s_waitcnt lgkmcnt(5)
	v_fmac_f64_e32 v[6:7], v[38:39], v[30:31]
	v_fmac_f64_e32 v[4:5], v[40:41], v[30:31]
	s_waitcnt lgkmcnt(2)
	v_fmac_f64_e32 v[2:3], v[38:39], v[50:51]
	v_fmac_f64_e32 v[0:1], v[40:41], v[50:51]
	;; [unrolled: 1-line block ×8, first 2 shown]
	s_waitcnt lgkmcnt(1)
	v_fmac_f64_e32 v[2:3], v[42:43], v[46:47]
	v_fmac_f64_e32 v[0:1], v[44:45], v[46:47]
	s_waitcnt lgkmcnt(0)
	v_fmac_f64_e32 v[6:7], v[26:27], v[36:37]
	v_fmac_f64_e32 v[4:5], v[28:29], v[36:37]
	;; [unrolled: 1-line block ×4, first 2 shown]
	s_barrier
	s_cbranch_vccnz .LBB75_2
	s_branch .LBB75_4
.LBB75_3:
	v_pk_mov_b32 v[6:7], 0, 0
	v_pk_mov_b32 v[4:5], 0, 0
	;; [unrolled: 1-line block ×4, first 2 shown]
.LBB75_4:
	s_load_dwordx8 s[24:31], s[4:5], 0x70
	s_load_dwordx8 s[16:23], s[4:5], 0x50
	v_mov_b32_e32 v8, s3
	v_add_co_u32_e32 v10, vcc, s2, v15
	s_waitcnt lgkmcnt(0)
	s_mul_i32 s3, s8, s29
	s_mul_hi_u32 s5, s8, s28
	s_mul_i32 s4, s8, s28
	s_add_i32 s5, s5, s3
	v_addc_co_u32_e32 v13, vcc, 0, v8, vcc
	s_lshl_b64 s[4:5], s[4:5], 3
	v_mov_b32_e32 v9, s1
	v_add_co_u32_e32 v8, vcc, s0, v14
	s_add_u32 s4, s24, s4
	v_cmp_neq_f64_e64 s[6:7], s[16:17], 0
	v_addc_co_u32_e32 v9, vcc, 0, v9, vcc
	s_addc_u32 s5, s25, s5
	s_mov_b64 s[2:3], 0
	s_and_b64 vcc, exec, s[6:7]
	v_mul_lo_u32 v11, v13, s26
	v_mul_lo_u32 v12, v10, s27
	v_lshlrev_b64 v[8:9], 3, v[8:9]
	s_cbranch_vccnz .LBB75_8
; %bb.5:
	v_mad_u64_u32 v[14:15], s[0:1], v10, s26, 0
	v_add3_u32 v15, v15, v12, v11
	v_lshlrev_b64 v[14:15], 3, v[14:15]
	v_mov_b32_e32 v16, s5
	v_add_co_u32_e32 v17, vcc, s4, v14
	v_addc_co_u32_e32 v18, vcc, v16, v15, vcc
	v_add_co_u32_e32 v16, vcc, v17, v8
	v_mul_f64 v[14:15], v[6:7], s[14:15]
	v_addc_co_u32_e32 v17, vcc, v18, v9, vcc
	global_store_dwordx2 v[16:17], v[14:15], off
	v_mul_f64 v[14:15], v[4:5], s[14:15]
	s_lshl_b64 s[0:1], s[26:27], 7
	global_store_dwordx2 v[16:17], v[14:15], off offset:128
	v_mov_b32_e32 v18, s1
	v_add_co_u32_e32 v16, vcc, s0, v16
	v_mul_f64 v[14:15], v[2:3], s[14:15]
	v_addc_co_u32_e32 v17, vcc, v17, v18, vcc
	global_store_dwordx2 v[16:17], v[14:15], off
	v_mul_f64 v[14:15], v[0:1], s[14:15]
	global_store_dwordx2 v[16:17], v[14:15], off offset:128
	s_andn2_b64 vcc, exec, s[2:3]
	s_cbranch_vccnz .LBB75_7
.LBB75_6:
	s_mul_i32 s0, s8, s23
	s_mul_hi_u32 s1, s8, s22
	s_add_i32 s1, s1, s0
	s_mul_i32 s0, s8, s22
	s_lshl_b64 s[0:1], s[0:1], 3
	s_add_u32 s2, s18, s0
	s_addc_u32 s3, s19, s1
	v_mul_lo_u32 v13, v13, s20
	v_mul_lo_u32 v16, v10, s21
	v_mad_u64_u32 v[14:15], s[0:1], v10, s20, 0
	v_add3_u32 v15, v15, v16, v13
	v_lshlrev_b64 v[14:15], 3, v[14:15]
	v_mov_b32_e32 v13, s3
	v_add_co_u32_e32 v14, vcc, s2, v14
	v_addc_co_u32_e32 v13, vcc, v13, v15, vcc
	v_add_co_u32_e32 v14, vcc, v14, v8
	v_addc_co_u32_e32 v15, vcc, v13, v9, vcc
	global_load_dwordx2 v[16:17], v[14:15], off
	v_mad_u64_u32 v[18:19], s[0:1], v10, s26, 0
	v_add3_u32 v19, v19, v12, v11
	v_lshlrev_b64 v[10:11], 3, v[18:19]
	v_mov_b32_e32 v13, s5
	v_add_co_u32_e32 v10, vcc, s4, v10
	v_addc_co_u32_e32 v11, vcc, v13, v11, vcc
	v_add_co_u32_e32 v8, vcc, v10, v8
	v_addc_co_u32_e32 v9, vcc, v11, v9, vcc
	s_lshl_b64 s[0:1], s[20:21], 7
	s_waitcnt vmcnt(0)
	v_mul_f64 v[10:11], v[16:17], s[16:17]
	v_fmac_f64_e32 v[10:11], s[14:15], v[6:7]
	global_store_dwordx2 v[8:9], v[10:11], off
	global_load_dwordx2 v[6:7], v[14:15], off offset:128
	v_mov_b32_e32 v11, s1
	v_add_co_u32_e32 v10, vcc, s0, v14
	v_addc_co_u32_e32 v11, vcc, v15, v11, vcc
	s_lshl_b64 s[0:1], s[26:27], 7
	s_waitcnt vmcnt(0)
	v_mul_f64 v[6:7], v[6:7], s[16:17]
	v_fmac_f64_e32 v[6:7], s[14:15], v[4:5]
	global_store_dwordx2 v[8:9], v[6:7], off offset:128
	global_load_dwordx2 v[4:5], v[10:11], off
	v_mov_b32_e32 v6, s1
	s_waitcnt vmcnt(0)
	v_mul_f64 v[4:5], v[4:5], s[16:17]
	v_fmac_f64_e32 v[4:5], s[14:15], v[2:3]
	v_add_co_u32_e32 v2, vcc, s0, v8
	v_addc_co_u32_e32 v3, vcc, v9, v6, vcc
	global_store_dwordx2 v[2:3], v[4:5], off
	global_load_dwordx2 v[4:5], v[10:11], off offset:128
	s_waitcnt vmcnt(0)
	v_mul_f64 v[4:5], v[4:5], s[16:17]
	v_fmac_f64_e32 v[4:5], s[14:15], v[0:1]
	global_store_dwordx2 v[2:3], v[4:5], off offset:128
.LBB75_7:
	s_endpgm
.LBB75_8:
	s_branch .LBB75_6
	.section	.rodata,"a",@progbits
	.p2align	6, 0x0
	.amdhsa_kernel _ZN12_GLOBAL__N_127rocblas_gemm_batched_kernelIdLi16ELi16ELi32ELi32ELi8ELi32ELi8ELi8ELi32ELc67ELc84EKdS1_dEEvlllT_PT11_llS4_llS2_PT12_llPT13_lli
		.amdhsa_group_segment_fixed_size 4096
		.amdhsa_private_segment_fixed_size 0
		.amdhsa_kernarg_size 140
		.amdhsa_user_sgpr_count 6
		.amdhsa_user_sgpr_private_segment_buffer 1
		.amdhsa_user_sgpr_dispatch_ptr 0
		.amdhsa_user_sgpr_queue_ptr 0
		.amdhsa_user_sgpr_kernarg_segment_ptr 1
		.amdhsa_user_sgpr_dispatch_id 0
		.amdhsa_user_sgpr_flat_scratch_init 0
		.amdhsa_user_sgpr_kernarg_preload_length 0
		.amdhsa_user_sgpr_kernarg_preload_offset 0
		.amdhsa_user_sgpr_private_segment_size 0
		.amdhsa_uses_dynamic_stack 0
		.amdhsa_system_sgpr_private_segment_wavefront_offset 0
		.amdhsa_system_sgpr_workgroup_id_x 1
		.amdhsa_system_sgpr_workgroup_id_y 1
		.amdhsa_system_sgpr_workgroup_id_z 1
		.amdhsa_system_sgpr_workgroup_info 0
		.amdhsa_system_vgpr_workitem_id 1
		.amdhsa_next_free_vgpr 62
		.amdhsa_next_free_sgpr 32
		.amdhsa_accum_offset 64
		.amdhsa_reserve_vcc 1
		.amdhsa_reserve_flat_scratch 0
		.amdhsa_float_round_mode_32 0
		.amdhsa_float_round_mode_16_64 0
		.amdhsa_float_denorm_mode_32 3
		.amdhsa_float_denorm_mode_16_64 3
		.amdhsa_dx10_clamp 1
		.amdhsa_ieee_mode 1
		.amdhsa_fp16_overflow 0
		.amdhsa_tg_split 0
		.amdhsa_exception_fp_ieee_invalid_op 0
		.amdhsa_exception_fp_denorm_src 0
		.amdhsa_exception_fp_ieee_div_zero 0
		.amdhsa_exception_fp_ieee_overflow 0
		.amdhsa_exception_fp_ieee_underflow 0
		.amdhsa_exception_fp_ieee_inexact 0
		.amdhsa_exception_int_div_zero 0
	.end_amdhsa_kernel
	.section	.text._ZN12_GLOBAL__N_127rocblas_gemm_batched_kernelIdLi16ELi16ELi32ELi32ELi8ELi32ELi8ELi8ELi32ELc67ELc84EKdS1_dEEvlllT_PT11_llS4_llS2_PT12_llPT13_lli,"axG",@progbits,_ZN12_GLOBAL__N_127rocblas_gemm_batched_kernelIdLi16ELi16ELi32ELi32ELi8ELi32ELi8ELi8ELi32ELc67ELc84EKdS1_dEEvlllT_PT11_llS4_llS2_PT12_llPT13_lli,comdat
.Lfunc_end75:
	.size	_ZN12_GLOBAL__N_127rocblas_gemm_batched_kernelIdLi16ELi16ELi32ELi32ELi8ELi32ELi8ELi8ELi32ELc67ELc84EKdS1_dEEvlllT_PT11_llS4_llS2_PT12_llPT13_lli, .Lfunc_end75-_ZN12_GLOBAL__N_127rocblas_gemm_batched_kernelIdLi16ELi16ELi32ELi32ELi8ELi32ELi8ELi8ELi32ELc67ELc84EKdS1_dEEvlllT_PT11_llS4_llS2_PT12_llPT13_lli
                                        ; -- End function
	.section	.AMDGPU.csdata,"",@progbits
; Kernel info:
; codeLenInByte = 1348
; NumSgprs: 36
; NumVgprs: 62
; NumAgprs: 0
; TotalNumVgprs: 62
; ScratchSize: 0
; MemoryBound: 0
; FloatMode: 240
; IeeeMode: 1
; LDSByteSize: 4096 bytes/workgroup (compile time only)
; SGPRBlocks: 4
; VGPRBlocks: 7
; NumSGPRsForWavesPerEU: 36
; NumVGPRsForWavesPerEU: 62
; AccumOffset: 64
; Occupancy: 8
; WaveLimiterHint : 1
; COMPUTE_PGM_RSRC2:SCRATCH_EN: 0
; COMPUTE_PGM_RSRC2:USER_SGPR: 6
; COMPUTE_PGM_RSRC2:TRAP_HANDLER: 0
; COMPUTE_PGM_RSRC2:TGID_X_EN: 1
; COMPUTE_PGM_RSRC2:TGID_Y_EN: 1
; COMPUTE_PGM_RSRC2:TGID_Z_EN: 1
; COMPUTE_PGM_RSRC2:TIDIG_COMP_CNT: 1
; COMPUTE_PGM_RSRC3_GFX90A:ACCUM_OFFSET: 15
; COMPUTE_PGM_RSRC3_GFX90A:TG_SPLIT: 0
	.section	.text._ZN12_GLOBAL__N_127rocblas_gemm_batched_kernelIdLi16ELi16ELi32ELi32ELi8ELi32ELi8ELi8ELi32ELc78ELc67EKdS1_dEEvlllT_PT11_llS4_llS2_PT12_llPT13_lli,"axG",@progbits,_ZN12_GLOBAL__N_127rocblas_gemm_batched_kernelIdLi16ELi16ELi32ELi32ELi8ELi32ELi8ELi8ELi32ELc78ELc67EKdS1_dEEvlllT_PT11_llS4_llS2_PT12_llPT13_lli,comdat
	.globl	_ZN12_GLOBAL__N_127rocblas_gemm_batched_kernelIdLi16ELi16ELi32ELi32ELi8ELi32ELi8ELi8ELi32ELc78ELc67EKdS1_dEEvlllT_PT11_llS4_llS2_PT12_llPT13_lli ; -- Begin function _ZN12_GLOBAL__N_127rocblas_gemm_batched_kernelIdLi16ELi16ELi32ELi32ELi8ELi32ELi8ELi8ELi32ELc78ELc67EKdS1_dEEvlllT_PT11_llS4_llS2_PT12_llPT13_lli
	.p2align	8
	.type	_ZN12_GLOBAL__N_127rocblas_gemm_batched_kernelIdLi16ELi16ELi32ELi32ELi8ELi32ELi8ELi8ELi32ELc78ELc67EKdS1_dEEvlllT_PT11_llS4_llS2_PT12_llPT13_lli,@function
_ZN12_GLOBAL__N_127rocblas_gemm_batched_kernelIdLi16ELi16ELi32ELi32ELi8ELi32ELi8ELi8ELi32ELc78ELc67EKdS1_dEEvlllT_PT11_llS4_llS2_PT12_llPT13_lli: ; @_ZN12_GLOBAL__N_127rocblas_gemm_batched_kernelIdLi16ELi16ELi32ELi32ELi8ELi32ELi8ELi8ELi32ELc78ELc67EKdS1_dEEvlllT_PT11_llS4_llS2_PT12_llPT13_lli
; %bb.0:
	s_load_dwordx16 s[12:27], s[4:5], 0x10
	s_mov_b32 s2, s7
	s_ashr_i32 s7, s6, 31
	s_ashr_i32 s3, s2, 31
	v_bfe_u32 v15, v0, 10, 10
	s_waitcnt lgkmcnt(0)
	v_cmp_lt_i64_e64 s[10:11], s[12:13], 1
	v_and_b32_e32 v14, 0x3ff, v0
	s_lshl_b64 s[0:1], s[6:7], 5
	s_lshl_b64 s[2:3], s[2:3], 5
	s_mov_b64 s[6:7], 0
	s_and_b64 vcc, exec, s[10:11]
	s_cbranch_vccnz .LBB76_3
; %bb.1:
	v_lshl_add_u32 v2, v15, 4, v14
	v_and_b32_e32 v4, 31, v2
	v_lshrrev_b32_e32 v0, 3, v2
	v_and_b32_e32 v3, 7, v14
	v_lshrrev_b32_e32 v5, 5, v2
	v_lshlrev_b32_e32 v2, 3, v4
	v_lshl_or_b32 v16, v5, 8, v2
	v_lshlrev_b32_e32 v2, 3, v3
	v_mov_b32_e32 v1, 0
	v_lshl_or_b32 v2, v0, 6, v2
	s_mul_i32 s9, s27, s8
	s_mul_hi_u32 s10, s26, s8
	v_add_u32_e32 v17, 0x800, v2
	v_mov_b32_e32 v2, 0x800
	s_add_i32 s11, s10, s9
	s_mul_i32 s10, s26, s8
	v_mad_u64_u32 v[0:1], s[26:27], v3, s24, v[0:1]
	v_lshl_add_u32 v19, v15, 6, v2
	v_mov_b32_e32 v2, v1
	v_mad_u64_u32 v[2:3], s[26:27], v3, s25, v[2:3]
	s_lshl_b64 s[10:11], s[10:11], 3
	v_mov_b32_e32 v1, v2
	v_mov_b32_e32 v2, s3
	v_add_co_u32_e32 v0, vcc, s2, v0
	v_addc_co_u32_e32 v1, vcc, v1, v2, vcc
	s_add_u32 s9, s22, s10
	v_lshlrev_b64 v[0:1], 3, v[0:1]
	s_addc_u32 s10, s23, s11
	v_mov_b32_e32 v2, s10
	v_add_co_u32_e32 v8, vcc, s9, v0
	v_addc_co_u32_e32 v9, vcc, v2, v1, vcc
	v_pk_mov_b32 v[0:1], s[0:1], s[0:1] op_sel:[0,1]
	v_mad_u64_u32 v[0:1], s[22:23], v5, s18, v[0:1]
	s_mul_i32 s9, s21, s8
	s_mul_hi_u32 s21, s20, s8
	v_mov_b32_e32 v2, v1
	s_add_i32 s21, s21, s9
	s_mul_i32 s20, s20, s8
	v_mad_u64_u32 v[2:3], s[22:23], v5, s19, v[2:3]
	s_lshl_b64 s[10:11], s[24:25], 6
	s_lshl_b64 s[20:21], s[20:21], 3
	v_mov_b32_e32 v1, v2
	v_add_co_u32_e32 v0, vcc, v0, v4
	v_addc_co_u32_e32 v1, vcc, 0, v1, vcc
	s_add_u32 s9, s16, s20
	v_lshlrev_b64 v[0:1], 3, v[0:1]
	s_addc_u32 s16, s17, s21
	v_mov_b32_e32 v2, s16
	v_add_co_u32_e32 v10, vcc, s9, v0
	s_lshl_b64 s[16:17], s[18:19], 6
	v_lshlrev_b32_e32 v18, 3, v14
	v_addc_co_u32_e32 v11, vcc, v2, v1, vcc
	v_pk_mov_b32 v[0:1], 0, 0
	v_mov_b32_e32 v20, s11
	v_mov_b32_e32 v21, s17
	v_pk_mov_b32 v[12:13], s[12:13], s[12:13] op_sel:[0,1]
	v_pk_mov_b32 v[2:3], 0, 0
	v_pk_mov_b32 v[4:5], 0, 0
	;; [unrolled: 1-line block ×3, first 2 shown]
.LBB76_2:                               ; =>This Inner Loop Header: Depth=1
	global_load_dwordx2 v[22:23], v[10:11], off
	global_load_dwordx2 v[24:25], v[8:9], off
	v_add_co_u32_e32 v8, vcc, s10, v8
	v_addc_co_u32_e32 v9, vcc, v9, v20, vcc
	s_add_u32 s6, s6, 8
	v_add_co_u32_e32 v10, vcc, s16, v10
	v_addc_co_u32_e32 v11, vcc, v11, v21, vcc
	s_addc_u32 s7, s7, 0
	v_cmp_lt_i64_e32 vcc, s[6:7], v[12:13]
	s_and_b64 vcc, exec, vcc
	s_waitcnt vmcnt(1)
	ds_write_b64 v16, v[22:23]
	s_waitcnt vmcnt(0)
	ds_write_b64 v17, v[24:25]
	s_waitcnt lgkmcnt(0)
	s_barrier
	ds_read_b128 v[22:25], v19
	ds_read_b128 v[26:29], v19 offset:16
	ds_read_b128 v[30:33], v19 offset:32
	;; [unrolled: 1-line block ×3, first 2 shown]
	ds_read2_b64 v[38:41], v18 offset1:16
	ds_read2_b64 v[42:45], v18 offset0:32 offset1:48
	ds_read2_b64 v[46:49], v18 offset0:64 offset1:80
	ds_read_b128 v[50:53], v19 offset:1024
	ds_read_b128 v[54:57], v19 offset:1040
	ds_read2_b64 v[58:61], v18 offset0:96 offset1:112
	s_waitcnt lgkmcnt(5)
	v_fmac_f64_e32 v[6:7], v[38:39], v[22:23]
	v_fmac_f64_e32 v[4:5], v[40:41], v[22:23]
	s_waitcnt lgkmcnt(2)
	v_fmac_f64_e32 v[2:3], v[38:39], v[50:51]
	v_fmac_f64_e32 v[0:1], v[40:41], v[50:51]
	ds_read2_b64 v[38:41], v18 offset0:128 offset1:144
	v_fmac_f64_e32 v[6:7], v[42:43], v[24:25]
	v_fmac_f64_e32 v[4:5], v[44:45], v[24:25]
	ds_read2_b64 v[22:25], v18 offset0:160 offset1:176
	;; [unrolled: 3-line block ×3, first 2 shown]
	ds_read_b128 v[50:53], v19 offset:1056
	v_fmac_f64_e32 v[6:7], v[46:47], v[26:27]
	v_fmac_f64_e32 v[4:5], v[48:49], v[26:27]
	s_waitcnt lgkmcnt(5)
	v_fmac_f64_e32 v[2:3], v[46:47], v[54:55]
	v_fmac_f64_e32 v[0:1], v[48:49], v[54:55]
	ds_read_b128 v[46:49], v19 offset:1072
	s_waitcnt lgkmcnt(5)
	v_fmac_f64_e32 v[6:7], v[58:59], v[28:29]
	v_fmac_f64_e32 v[4:5], v[60:61], v[28:29]
	ds_read2_b64 v[26:29], v18 offset0:224 offset1:240
	v_fmac_f64_e32 v[2:3], v[58:59], v[56:57]
	v_fmac_f64_e32 v[0:1], v[60:61], v[56:57]
	s_waitcnt lgkmcnt(5)
	v_fmac_f64_e32 v[6:7], v[38:39], v[30:31]
	v_fmac_f64_e32 v[4:5], v[40:41], v[30:31]
	s_waitcnt lgkmcnt(2)
	v_fmac_f64_e32 v[2:3], v[38:39], v[50:51]
	v_fmac_f64_e32 v[0:1], v[40:41], v[50:51]
	;; [unrolled: 1-line block ×8, first 2 shown]
	s_waitcnt lgkmcnt(1)
	v_fmac_f64_e32 v[2:3], v[42:43], v[46:47]
	v_fmac_f64_e32 v[0:1], v[44:45], v[46:47]
	s_waitcnt lgkmcnt(0)
	v_fmac_f64_e32 v[6:7], v[26:27], v[36:37]
	v_fmac_f64_e32 v[4:5], v[28:29], v[36:37]
	v_fmac_f64_e32 v[2:3], v[26:27], v[48:49]
	v_fmac_f64_e32 v[0:1], v[28:29], v[48:49]
	s_barrier
	s_cbranch_vccnz .LBB76_2
	s_branch .LBB76_4
.LBB76_3:
	v_pk_mov_b32 v[6:7], 0, 0
	v_pk_mov_b32 v[4:5], 0, 0
	;; [unrolled: 1-line block ×4, first 2 shown]
.LBB76_4:
	s_load_dwordx8 s[24:31], s[4:5], 0x70
	s_load_dwordx8 s[16:23], s[4:5], 0x50
	v_mov_b32_e32 v8, s3
	v_add_co_u32_e32 v10, vcc, s2, v15
	s_waitcnt lgkmcnt(0)
	s_mul_i32 s3, s8, s29
	s_mul_hi_u32 s5, s8, s28
	s_mul_i32 s4, s8, s28
	s_add_i32 s5, s5, s3
	v_addc_co_u32_e32 v13, vcc, 0, v8, vcc
	s_lshl_b64 s[4:5], s[4:5], 3
	v_mov_b32_e32 v9, s1
	v_add_co_u32_e32 v8, vcc, s0, v14
	s_add_u32 s4, s24, s4
	v_cmp_neq_f64_e64 s[6:7], s[16:17], 0
	v_addc_co_u32_e32 v9, vcc, 0, v9, vcc
	s_addc_u32 s5, s25, s5
	s_mov_b64 s[2:3], 0
	s_and_b64 vcc, exec, s[6:7]
	v_mul_lo_u32 v11, v13, s26
	v_mul_lo_u32 v12, v10, s27
	v_lshlrev_b64 v[8:9], 3, v[8:9]
	s_cbranch_vccnz .LBB76_8
; %bb.5:
	v_mad_u64_u32 v[14:15], s[0:1], v10, s26, 0
	v_add3_u32 v15, v15, v12, v11
	v_lshlrev_b64 v[14:15], 3, v[14:15]
	v_mov_b32_e32 v16, s5
	v_add_co_u32_e32 v17, vcc, s4, v14
	v_addc_co_u32_e32 v18, vcc, v16, v15, vcc
	v_add_co_u32_e32 v16, vcc, v17, v8
	v_mul_f64 v[14:15], v[6:7], s[14:15]
	v_addc_co_u32_e32 v17, vcc, v18, v9, vcc
	global_store_dwordx2 v[16:17], v[14:15], off
	v_mul_f64 v[14:15], v[4:5], s[14:15]
	s_lshl_b64 s[0:1], s[26:27], 7
	global_store_dwordx2 v[16:17], v[14:15], off offset:128
	v_mov_b32_e32 v18, s1
	v_add_co_u32_e32 v16, vcc, s0, v16
	v_mul_f64 v[14:15], v[2:3], s[14:15]
	v_addc_co_u32_e32 v17, vcc, v17, v18, vcc
	global_store_dwordx2 v[16:17], v[14:15], off
	v_mul_f64 v[14:15], v[0:1], s[14:15]
	global_store_dwordx2 v[16:17], v[14:15], off offset:128
	s_andn2_b64 vcc, exec, s[2:3]
	s_cbranch_vccnz .LBB76_7
.LBB76_6:
	s_mul_i32 s0, s8, s23
	s_mul_hi_u32 s1, s8, s22
	s_add_i32 s1, s1, s0
	s_mul_i32 s0, s8, s22
	s_lshl_b64 s[0:1], s[0:1], 3
	s_add_u32 s2, s18, s0
	s_addc_u32 s3, s19, s1
	v_mul_lo_u32 v13, v13, s20
	v_mul_lo_u32 v16, v10, s21
	v_mad_u64_u32 v[14:15], s[0:1], v10, s20, 0
	v_add3_u32 v15, v15, v16, v13
	v_lshlrev_b64 v[14:15], 3, v[14:15]
	v_mov_b32_e32 v13, s3
	v_add_co_u32_e32 v14, vcc, s2, v14
	v_addc_co_u32_e32 v13, vcc, v13, v15, vcc
	v_add_co_u32_e32 v14, vcc, v14, v8
	v_addc_co_u32_e32 v15, vcc, v13, v9, vcc
	global_load_dwordx2 v[16:17], v[14:15], off
	v_mad_u64_u32 v[18:19], s[0:1], v10, s26, 0
	v_add3_u32 v19, v19, v12, v11
	v_lshlrev_b64 v[10:11], 3, v[18:19]
	v_mov_b32_e32 v13, s5
	v_add_co_u32_e32 v10, vcc, s4, v10
	v_addc_co_u32_e32 v11, vcc, v13, v11, vcc
	v_add_co_u32_e32 v8, vcc, v10, v8
	v_addc_co_u32_e32 v9, vcc, v11, v9, vcc
	s_lshl_b64 s[0:1], s[20:21], 7
	s_waitcnt vmcnt(0)
	v_mul_f64 v[10:11], v[16:17], s[16:17]
	v_fmac_f64_e32 v[10:11], s[14:15], v[6:7]
	global_store_dwordx2 v[8:9], v[10:11], off
	global_load_dwordx2 v[6:7], v[14:15], off offset:128
	v_mov_b32_e32 v11, s1
	v_add_co_u32_e32 v10, vcc, s0, v14
	v_addc_co_u32_e32 v11, vcc, v15, v11, vcc
	s_lshl_b64 s[0:1], s[26:27], 7
	s_waitcnt vmcnt(0)
	v_mul_f64 v[6:7], v[6:7], s[16:17]
	v_fmac_f64_e32 v[6:7], s[14:15], v[4:5]
	global_store_dwordx2 v[8:9], v[6:7], off offset:128
	global_load_dwordx2 v[4:5], v[10:11], off
	v_mov_b32_e32 v6, s1
	s_waitcnt vmcnt(0)
	v_mul_f64 v[4:5], v[4:5], s[16:17]
	v_fmac_f64_e32 v[4:5], s[14:15], v[2:3]
	v_add_co_u32_e32 v2, vcc, s0, v8
	v_addc_co_u32_e32 v3, vcc, v9, v6, vcc
	global_store_dwordx2 v[2:3], v[4:5], off
	global_load_dwordx2 v[4:5], v[10:11], off offset:128
	s_waitcnt vmcnt(0)
	v_mul_f64 v[4:5], v[4:5], s[16:17]
	v_fmac_f64_e32 v[4:5], s[14:15], v[0:1]
	global_store_dwordx2 v[2:3], v[4:5], off offset:128
.LBB76_7:
	s_endpgm
.LBB76_8:
	s_branch .LBB76_6
	.section	.rodata,"a",@progbits
	.p2align	6, 0x0
	.amdhsa_kernel _ZN12_GLOBAL__N_127rocblas_gemm_batched_kernelIdLi16ELi16ELi32ELi32ELi8ELi32ELi8ELi8ELi32ELc78ELc67EKdS1_dEEvlllT_PT11_llS4_llS2_PT12_llPT13_lli
		.amdhsa_group_segment_fixed_size 4096
		.amdhsa_private_segment_fixed_size 0
		.amdhsa_kernarg_size 140
		.amdhsa_user_sgpr_count 6
		.amdhsa_user_sgpr_private_segment_buffer 1
		.amdhsa_user_sgpr_dispatch_ptr 0
		.amdhsa_user_sgpr_queue_ptr 0
		.amdhsa_user_sgpr_kernarg_segment_ptr 1
		.amdhsa_user_sgpr_dispatch_id 0
		.amdhsa_user_sgpr_flat_scratch_init 0
		.amdhsa_user_sgpr_kernarg_preload_length 0
		.amdhsa_user_sgpr_kernarg_preload_offset 0
		.amdhsa_user_sgpr_private_segment_size 0
		.amdhsa_uses_dynamic_stack 0
		.amdhsa_system_sgpr_private_segment_wavefront_offset 0
		.amdhsa_system_sgpr_workgroup_id_x 1
		.amdhsa_system_sgpr_workgroup_id_y 1
		.amdhsa_system_sgpr_workgroup_id_z 1
		.amdhsa_system_sgpr_workgroup_info 0
		.amdhsa_system_vgpr_workitem_id 1
		.amdhsa_next_free_vgpr 62
		.amdhsa_next_free_sgpr 32
		.amdhsa_accum_offset 64
		.amdhsa_reserve_vcc 1
		.amdhsa_reserve_flat_scratch 0
		.amdhsa_float_round_mode_32 0
		.amdhsa_float_round_mode_16_64 0
		.amdhsa_float_denorm_mode_32 3
		.amdhsa_float_denorm_mode_16_64 3
		.amdhsa_dx10_clamp 1
		.amdhsa_ieee_mode 1
		.amdhsa_fp16_overflow 0
		.amdhsa_tg_split 0
		.amdhsa_exception_fp_ieee_invalid_op 0
		.amdhsa_exception_fp_denorm_src 0
		.amdhsa_exception_fp_ieee_div_zero 0
		.amdhsa_exception_fp_ieee_overflow 0
		.amdhsa_exception_fp_ieee_underflow 0
		.amdhsa_exception_fp_ieee_inexact 0
		.amdhsa_exception_int_div_zero 0
	.end_amdhsa_kernel
	.section	.text._ZN12_GLOBAL__N_127rocblas_gemm_batched_kernelIdLi16ELi16ELi32ELi32ELi8ELi32ELi8ELi8ELi32ELc78ELc67EKdS1_dEEvlllT_PT11_llS4_llS2_PT12_llPT13_lli,"axG",@progbits,_ZN12_GLOBAL__N_127rocblas_gemm_batched_kernelIdLi16ELi16ELi32ELi32ELi8ELi32ELi8ELi8ELi32ELc78ELc67EKdS1_dEEvlllT_PT11_llS4_llS2_PT12_llPT13_lli,comdat
.Lfunc_end76:
	.size	_ZN12_GLOBAL__N_127rocblas_gemm_batched_kernelIdLi16ELi16ELi32ELi32ELi8ELi32ELi8ELi8ELi32ELc78ELc67EKdS1_dEEvlllT_PT11_llS4_llS2_PT12_llPT13_lli, .Lfunc_end76-_ZN12_GLOBAL__N_127rocblas_gemm_batched_kernelIdLi16ELi16ELi32ELi32ELi8ELi32ELi8ELi8ELi32ELc78ELc67EKdS1_dEEvlllT_PT11_llS4_llS2_PT12_llPT13_lli
                                        ; -- End function
	.section	.AMDGPU.csdata,"",@progbits
; Kernel info:
; codeLenInByte = 1336
; NumSgprs: 36
; NumVgprs: 62
; NumAgprs: 0
; TotalNumVgprs: 62
; ScratchSize: 0
; MemoryBound: 0
; FloatMode: 240
; IeeeMode: 1
; LDSByteSize: 4096 bytes/workgroup (compile time only)
; SGPRBlocks: 4
; VGPRBlocks: 7
; NumSGPRsForWavesPerEU: 36
; NumVGPRsForWavesPerEU: 62
; AccumOffset: 64
; Occupancy: 8
; WaveLimiterHint : 1
; COMPUTE_PGM_RSRC2:SCRATCH_EN: 0
; COMPUTE_PGM_RSRC2:USER_SGPR: 6
; COMPUTE_PGM_RSRC2:TRAP_HANDLER: 0
; COMPUTE_PGM_RSRC2:TGID_X_EN: 1
; COMPUTE_PGM_RSRC2:TGID_Y_EN: 1
; COMPUTE_PGM_RSRC2:TGID_Z_EN: 1
; COMPUTE_PGM_RSRC2:TIDIG_COMP_CNT: 1
; COMPUTE_PGM_RSRC3_GFX90A:ACCUM_OFFSET: 15
; COMPUTE_PGM_RSRC3_GFX90A:TG_SPLIT: 0
	.section	.text._ZN12_GLOBAL__N_127rocblas_gemm_batched_kernelIdLi16ELi16ELi32ELi32ELi8ELi32ELi8ELi8ELi32ELc84ELc67EKdS1_dEEvlllT_PT11_llS4_llS2_PT12_llPT13_lli,"axG",@progbits,_ZN12_GLOBAL__N_127rocblas_gemm_batched_kernelIdLi16ELi16ELi32ELi32ELi8ELi32ELi8ELi8ELi32ELc84ELc67EKdS1_dEEvlllT_PT11_llS4_llS2_PT12_llPT13_lli,comdat
	.globl	_ZN12_GLOBAL__N_127rocblas_gemm_batched_kernelIdLi16ELi16ELi32ELi32ELi8ELi32ELi8ELi8ELi32ELc84ELc67EKdS1_dEEvlllT_PT11_llS4_llS2_PT12_llPT13_lli ; -- Begin function _ZN12_GLOBAL__N_127rocblas_gemm_batched_kernelIdLi16ELi16ELi32ELi32ELi8ELi32ELi8ELi8ELi32ELc84ELc67EKdS1_dEEvlllT_PT11_llS4_llS2_PT12_llPT13_lli
	.p2align	8
	.type	_ZN12_GLOBAL__N_127rocblas_gemm_batched_kernelIdLi16ELi16ELi32ELi32ELi8ELi32ELi8ELi8ELi32ELc84ELc67EKdS1_dEEvlllT_PT11_llS4_llS2_PT12_llPT13_lli,@function
_ZN12_GLOBAL__N_127rocblas_gemm_batched_kernelIdLi16ELi16ELi32ELi32ELi8ELi32ELi8ELi8ELi32ELc84ELc67EKdS1_dEEvlllT_PT11_llS4_llS2_PT12_llPT13_lli: ; @_ZN12_GLOBAL__N_127rocblas_gemm_batched_kernelIdLi16ELi16ELi32ELi32ELi8ELi32ELi8ELi8ELi32ELc84ELc67EKdS1_dEEvlllT_PT11_llS4_llS2_PT12_llPT13_lli
; %bb.0:
	s_load_dwordx16 s[12:27], s[4:5], 0x10
	s_mov_b32 s2, s7
	s_ashr_i32 s7, s6, 31
	s_ashr_i32 s3, s2, 31
	v_bfe_u32 v15, v0, 10, 10
	s_waitcnt lgkmcnt(0)
	v_cmp_lt_i64_e64 s[10:11], s[12:13], 1
	v_and_b32_e32 v14, 0x3ff, v0
	s_lshl_b64 s[0:1], s[6:7], 5
	s_lshl_b64 s[2:3], s[2:3], 5
	s_mov_b64 s[6:7], 0
	s_and_b64 vcc, exec, s[10:11]
	s_cbranch_vccnz .LBB77_3
; %bb.1:
	v_lshl_add_u32 v2, v15, 4, v14
	v_and_b32_e32 v4, 31, v2
	v_lshrrev_b32_e32 v0, 3, v2
	v_and_b32_e32 v3, 7, v14
	v_lshrrev_b32_e32 v5, 5, v2
	v_lshlrev_b32_e32 v2, 3, v4
	v_lshl_or_b32 v16, v5, 8, v2
	v_lshlrev_b32_e32 v2, 3, v3
	v_mov_b32_e32 v1, 0
	v_lshl_or_b32 v2, v0, 6, v2
	s_mul_i32 s9, s27, s8
	s_mul_hi_u32 s10, s26, s8
	v_add_u32_e32 v17, 0x800, v2
	v_mov_b32_e32 v2, 0x800
	s_add_i32 s11, s10, s9
	s_mul_i32 s10, s26, s8
	v_mad_u64_u32 v[0:1], s[26:27], v3, s24, v[0:1]
	v_lshl_add_u32 v19, v15, 6, v2
	v_mov_b32_e32 v2, v1
	v_mad_u64_u32 v[2:3], s[26:27], v3, s25, v[2:3]
	s_lshl_b64 s[10:11], s[10:11], 3
	v_mov_b32_e32 v1, v2
	v_mov_b32_e32 v2, s3
	v_add_co_u32_e32 v0, vcc, s2, v0
	v_addc_co_u32_e32 v1, vcc, v1, v2, vcc
	s_add_u32 s9, s22, s10
	v_lshlrev_b64 v[0:1], 3, v[0:1]
	s_addc_u32 s10, s23, s11
	v_mov_b32_e32 v2, s10
	v_add_co_u32_e32 v8, vcc, s9, v0
	v_addc_co_u32_e32 v9, vcc, v2, v1, vcc
	v_mov_b32_e32 v0, s1
	v_add_co_u32_e32 v1, vcc, s0, v4
	v_addc_co_u32_e32 v0, vcc, 0, v0, vcc
	v_mul_lo_u32 v2, s19, v1
	v_mul_lo_u32 v3, s18, v0
	v_mad_u64_u32 v[0:1], s[18:19], s18, v1, 0
	s_mul_i32 s9, s21, s8
	s_mul_hi_u32 s18, s20, s8
	v_add3_u32 v1, v1, v3, v2
	s_add_i32 s19, s18, s9
	s_mul_i32 s18, s20, s8
	v_lshlrev_b64 v[0:1], 3, v[0:1]
	s_lshl_b64 s[18:19], s[18:19], 3
	v_mov_b32_e32 v2, s19
	v_add_co_u32_e32 v0, vcc, s18, v0
	v_addc_co_u32_e32 v1, vcc, v1, v2, vcc
	v_lshlrev_b32_e32 v2, 3, v5
	v_add_co_u32_e32 v0, vcc, v0, v2
	v_addc_co_u32_e32 v1, vcc, 0, v1, vcc
	s_lshl_b64 s[10:11], s[24:25], 6
	v_mov_b32_e32 v2, s17
	v_add_co_u32_e32 v10, vcc, s16, v0
	v_lshlrev_b32_e32 v18, 3, v14
	v_addc_co_u32_e32 v11, vcc, v2, v1, vcc
	v_pk_mov_b32 v[0:1], 0, 0
	v_mov_b32_e32 v20, s11
	v_pk_mov_b32 v[12:13], s[12:13], s[12:13] op_sel:[0,1]
	v_pk_mov_b32 v[2:3], 0, 0
	v_pk_mov_b32 v[4:5], 0, 0
	;; [unrolled: 1-line block ×3, first 2 shown]
.LBB77_2:                               ; =>This Inner Loop Header: Depth=1
	global_load_dwordx2 v[22:23], v[10:11], off
	global_load_dwordx2 v[24:25], v[8:9], off
	v_add_co_u32_e32 v8, vcc, s10, v8
	v_addc_co_u32_e32 v9, vcc, v9, v20, vcc
	s_add_u32 s6, s6, 8
	v_add_co_u32_e32 v10, vcc, 64, v10
	v_addc_co_u32_e32 v11, vcc, 0, v11, vcc
	s_addc_u32 s7, s7, 0
	v_cmp_lt_i64_e32 vcc, s[6:7], v[12:13]
	s_and_b64 vcc, exec, vcc
	s_waitcnt vmcnt(1)
	ds_write_b64 v16, v[22:23]
	s_waitcnt vmcnt(0)
	ds_write_b64 v17, v[24:25]
	s_waitcnt lgkmcnt(0)
	s_barrier
	ds_read_b128 v[22:25], v19
	ds_read_b128 v[26:29], v19 offset:16
	ds_read_b128 v[30:33], v19 offset:32
	;; [unrolled: 1-line block ×3, first 2 shown]
	ds_read2_b64 v[38:41], v18 offset1:16
	ds_read2_b64 v[42:45], v18 offset0:32 offset1:48
	ds_read2_b64 v[46:49], v18 offset0:64 offset1:80
	ds_read_b128 v[50:53], v19 offset:1024
	ds_read_b128 v[54:57], v19 offset:1040
	ds_read2_b64 v[58:61], v18 offset0:96 offset1:112
	s_waitcnt lgkmcnt(5)
	v_fmac_f64_e32 v[6:7], v[38:39], v[22:23]
	v_fmac_f64_e32 v[4:5], v[40:41], v[22:23]
	s_waitcnt lgkmcnt(2)
	v_fmac_f64_e32 v[2:3], v[38:39], v[50:51]
	v_fmac_f64_e32 v[0:1], v[40:41], v[50:51]
	ds_read2_b64 v[38:41], v18 offset0:128 offset1:144
	v_fmac_f64_e32 v[6:7], v[42:43], v[24:25]
	v_fmac_f64_e32 v[4:5], v[44:45], v[24:25]
	ds_read2_b64 v[22:25], v18 offset0:160 offset1:176
	;; [unrolled: 3-line block ×3, first 2 shown]
	ds_read_b128 v[50:53], v19 offset:1056
	v_fmac_f64_e32 v[6:7], v[46:47], v[26:27]
	v_fmac_f64_e32 v[4:5], v[48:49], v[26:27]
	s_waitcnt lgkmcnt(5)
	v_fmac_f64_e32 v[2:3], v[46:47], v[54:55]
	v_fmac_f64_e32 v[0:1], v[48:49], v[54:55]
	ds_read_b128 v[46:49], v19 offset:1072
	s_waitcnt lgkmcnt(5)
	v_fmac_f64_e32 v[6:7], v[58:59], v[28:29]
	v_fmac_f64_e32 v[4:5], v[60:61], v[28:29]
	ds_read2_b64 v[26:29], v18 offset0:224 offset1:240
	v_fmac_f64_e32 v[2:3], v[58:59], v[56:57]
	v_fmac_f64_e32 v[0:1], v[60:61], v[56:57]
	s_waitcnt lgkmcnt(5)
	v_fmac_f64_e32 v[6:7], v[38:39], v[30:31]
	v_fmac_f64_e32 v[4:5], v[40:41], v[30:31]
	s_waitcnt lgkmcnt(2)
	v_fmac_f64_e32 v[2:3], v[38:39], v[50:51]
	v_fmac_f64_e32 v[0:1], v[40:41], v[50:51]
	;; [unrolled: 1-line block ×8, first 2 shown]
	s_waitcnt lgkmcnt(1)
	v_fmac_f64_e32 v[2:3], v[42:43], v[46:47]
	v_fmac_f64_e32 v[0:1], v[44:45], v[46:47]
	s_waitcnt lgkmcnt(0)
	v_fmac_f64_e32 v[6:7], v[26:27], v[36:37]
	v_fmac_f64_e32 v[4:5], v[28:29], v[36:37]
	;; [unrolled: 1-line block ×4, first 2 shown]
	s_barrier
	s_cbranch_vccnz .LBB77_2
	s_branch .LBB77_4
.LBB77_3:
	v_pk_mov_b32 v[6:7], 0, 0
	v_pk_mov_b32 v[4:5], 0, 0
	;; [unrolled: 1-line block ×4, first 2 shown]
.LBB77_4:
	s_load_dwordx8 s[24:31], s[4:5], 0x70
	s_load_dwordx8 s[16:23], s[4:5], 0x50
	v_mov_b32_e32 v8, s3
	v_add_co_u32_e32 v10, vcc, s2, v15
	s_waitcnt lgkmcnt(0)
	s_mul_i32 s3, s8, s29
	s_mul_hi_u32 s5, s8, s28
	s_mul_i32 s4, s8, s28
	s_add_i32 s5, s5, s3
	v_addc_co_u32_e32 v13, vcc, 0, v8, vcc
	s_lshl_b64 s[4:5], s[4:5], 3
	v_mov_b32_e32 v9, s1
	v_add_co_u32_e32 v8, vcc, s0, v14
	s_add_u32 s4, s24, s4
	v_cmp_neq_f64_e64 s[6:7], s[16:17], 0
	v_addc_co_u32_e32 v9, vcc, 0, v9, vcc
	s_addc_u32 s5, s25, s5
	s_mov_b64 s[2:3], 0
	s_and_b64 vcc, exec, s[6:7]
	v_mul_lo_u32 v11, v13, s26
	v_mul_lo_u32 v12, v10, s27
	v_lshlrev_b64 v[8:9], 3, v[8:9]
	s_cbranch_vccnz .LBB77_8
; %bb.5:
	v_mad_u64_u32 v[14:15], s[0:1], v10, s26, 0
	v_add3_u32 v15, v15, v12, v11
	v_lshlrev_b64 v[14:15], 3, v[14:15]
	v_mov_b32_e32 v16, s5
	v_add_co_u32_e32 v17, vcc, s4, v14
	v_addc_co_u32_e32 v18, vcc, v16, v15, vcc
	v_add_co_u32_e32 v16, vcc, v17, v8
	v_mul_f64 v[14:15], v[6:7], s[14:15]
	v_addc_co_u32_e32 v17, vcc, v18, v9, vcc
	global_store_dwordx2 v[16:17], v[14:15], off
	v_mul_f64 v[14:15], v[4:5], s[14:15]
	s_lshl_b64 s[0:1], s[26:27], 7
	global_store_dwordx2 v[16:17], v[14:15], off offset:128
	v_mov_b32_e32 v18, s1
	v_add_co_u32_e32 v16, vcc, s0, v16
	v_mul_f64 v[14:15], v[2:3], s[14:15]
	v_addc_co_u32_e32 v17, vcc, v17, v18, vcc
	global_store_dwordx2 v[16:17], v[14:15], off
	v_mul_f64 v[14:15], v[0:1], s[14:15]
	global_store_dwordx2 v[16:17], v[14:15], off offset:128
	s_andn2_b64 vcc, exec, s[2:3]
	s_cbranch_vccnz .LBB77_7
.LBB77_6:
	s_mul_i32 s0, s8, s23
	s_mul_hi_u32 s1, s8, s22
	s_add_i32 s1, s1, s0
	s_mul_i32 s0, s8, s22
	s_lshl_b64 s[0:1], s[0:1], 3
	s_add_u32 s2, s18, s0
	s_addc_u32 s3, s19, s1
	v_mul_lo_u32 v13, v13, s20
	v_mul_lo_u32 v16, v10, s21
	v_mad_u64_u32 v[14:15], s[0:1], v10, s20, 0
	v_add3_u32 v15, v15, v16, v13
	v_lshlrev_b64 v[14:15], 3, v[14:15]
	v_mov_b32_e32 v13, s3
	v_add_co_u32_e32 v14, vcc, s2, v14
	v_addc_co_u32_e32 v13, vcc, v13, v15, vcc
	v_add_co_u32_e32 v14, vcc, v14, v8
	v_addc_co_u32_e32 v15, vcc, v13, v9, vcc
	global_load_dwordx2 v[16:17], v[14:15], off
	v_mad_u64_u32 v[18:19], s[0:1], v10, s26, 0
	v_add3_u32 v19, v19, v12, v11
	v_lshlrev_b64 v[10:11], 3, v[18:19]
	v_mov_b32_e32 v13, s5
	v_add_co_u32_e32 v10, vcc, s4, v10
	v_addc_co_u32_e32 v11, vcc, v13, v11, vcc
	v_add_co_u32_e32 v8, vcc, v10, v8
	v_addc_co_u32_e32 v9, vcc, v11, v9, vcc
	s_lshl_b64 s[0:1], s[20:21], 7
	s_waitcnt vmcnt(0)
	v_mul_f64 v[10:11], v[16:17], s[16:17]
	v_fmac_f64_e32 v[10:11], s[14:15], v[6:7]
	global_store_dwordx2 v[8:9], v[10:11], off
	global_load_dwordx2 v[6:7], v[14:15], off offset:128
	v_mov_b32_e32 v11, s1
	v_add_co_u32_e32 v10, vcc, s0, v14
	v_addc_co_u32_e32 v11, vcc, v15, v11, vcc
	s_lshl_b64 s[0:1], s[26:27], 7
	s_waitcnt vmcnt(0)
	v_mul_f64 v[6:7], v[6:7], s[16:17]
	v_fmac_f64_e32 v[6:7], s[14:15], v[4:5]
	global_store_dwordx2 v[8:9], v[6:7], off offset:128
	global_load_dwordx2 v[4:5], v[10:11], off
	v_mov_b32_e32 v6, s1
	s_waitcnt vmcnt(0)
	v_mul_f64 v[4:5], v[4:5], s[16:17]
	v_fmac_f64_e32 v[4:5], s[14:15], v[2:3]
	v_add_co_u32_e32 v2, vcc, s0, v8
	v_addc_co_u32_e32 v3, vcc, v9, v6, vcc
	global_store_dwordx2 v[2:3], v[4:5], off
	global_load_dwordx2 v[4:5], v[10:11], off offset:128
	s_waitcnt vmcnt(0)
	v_mul_f64 v[4:5], v[4:5], s[16:17]
	v_fmac_f64_e32 v[4:5], s[14:15], v[0:1]
	global_store_dwordx2 v[2:3], v[4:5], off offset:128
.LBB77_7:
	s_endpgm
.LBB77_8:
	s_branch .LBB77_6
	.section	.rodata,"a",@progbits
	.p2align	6, 0x0
	.amdhsa_kernel _ZN12_GLOBAL__N_127rocblas_gemm_batched_kernelIdLi16ELi16ELi32ELi32ELi8ELi32ELi8ELi8ELi32ELc84ELc67EKdS1_dEEvlllT_PT11_llS4_llS2_PT12_llPT13_lli
		.amdhsa_group_segment_fixed_size 4096
		.amdhsa_private_segment_fixed_size 0
		.amdhsa_kernarg_size 140
		.amdhsa_user_sgpr_count 6
		.amdhsa_user_sgpr_private_segment_buffer 1
		.amdhsa_user_sgpr_dispatch_ptr 0
		.amdhsa_user_sgpr_queue_ptr 0
		.amdhsa_user_sgpr_kernarg_segment_ptr 1
		.amdhsa_user_sgpr_dispatch_id 0
		.amdhsa_user_sgpr_flat_scratch_init 0
		.amdhsa_user_sgpr_kernarg_preload_length 0
		.amdhsa_user_sgpr_kernarg_preload_offset 0
		.amdhsa_user_sgpr_private_segment_size 0
		.amdhsa_uses_dynamic_stack 0
		.amdhsa_system_sgpr_private_segment_wavefront_offset 0
		.amdhsa_system_sgpr_workgroup_id_x 1
		.amdhsa_system_sgpr_workgroup_id_y 1
		.amdhsa_system_sgpr_workgroup_id_z 1
		.amdhsa_system_sgpr_workgroup_info 0
		.amdhsa_system_vgpr_workitem_id 1
		.amdhsa_next_free_vgpr 62
		.amdhsa_next_free_sgpr 32
		.amdhsa_accum_offset 64
		.amdhsa_reserve_vcc 1
		.amdhsa_reserve_flat_scratch 0
		.amdhsa_float_round_mode_32 0
		.amdhsa_float_round_mode_16_64 0
		.amdhsa_float_denorm_mode_32 3
		.amdhsa_float_denorm_mode_16_64 3
		.amdhsa_dx10_clamp 1
		.amdhsa_ieee_mode 1
		.amdhsa_fp16_overflow 0
		.amdhsa_tg_split 0
		.amdhsa_exception_fp_ieee_invalid_op 0
		.amdhsa_exception_fp_denorm_src 0
		.amdhsa_exception_fp_ieee_div_zero 0
		.amdhsa_exception_fp_ieee_overflow 0
		.amdhsa_exception_fp_ieee_underflow 0
		.amdhsa_exception_fp_ieee_inexact 0
		.amdhsa_exception_int_div_zero 0
	.end_amdhsa_kernel
	.section	.text._ZN12_GLOBAL__N_127rocblas_gemm_batched_kernelIdLi16ELi16ELi32ELi32ELi8ELi32ELi8ELi8ELi32ELc84ELc67EKdS1_dEEvlllT_PT11_llS4_llS2_PT12_llPT13_lli,"axG",@progbits,_ZN12_GLOBAL__N_127rocblas_gemm_batched_kernelIdLi16ELi16ELi32ELi32ELi8ELi32ELi8ELi8ELi32ELc84ELc67EKdS1_dEEvlllT_PT11_llS4_llS2_PT12_llPT13_lli,comdat
.Lfunc_end77:
	.size	_ZN12_GLOBAL__N_127rocblas_gemm_batched_kernelIdLi16ELi16ELi32ELi32ELi8ELi32ELi8ELi8ELi32ELc84ELc67EKdS1_dEEvlllT_PT11_llS4_llS2_PT12_llPT13_lli, .Lfunc_end77-_ZN12_GLOBAL__N_127rocblas_gemm_batched_kernelIdLi16ELi16ELi32ELi32ELi8ELi32ELi8ELi8ELi32ELc84ELc67EKdS1_dEEvlllT_PT11_llS4_llS2_PT12_llPT13_lli
                                        ; -- End function
	.section	.AMDGPU.csdata,"",@progbits
; Kernel info:
; codeLenInByte = 1348
; NumSgprs: 36
; NumVgprs: 62
; NumAgprs: 0
; TotalNumVgprs: 62
; ScratchSize: 0
; MemoryBound: 0
; FloatMode: 240
; IeeeMode: 1
; LDSByteSize: 4096 bytes/workgroup (compile time only)
; SGPRBlocks: 4
; VGPRBlocks: 7
; NumSGPRsForWavesPerEU: 36
; NumVGPRsForWavesPerEU: 62
; AccumOffset: 64
; Occupancy: 8
; WaveLimiterHint : 1
; COMPUTE_PGM_RSRC2:SCRATCH_EN: 0
; COMPUTE_PGM_RSRC2:USER_SGPR: 6
; COMPUTE_PGM_RSRC2:TRAP_HANDLER: 0
; COMPUTE_PGM_RSRC2:TGID_X_EN: 1
; COMPUTE_PGM_RSRC2:TGID_Y_EN: 1
; COMPUTE_PGM_RSRC2:TGID_Z_EN: 1
; COMPUTE_PGM_RSRC2:TIDIG_COMP_CNT: 1
; COMPUTE_PGM_RSRC3_GFX90A:ACCUM_OFFSET: 15
; COMPUTE_PGM_RSRC3_GFX90A:TG_SPLIT: 0
	.section	.text._ZN12_GLOBAL__N_135rocblas_gemm_batched_general_kernelIdLi16ELi16ELi32ELi32ELi8ELi32ELi8ELi8ELi32ELc78ELc78EKdS1_dEEvlllT_PT11_llS4_llS2_PT12_llPT13_lli,"axG",@progbits,_ZN12_GLOBAL__N_135rocblas_gemm_batched_general_kernelIdLi16ELi16ELi32ELi32ELi8ELi32ELi8ELi8ELi32ELc78ELc78EKdS1_dEEvlllT_PT11_llS4_llS2_PT12_llPT13_lli,comdat
	.globl	_ZN12_GLOBAL__N_135rocblas_gemm_batched_general_kernelIdLi16ELi16ELi32ELi32ELi8ELi32ELi8ELi8ELi32ELc78ELc78EKdS1_dEEvlllT_PT11_llS4_llS2_PT12_llPT13_lli ; -- Begin function _ZN12_GLOBAL__N_135rocblas_gemm_batched_general_kernelIdLi16ELi16ELi32ELi32ELi8ELi32ELi8ELi8ELi32ELc78ELc78EKdS1_dEEvlllT_PT11_llS4_llS2_PT12_llPT13_lli
	.p2align	8
	.type	_ZN12_GLOBAL__N_135rocblas_gemm_batched_general_kernelIdLi16ELi16ELi32ELi32ELi8ELi32ELi8ELi8ELi32ELc78ELc78EKdS1_dEEvlllT_PT11_llS4_llS2_PT12_llPT13_lli,@function
_ZN12_GLOBAL__N_135rocblas_gemm_batched_general_kernelIdLi16ELi16ELi32ELi32ELi8ELi32ELi8ELi8ELi32ELc78ELc78EKdS1_dEEvlllT_PT11_llS4_llS2_PT12_llPT13_lli: ; @_ZN12_GLOBAL__N_135rocblas_gemm_batched_general_kernelIdLi16ELi16ELi32ELi32ELi8ELi32ELi8ELi8ELi32ELc78ELc78EKdS1_dEEvlllT_PT11_llS4_llS2_PT12_llPT13_lli
; %bb.0:
	s_load_dwordx16 s[12:27], s[4:5], 0x0
	s_load_dwordx16 s[36:51], s[4:5], 0x40
	s_mov_b32 s0, s7
	s_ashr_i32 s1, s0, 31
	s_ashr_i32 s7, s6, 31
	s_lshl_b64 s[28:29], s[0:1], 5
	s_waitcnt lgkmcnt(0)
	v_cmp_lt_i64_e64 s[0:1], s[16:17], 1
	v_pk_mov_b32 v[6:7], 0, 0
	v_and_b32_e32 v20, 0x3ff, v0
	v_bfe_u32 v9, v0, 10, 10
	s_lshl_b64 s[10:11], s[6:7], 5
	s_mov_b64 s[30:31], 0
	s_and_b64 vcc, exec, s[0:1]
	v_pk_mov_b32 v[4:5], v[6:7], v[6:7] op_sel:[0,1]
	v_pk_mov_b32 v[2:3], v[6:7], v[6:7] op_sel:[0,1]
	;; [unrolled: 1-line block ×3, first 2 shown]
	s_cbranch_vccnz .LBB78_7
; %bb.1:
	v_lshl_add_u32 v2, v9, 4, v20
	v_and_b32_e32 v5, 31, v2
	v_lshrrev_b32_e32 v8, 5, v2
	v_and_b32_e32 v10, 7, v20
	v_lshrrev_b32_e32 v4, 3, v2
	v_mov_b32_e32 v3, s11
	v_or_b32_e32 v2, s10, v5
	v_cmp_gt_i64_e64 s[0:1], s[12:13], v[2:3]
	v_lshlrev_b32_e32 v2, 3, v10
	v_mov_b32_e32 v1, s29
	v_add_co_u32_e32 v0, vcc, s28, v4
	v_lshl_or_b32 v3, v4, 6, v2
	v_addc_co_u32_e32 v1, vcc, 0, v1, vcc
	v_add_u32_e32 v21, 0x800, v3
	v_mov_b32_e32 v3, 0x800
	v_cmp_gt_i64_e64 s[2:3], s[14:15], v[0:1]
	v_lshl_add_u32 v23, v9, 6, v3
	v_mul_lo_u32 v3, s37, v0
	v_mul_lo_u32 v4, s36, v1
	v_mad_u64_u32 v[0:1], s[34:35], s36, v0, 0
	s_mul_i32 s9, s39, s8
	s_mul_hi_u32 s33, s38, s8
	v_add3_u32 v1, v1, v4, v3
	s_add_i32 s35, s33, s9
	s_mul_i32 s34, s38, s8
	v_lshlrev_b64 v[0:1], 3, v[0:1]
	s_lshl_b64 s[34:35], s[34:35], 3
	v_mov_b32_e32 v3, s35
	v_add_co_u32_e32 v0, vcc, s34, v0
	v_addc_co_u32_e32 v1, vcc, v1, v3, vcc
	v_add_co_u32_e32 v0, vcc, v0, v2
	v_addc_co_u32_e32 v1, vcc, 0, v1, vcc
	v_mov_b32_e32 v2, s27
	v_add_co_u32_e32 v12, vcc, s26, v0
	v_addc_co_u32_e32 v13, vcc, v2, v1, vcc
	v_mad_u64_u32 v[0:1], s[26:27], s22, v8, 0
	s_mul_i32 s9, s25, s8
	s_mul_hi_u32 s25, s24, s8
	v_mov_b32_e32 v2, v1
	s_add_i32 s25, s25, s9
	s_mul_i32 s24, s24, s8
	v_mad_u64_u32 v[2:3], s[26:27], s23, v8, v[2:3]
	s_lshl_b64 s[24:25], s[24:25], 3
	s_lshl_b64 s[6:7], s[6:7], 8
	v_mov_b32_e32 v1, v2
	s_add_u32 s6, s6, s24
	v_lshlrev_b64 v[0:1], 3, v[0:1]
	s_addc_u32 s7, s7, s25
	v_mov_b32_e32 v2, s7
	v_add_co_u32_e32 v0, vcc, s6, v0
	v_lshlrev_b32_e32 v5, 3, v5
	v_addc_co_u32_e32 v1, vcc, v2, v1, vcc
	v_add_co_u32_e32 v0, vcc, v0, v5
	v_addc_co_u32_e32 v1, vcc, 0, v1, vcc
	v_mov_b32_e32 v2, s21
	v_add_co_u32_e32 v14, vcc, s20, v0
	v_pk_mov_b32 v[16:17], 0, 0
	v_lshl_or_b32 v11, v8, 8, v5
	v_lshlrev_b32_e32 v22, 3, v20
	v_addc_co_u32_e32 v15, vcc, v2, v1, vcc
	s_lshl_b64 s[6:7], s[22:23], 6
	v_pk_mov_b32 v[0:1], v[16:17], v[16:17] op_sel:[0,1]
	v_pk_mov_b32 v[2:3], v[16:17], v[16:17] op_sel:[0,1]
	v_pk_mov_b32 v[4:5], v[16:17], v[16:17] op_sel:[0,1]
	v_pk_mov_b32 v[6:7], v[16:17], v[16:17] op_sel:[0,1]
	s_branch .LBB78_3
.LBB78_2:                               ;   in Loop: Header=BB78_3 Depth=1
	s_or_b64 exec, exec, s[20:21]
	s_waitcnt vmcnt(0)
	ds_write_b64 v21, v[18:19]
	s_waitcnt lgkmcnt(0)
	s_barrier
	ds_read2_b64 v[24:27], v22 offset1:16
	ds_read_b128 v[28:31], v23
	ds_read_b128 v[32:35], v23 offset:16
	ds_read_b128 v[36:39], v23 offset:32
	;; [unrolled: 1-line block ×4, first 2 shown]
	ds_read2_b64 v[48:51], v22 offset0:32 offset1:48
	s_waitcnt lgkmcnt(5)
	v_fmac_f64_e32 v[6:7], v[24:25], v[28:29]
	v_fmac_f64_e32 v[4:5], v[26:27], v[28:29]
	ds_read_b128 v[52:55], v23 offset:1040
	s_waitcnt lgkmcnt(2)
	v_fmac_f64_e32 v[2:3], v[24:25], v[44:45]
	v_fmac_f64_e32 v[0:1], v[26:27], v[44:45]
	ds_read2_b64 v[24:27], v22 offset0:64 offset1:80
	s_waitcnt lgkmcnt(2)
	v_fmac_f64_e32 v[6:7], v[48:49], v[30:31]
	v_fmac_f64_e32 v[4:5], v[50:51], v[30:31]
	ds_read2_b64 v[28:31], v22 offset0:96 offset1:112
	v_fmac_f64_e32 v[2:3], v[48:49], v[46:47]
	v_fmac_f64_e32 v[0:1], v[50:51], v[46:47]
	ds_read_b128 v[44:47], v23 offset:1072
	s_waitcnt lgkmcnt(2)
	v_fmac_f64_e32 v[6:7], v[24:25], v[32:33]
	v_fmac_f64_e32 v[4:5], v[26:27], v[32:33]
	;; [unrolled: 1-line block ×4, first 2 shown]
	s_waitcnt lgkmcnt(1)
	v_fmac_f64_e32 v[6:7], v[28:29], v[34:35]
	ds_read2_b64 v[24:27], v22 offset0:128 offset1:144
	v_fmac_f64_e32 v[4:5], v[30:31], v[34:35]
	v_fmac_f64_e32 v[2:3], v[28:29], v[54:55]
	;; [unrolled: 1-line block ×3, first 2 shown]
	ds_read_b128 v[28:31], v23 offset:1056
	ds_read2_b64 v[32:35], v22 offset0:160 offset1:176
	s_waitcnt lgkmcnt(2)
	v_fmac_f64_e32 v[6:7], v[24:25], v[36:37]
	v_fmac_f64_e32 v[4:5], v[26:27], v[36:37]
	v_add_co_u32_e32 v12, vcc, 64, v12
	s_waitcnt lgkmcnt(1)
	v_fmac_f64_e32 v[2:3], v[24:25], v[28:29]
	v_fmac_f64_e32 v[0:1], v[26:27], v[28:29]
	ds_read2_b64 v[24:27], v22 offset0:192 offset1:208
	s_waitcnt lgkmcnt(1)
	v_fmac_f64_e32 v[2:3], v[32:33], v[30:31]
	v_fmac_f64_e32 v[0:1], v[34:35], v[30:31]
	ds_read2_b64 v[28:31], v22 offset0:224 offset1:240
	v_addc_co_u32_e32 v13, vcc, 0, v13, vcc
	s_add_u32 s30, s30, 8
	v_mov_b32_e32 v18, s7
	v_add_co_u32_e32 v14, vcc, s6, v14
	v_fmac_f64_e32 v[6:7], v[32:33], v[38:39]
	v_fmac_f64_e32 v[4:5], v[34:35], v[38:39]
	s_addc_u32 s31, s31, 0
	v_addc_co_u32_e32 v15, vcc, v15, v18, vcc
	v_pk_mov_b32 v[18:19], s[16:17], s[16:17] op_sel:[0,1]
	s_waitcnt lgkmcnt(1)
	v_fmac_f64_e32 v[6:7], v[24:25], v[40:41]
	v_fmac_f64_e32 v[4:5], v[26:27], v[40:41]
	;; [unrolled: 1-line block ×4, first 2 shown]
	v_cmp_lt_i64_e32 vcc, s[30:31], v[18:19]
	s_waitcnt lgkmcnt(0)
	v_fmac_f64_e32 v[6:7], v[28:29], v[42:43]
	v_fmac_f64_e32 v[4:5], v[30:31], v[42:43]
	;; [unrolled: 1-line block ×4, first 2 shown]
	s_barrier
	s_cbranch_vccz .LBB78_7
.LBB78_3:                               ; =>This Inner Loop Header: Depth=1
	v_mov_b32_e32 v19, s31
	v_add_co_u32_e32 v18, vcc, s30, v8
	v_addc_co_u32_e32 v19, vcc, 0, v19, vcc
	v_cmp_gt_i64_e32 vcc, s[16:17], v[18:19]
	s_and_b64 s[22:23], s[0:1], vcc
	v_pk_mov_b32 v[18:19], v[16:17], v[16:17] op_sel:[0,1]
	s_and_saveexec_b64 s[20:21], s[22:23]
	s_cbranch_execz .LBB78_5
; %bb.4:                                ;   in Loop: Header=BB78_3 Depth=1
	global_load_dwordx2 v[18:19], v[14:15], off
.LBB78_5:                               ;   in Loop: Header=BB78_3 Depth=1
	s_or_b64 exec, exec, s[20:21]
	s_waitcnt vmcnt(0)
	ds_write_b64 v11, v[18:19]
	v_mov_b32_e32 v19, s31
	v_add_co_u32_e32 v18, vcc, s30, v10
	v_addc_co_u32_e32 v19, vcc, 0, v19, vcc
	v_cmp_gt_i64_e32 vcc, s[16:17], v[18:19]
	s_and_b64 s[22:23], vcc, s[2:3]
	v_pk_mov_b32 v[18:19], v[16:17], v[16:17] op_sel:[0,1]
	s_and_saveexec_b64 s[20:21], s[22:23]
	s_cbranch_execz .LBB78_2
; %bb.6:                                ;   in Loop: Header=BB78_3 Depth=1
	global_load_dwordx2 v[18:19], v[12:13], off
	s_branch .LBB78_2
.LBB78_7:
	s_load_dwordx2 s[0:1], s[4:5], 0x80
	v_mov_b32_e32 v10, s29
	v_add_co_u32_e32 v8, vcc, s28, v9
	v_addc_co_u32_e32 v9, vcc, 0, v10, vcc
	s_waitcnt lgkmcnt(0)
	s_mul_i32 s1, s8, s1
	s_mul_hi_u32 s2, s8, s0
	s_mul_i32 s0, s8, s0
	s_add_i32 s1, s2, s1
	s_lshl_b64 s[0:1], s[0:1], 3
	s_add_u32 s9, s48, s0
	v_cmp_neq_f64_e64 s[2:3], s[40:41], 0
	s_addc_u32 s20, s49, s1
	v_cmp_gt_i64_e64 s[0:1], s[14:15], v[8:9]
	s_and_b64 vcc, exec, s[2:3]
	s_cbranch_vccnz .LBB78_20
; %bb.8:
	s_and_saveexec_b64 s[6:7], s[0:1]
	s_cbranch_execz .LBB78_18
; %bb.9:
	v_mov_b32_e32 v10, s11
	v_add_co_u32_e32 v12, vcc, s10, v20
	v_addc_co_u32_e32 v13, vcc, 0, v10, vcc
	v_mul_lo_u32 v14, v9, s50
	v_mul_lo_u32 v15, v8, s51
	v_mad_u64_u32 v[10:11], s[2:3], v8, s50, 0
	v_add3_u32 v11, v11, v15, v14
	v_lshlrev_b64 v[10:11], 3, v[10:11]
	v_mov_b32_e32 v15, s20
	v_add_co_u32_e64 v14, s[2:3], s9, v10
	v_cmp_gt_i64_e32 vcc, s[12:13], v[12:13]
	v_addc_co_u32_e64 v15, s[2:3], v15, v11, s[2:3]
	v_lshlrev_b64 v[10:11], 3, v[12:13]
	s_and_saveexec_b64 s[4:5], vcc
	s_cbranch_execz .LBB78_11
; %bb.10:
	v_add_co_u32_e64 v16, s[2:3], v14, v10
	v_addc_co_u32_e64 v17, s[2:3], v15, v11, s[2:3]
	v_mul_f64 v[18:19], v[6:7], s[18:19]
	global_store_dwordx2 v[16:17], v[18:19], off
.LBB78_11:
	s_or_b64 exec, exec, s[4:5]
	v_add_co_u32_e64 v12, s[2:3], 16, v12
	v_addc_co_u32_e64 v13, s[2:3], 0, v13, s[2:3]
	v_cmp_gt_i64_e64 s[2:3], s[12:13], v[12:13]
	s_and_saveexec_b64 s[16:17], s[2:3]
	s_cbranch_execz .LBB78_13
; %bb.12:
	v_add_co_u32_e64 v12, s[4:5], v14, v10
	v_addc_co_u32_e64 v13, s[4:5], v15, v11, s[4:5]
	v_mul_f64 v[16:17], v[4:5], s[18:19]
	global_store_dwordx2 v[12:13], v[16:17], off offset:128
.LBB78_13:
	s_or_b64 exec, exec, s[16:17]
	v_add_co_u32_e64 v12, s[4:5], 16, v8
	v_addc_co_u32_e64 v13, s[4:5], 0, v9, s[4:5]
	v_cmp_gt_i64_e64 s[4:5], s[14:15], v[12:13]
	s_and_b64 exec, exec, s[4:5]
	s_cbranch_execz .LBB78_18
; %bb.14:
	s_lshl_b64 s[4:5], s[50:51], 7
	v_mov_b32_e32 v12, s5
	v_add_co_u32_e64 v13, s[4:5], s4, v14
	v_addc_co_u32_e64 v12, s[4:5], v15, v12, s[4:5]
	v_add_co_u32_e64 v10, s[4:5], v13, v10
	v_addc_co_u32_e64 v11, s[4:5], v12, v11, s[4:5]
	s_and_saveexec_b64 s[4:5], vcc
	s_cbranch_execz .LBB78_16
; %bb.15:
	v_mul_f64 v[12:13], v[2:3], s[18:19]
	global_store_dwordx2 v[10:11], v[12:13], off
.LBB78_16:
	s_or_b64 exec, exec, s[4:5]
	s_and_b64 exec, exec, s[2:3]
	s_cbranch_execz .LBB78_18
; %bb.17:
	v_mul_f64 v[12:13], v[0:1], s[18:19]
	global_store_dwordx2 v[10:11], v[12:13], off offset:128
.LBB78_18:
	s_or_b64 exec, exec, s[6:7]
	s_cbranch_execz .LBB78_21
.LBB78_19:
	s_endpgm
.LBB78_20:
.LBB78_21:
	s_and_saveexec_b64 s[2:3], s[0:1]
	s_cbranch_execz .LBB78_19
; %bb.22:
	s_mul_i32 s0, s8, s47
	s_mul_hi_u32 s1, s8, s46
	s_add_i32 s1, s1, s0
	s_mul_i32 s0, s8, s46
	s_lshl_b64 s[0:1], s[0:1], 3
	s_add_u32 s2, s42, s0
	v_mov_b32_e32 v10, s11
	v_add_co_u32_e32 v12, vcc, s10, v20
	s_addc_u32 s3, s43, s1
	v_addc_co_u32_e32 v13, vcc, 0, v10, vcc
	v_mul_lo_u32 v14, v9, s44
	v_mul_lo_u32 v15, v8, s45
	v_mad_u64_u32 v[10:11], s[0:1], v8, s44, 0
	v_add3_u32 v11, v11, v15, v14
	v_mul_lo_u32 v14, v9, s50
	v_mul_lo_u32 v15, v8, s51
	v_mad_u64_u32 v[16:17], s[0:1], v8, s50, 0
	v_lshlrev_b64 v[10:11], 3, v[10:11]
	v_add3_u32 v17, v17, v15, v14
	v_mov_b32_e32 v15, s3
	v_add_co_u32_e64 v14, s[0:1], s2, v10
	v_addc_co_u32_e64 v15, s[0:1], v15, v11, s[0:1]
	v_lshlrev_b64 v[10:11], 3, v[16:17]
	v_mov_b32_e32 v17, s20
	v_add_co_u32_e64 v16, s[0:1], s9, v10
	v_cmp_gt_i64_e32 vcc, s[12:13], v[12:13]
	v_addc_co_u32_e64 v17, s[0:1], v17, v11, s[0:1]
	v_lshlrev_b64 v[10:11], 3, v[12:13]
	s_and_saveexec_b64 s[2:3], vcc
	s_cbranch_execz .LBB78_24
; %bb.23:
	v_add_co_u32_e64 v18, s[0:1], v14, v10
	v_addc_co_u32_e64 v19, s[0:1], v15, v11, s[0:1]
	global_load_dwordx2 v[18:19], v[18:19], off
	s_waitcnt vmcnt(0)
	v_mul_f64 v[18:19], v[18:19], s[40:41]
	v_fmac_f64_e32 v[18:19], s[18:19], v[6:7]
	v_add_co_u32_e64 v6, s[0:1], v16, v10
	v_addc_co_u32_e64 v7, s[0:1], v17, v11, s[0:1]
	global_store_dwordx2 v[6:7], v[18:19], off
.LBB78_24:
	s_or_b64 exec, exec, s[2:3]
	v_add_co_u32_e64 v6, s[0:1], 16, v12
	v_addc_co_u32_e64 v7, s[0:1], 0, v13, s[0:1]
	v_cmp_gt_i64_e64 s[0:1], s[12:13], v[6:7]
	s_and_saveexec_b64 s[4:5], s[0:1]
	s_cbranch_execz .LBB78_26
; %bb.25:
	v_add_co_u32_e64 v6, s[2:3], v14, v10
	v_addc_co_u32_e64 v7, s[2:3], v15, v11, s[2:3]
	global_load_dwordx2 v[6:7], v[6:7], off offset:128
	s_waitcnt vmcnt(0)
	v_mul_f64 v[6:7], v[6:7], s[40:41]
	v_fmac_f64_e32 v[6:7], s[18:19], v[4:5]
	v_add_co_u32_e64 v4, s[2:3], v16, v10
	v_addc_co_u32_e64 v5, s[2:3], v17, v11, s[2:3]
	global_store_dwordx2 v[4:5], v[6:7], off offset:128
.LBB78_26:
	s_or_b64 exec, exec, s[4:5]
	v_add_co_u32_e64 v4, s[2:3], 16, v8
	v_addc_co_u32_e64 v5, s[2:3], 0, v9, s[2:3]
	v_cmp_gt_i64_e64 s[2:3], s[14:15], v[4:5]
	s_and_b64 exec, exec, s[2:3]
	s_cbranch_execz .LBB78_19
; %bb.27:
	s_lshl_b64 s[2:3], s[44:45], 7
	v_mov_b32_e32 v4, s3
	v_add_co_u32_e64 v5, s[2:3], s2, v14
	v_addc_co_u32_e64 v6, s[2:3], v15, v4, s[2:3]
	s_lshl_b64 s[2:3], s[50:51], 7
	v_mov_b32_e32 v4, s3
	v_add_co_u32_e64 v7, s[2:3], s2, v16
	v_addc_co_u32_e64 v8, s[2:3], v17, v4, s[2:3]
	v_add_co_u32_e64 v4, s[2:3], v5, v10
	v_addc_co_u32_e64 v5, s[2:3], v6, v11, s[2:3]
	v_add_co_u32_e64 v6, s[2:3], v7, v10
	v_addc_co_u32_e64 v7, s[2:3], v8, v11, s[2:3]
	s_and_saveexec_b64 s[2:3], vcc
	s_cbranch_execz .LBB78_29
; %bb.28:
	global_load_dwordx2 v[8:9], v[4:5], off
	s_waitcnt vmcnt(0)
	v_mul_f64 v[8:9], v[8:9], s[40:41]
	v_fmac_f64_e32 v[8:9], s[18:19], v[2:3]
	global_store_dwordx2 v[6:7], v[8:9], off
.LBB78_29:
	s_or_b64 exec, exec, s[2:3]
	s_and_b64 exec, exec, s[0:1]
	s_cbranch_execz .LBB78_19
; %bb.30:
	global_load_dwordx2 v[2:3], v[4:5], off offset:128
	s_waitcnt vmcnt(0)
	v_mul_f64 v[2:3], v[2:3], s[40:41]
	v_fmac_f64_e32 v[2:3], s[18:19], v[0:1]
	global_store_dwordx2 v[6:7], v[2:3], off offset:128
	s_endpgm
	.section	.rodata,"a",@progbits
	.p2align	6, 0x0
	.amdhsa_kernel _ZN12_GLOBAL__N_135rocblas_gemm_batched_general_kernelIdLi16ELi16ELi32ELi32ELi8ELi32ELi8ELi8ELi32ELc78ELc78EKdS1_dEEvlllT_PT11_llS4_llS2_PT12_llPT13_lli
		.amdhsa_group_segment_fixed_size 4096
		.amdhsa_private_segment_fixed_size 0
		.amdhsa_kernarg_size 140
		.amdhsa_user_sgpr_count 6
		.amdhsa_user_sgpr_private_segment_buffer 1
		.amdhsa_user_sgpr_dispatch_ptr 0
		.amdhsa_user_sgpr_queue_ptr 0
		.amdhsa_user_sgpr_kernarg_segment_ptr 1
		.amdhsa_user_sgpr_dispatch_id 0
		.amdhsa_user_sgpr_flat_scratch_init 0
		.amdhsa_user_sgpr_kernarg_preload_length 0
		.amdhsa_user_sgpr_kernarg_preload_offset 0
		.amdhsa_user_sgpr_private_segment_size 0
		.amdhsa_uses_dynamic_stack 0
		.amdhsa_system_sgpr_private_segment_wavefront_offset 0
		.amdhsa_system_sgpr_workgroup_id_x 1
		.amdhsa_system_sgpr_workgroup_id_y 1
		.amdhsa_system_sgpr_workgroup_id_z 1
		.amdhsa_system_sgpr_workgroup_info 0
		.amdhsa_system_vgpr_workitem_id 1
		.amdhsa_next_free_vgpr 56
		.amdhsa_next_free_sgpr 52
		.amdhsa_accum_offset 56
		.amdhsa_reserve_vcc 1
		.amdhsa_reserve_flat_scratch 0
		.amdhsa_float_round_mode_32 0
		.amdhsa_float_round_mode_16_64 0
		.amdhsa_float_denorm_mode_32 3
		.amdhsa_float_denorm_mode_16_64 3
		.amdhsa_dx10_clamp 1
		.amdhsa_ieee_mode 1
		.amdhsa_fp16_overflow 0
		.amdhsa_tg_split 0
		.amdhsa_exception_fp_ieee_invalid_op 0
		.amdhsa_exception_fp_denorm_src 0
		.amdhsa_exception_fp_ieee_div_zero 0
		.amdhsa_exception_fp_ieee_overflow 0
		.amdhsa_exception_fp_ieee_underflow 0
		.amdhsa_exception_fp_ieee_inexact 0
		.amdhsa_exception_int_div_zero 0
	.end_amdhsa_kernel
	.section	.text._ZN12_GLOBAL__N_135rocblas_gemm_batched_general_kernelIdLi16ELi16ELi32ELi32ELi8ELi32ELi8ELi8ELi32ELc78ELc78EKdS1_dEEvlllT_PT11_llS4_llS2_PT12_llPT13_lli,"axG",@progbits,_ZN12_GLOBAL__N_135rocblas_gemm_batched_general_kernelIdLi16ELi16ELi32ELi32ELi8ELi32ELi8ELi8ELi32ELc78ELc78EKdS1_dEEvlllT_PT11_llS4_llS2_PT12_llPT13_lli,comdat
.Lfunc_end78:
	.size	_ZN12_GLOBAL__N_135rocblas_gemm_batched_general_kernelIdLi16ELi16ELi32ELi32ELi8ELi32ELi8ELi8ELi32ELc78ELc78EKdS1_dEEvlllT_PT11_llS4_llS2_PT12_llPT13_lli, .Lfunc_end78-_ZN12_GLOBAL__N_135rocblas_gemm_batched_general_kernelIdLi16ELi16ELi32ELi32ELi8ELi32ELi8ELi8ELi32ELc78ELc78EKdS1_dEEvlllT_PT11_llS4_llS2_PT12_llPT13_lli
                                        ; -- End function
	.section	.AMDGPU.csdata,"",@progbits
; Kernel info:
; codeLenInByte = 1904
; NumSgprs: 56
; NumVgprs: 56
; NumAgprs: 0
; TotalNumVgprs: 56
; ScratchSize: 0
; MemoryBound: 0
; FloatMode: 240
; IeeeMode: 1
; LDSByteSize: 4096 bytes/workgroup (compile time only)
; SGPRBlocks: 6
; VGPRBlocks: 6
; NumSGPRsForWavesPerEU: 56
; NumVGPRsForWavesPerEU: 56
; AccumOffset: 56
; Occupancy: 8
; WaveLimiterHint : 0
; COMPUTE_PGM_RSRC2:SCRATCH_EN: 0
; COMPUTE_PGM_RSRC2:USER_SGPR: 6
; COMPUTE_PGM_RSRC2:TRAP_HANDLER: 0
; COMPUTE_PGM_RSRC2:TGID_X_EN: 1
; COMPUTE_PGM_RSRC2:TGID_Y_EN: 1
; COMPUTE_PGM_RSRC2:TGID_Z_EN: 1
; COMPUTE_PGM_RSRC2:TIDIG_COMP_CNT: 1
; COMPUTE_PGM_RSRC3_GFX90A:ACCUM_OFFSET: 13
; COMPUTE_PGM_RSRC3_GFX90A:TG_SPLIT: 0
	.section	.text._ZN12_GLOBAL__N_135rocblas_gemm_batched_general_kernelIdLi16ELi16ELi32ELi32ELi8ELi32ELi8ELi8ELi32ELc84ELc78EKdS1_dEEvlllT_PT11_llS4_llS2_PT12_llPT13_lli,"axG",@progbits,_ZN12_GLOBAL__N_135rocblas_gemm_batched_general_kernelIdLi16ELi16ELi32ELi32ELi8ELi32ELi8ELi8ELi32ELc84ELc78EKdS1_dEEvlllT_PT11_llS4_llS2_PT12_llPT13_lli,comdat
	.globl	_ZN12_GLOBAL__N_135rocblas_gemm_batched_general_kernelIdLi16ELi16ELi32ELi32ELi8ELi32ELi8ELi8ELi32ELc84ELc78EKdS1_dEEvlllT_PT11_llS4_llS2_PT12_llPT13_lli ; -- Begin function _ZN12_GLOBAL__N_135rocblas_gemm_batched_general_kernelIdLi16ELi16ELi32ELi32ELi8ELi32ELi8ELi8ELi32ELc84ELc78EKdS1_dEEvlllT_PT11_llS4_llS2_PT12_llPT13_lli
	.p2align	8
	.type	_ZN12_GLOBAL__N_135rocblas_gemm_batched_general_kernelIdLi16ELi16ELi32ELi32ELi8ELi32ELi8ELi8ELi32ELc84ELc78EKdS1_dEEvlllT_PT11_llS4_llS2_PT12_llPT13_lli,@function
_ZN12_GLOBAL__N_135rocblas_gemm_batched_general_kernelIdLi16ELi16ELi32ELi32ELi8ELi32ELi8ELi8ELi32ELc84ELc78EKdS1_dEEvlllT_PT11_llS4_llS2_PT12_llPT13_lli: ; @_ZN12_GLOBAL__N_135rocblas_gemm_batched_general_kernelIdLi16ELi16ELi32ELi32ELi8ELi32ELi8ELi8ELi32ELc84ELc78EKdS1_dEEvlllT_PT11_llS4_llS2_PT12_llPT13_lli
; %bb.0:
	s_load_dwordx16 s[12:27], s[4:5], 0x0
	s_load_dwordx16 s[36:51], s[4:5], 0x40
	s_mov_b32 s0, s7
	s_ashr_i32 s1, s0, 31
	s_ashr_i32 s7, s6, 31
	s_lshl_b64 s[10:11], s[0:1], 5
	s_waitcnt lgkmcnt(0)
	v_cmp_lt_i64_e64 s[0:1], s[16:17], 1
	v_pk_mov_b32 v[6:7], 0, 0
	v_and_b32_e32 v22, 0x3ff, v0
	v_bfe_u32 v9, v0, 10, 10
	s_lshl_b64 s[6:7], s[6:7], 5
	s_mov_b64 s[28:29], 0
	s_and_b64 vcc, exec, s[0:1]
	v_pk_mov_b32 v[4:5], v[6:7], v[6:7] op_sel:[0,1]
	v_pk_mov_b32 v[2:3], v[6:7], v[6:7] op_sel:[0,1]
	;; [unrolled: 1-line block ×3, first 2 shown]
	s_cbranch_vccnz .LBB79_7
; %bb.1:
	v_lshl_add_u32 v2, v9, 4, v22
	v_and_b32_e32 v5, 31, v2
	v_lshrrev_b32_e32 v8, 5, v2
	v_lshrrev_b32_e32 v4, 3, v2
	v_mov_b32_e32 v3, s7
	v_or_b32_e32 v2, s6, v5
	v_and_b32_e32 v10, 7, v22
	v_cmp_gt_i64_e64 s[0:1], s[12:13], v[2:3]
	v_lshlrev_b32_e32 v2, 3, v5
	v_lshl_or_b32 v11, v8, 8, v2
	v_lshlrev_b32_e32 v2, 3, v10
	v_mov_b32_e32 v1, s11
	v_add_co_u32_e32 v0, vcc, s10, v4
	v_lshl_or_b32 v3, v4, 6, v2
	v_addc_co_u32_e32 v1, vcc, 0, v1, vcc
	v_add_u32_e32 v23, 0x800, v3
	v_mov_b32_e32 v3, 0x800
	v_cmp_gt_i64_e64 s[2:3], s[14:15], v[0:1]
	v_lshl_add_u32 v25, v9, 6, v3
	v_mul_lo_u32 v3, s37, v0
	v_mul_lo_u32 v4, s36, v1
	v_mad_u64_u32 v[0:1], s[30:31], s36, v0, 0
	s_mul_i32 s9, s39, s8
	s_mul_hi_u32 s30, s38, s8
	v_add3_u32 v1, v1, v4, v3
	s_add_i32 s31, s30, s9
	s_mul_i32 s30, s38, s8
	v_lshlrev_b64 v[0:1], 3, v[0:1]
	s_lshl_b64 s[30:31], s[30:31], 3
	v_mov_b32_e32 v3, s31
	v_add_co_u32_e32 v0, vcc, s30, v0
	v_addc_co_u32_e32 v1, vcc, v1, v3, vcc
	v_add_co_u32_e32 v0, vcc, v0, v2
	v_addc_co_u32_e32 v1, vcc, 0, v1, vcc
	v_mov_b32_e32 v2, s27
	v_add_co_u32_e32 v12, vcc, s26, v0
	v_addc_co_u32_e32 v13, vcc, v2, v1, vcc
	v_mov_b32_e32 v0, s7
	v_add_co_u32_e32 v1, vcc, s6, v5
	v_addc_co_u32_e32 v0, vcc, 0, v0, vcc
	v_mul_lo_u32 v2, s23, v1
	v_mul_lo_u32 v3, s22, v0
	v_mad_u64_u32 v[0:1], s[22:23], s22, v1, 0
	s_mul_i32 s9, s25, s8
	s_mul_hi_u32 s22, s24, s8
	v_add3_u32 v1, v1, v3, v2
	s_add_i32 s23, s22, s9
	s_mul_i32 s22, s24, s8
	v_lshlrev_b64 v[0:1], 3, v[0:1]
	s_lshl_b64 s[22:23], s[22:23], 3
	v_mov_b32_e32 v2, s23
	v_add_co_u32_e32 v0, vcc, s22, v0
	v_addc_co_u32_e32 v1, vcc, v1, v2, vcc
	v_lshlrev_b32_e32 v2, 3, v8
	v_add_co_u32_e32 v0, vcc, v0, v2
	v_addc_co_u32_e32 v1, vcc, 0, v1, vcc
	v_mov_b32_e32 v2, s21
	v_add_co_u32_e32 v14, vcc, s20, v0
	v_pk_mov_b32 v[16:17], 0, 0
	v_lshlrev_b32_e32 v24, 3, v22
	v_addc_co_u32_e32 v15, vcc, v2, v1, vcc
	v_pk_mov_b32 v[18:19], s[16:17], s[16:17] op_sel:[0,1]
	v_pk_mov_b32 v[0:1], v[16:17], v[16:17] op_sel:[0,1]
	;; [unrolled: 1-line block ×5, first 2 shown]
	s_branch .LBB79_3
.LBB79_2:                               ;   in Loop: Header=BB79_3 Depth=1
	s_or_b64 exec, exec, s[20:21]
	s_waitcnt vmcnt(0)
	ds_write_b64 v23, v[20:21]
	s_waitcnt lgkmcnt(0)
	s_barrier
	ds_read2_b64 v[26:29], v24 offset1:16
	ds_read_b128 v[30:33], v25
	ds_read_b128 v[34:37], v25 offset:16
	ds_read_b128 v[38:41], v25 offset:32
	;; [unrolled: 1-line block ×4, first 2 shown]
	ds_read2_b64 v[50:53], v24 offset0:32 offset1:48
	s_waitcnt lgkmcnt(5)
	v_fmac_f64_e32 v[6:7], v[26:27], v[30:31]
	v_fmac_f64_e32 v[4:5], v[28:29], v[30:31]
	ds_read_b128 v[54:57], v25 offset:1040
	s_waitcnt lgkmcnt(2)
	v_fmac_f64_e32 v[2:3], v[26:27], v[46:47]
	v_fmac_f64_e32 v[0:1], v[28:29], v[46:47]
	ds_read2_b64 v[26:29], v24 offset0:64 offset1:80
	s_waitcnt lgkmcnt(2)
	v_fmac_f64_e32 v[6:7], v[50:51], v[32:33]
	v_fmac_f64_e32 v[4:5], v[52:53], v[32:33]
	ds_read2_b64 v[30:33], v24 offset0:96 offset1:112
	v_fmac_f64_e32 v[2:3], v[50:51], v[48:49]
	v_fmac_f64_e32 v[0:1], v[52:53], v[48:49]
	ds_read_b128 v[46:49], v25 offset:1072
	s_waitcnt lgkmcnt(2)
	v_fmac_f64_e32 v[6:7], v[26:27], v[34:35]
	v_fmac_f64_e32 v[4:5], v[28:29], v[34:35]
	;; [unrolled: 1-line block ×4, first 2 shown]
	s_waitcnt lgkmcnt(1)
	v_fmac_f64_e32 v[6:7], v[30:31], v[36:37]
	ds_read2_b64 v[26:29], v24 offset0:128 offset1:144
	v_fmac_f64_e32 v[4:5], v[32:33], v[36:37]
	v_fmac_f64_e32 v[2:3], v[30:31], v[56:57]
	;; [unrolled: 1-line block ×3, first 2 shown]
	ds_read_b128 v[30:33], v25 offset:1056
	ds_read2_b64 v[34:37], v24 offset0:160 offset1:176
	s_waitcnt lgkmcnt(2)
	v_fmac_f64_e32 v[6:7], v[26:27], v[38:39]
	v_fmac_f64_e32 v[4:5], v[28:29], v[38:39]
	v_add_co_u32_e32 v12, vcc, 64, v12
	s_waitcnt lgkmcnt(1)
	v_fmac_f64_e32 v[2:3], v[26:27], v[30:31]
	v_fmac_f64_e32 v[0:1], v[28:29], v[30:31]
	ds_read2_b64 v[26:29], v24 offset0:192 offset1:208
	s_waitcnt lgkmcnt(1)
	v_fmac_f64_e32 v[2:3], v[34:35], v[32:33]
	v_fmac_f64_e32 v[0:1], v[36:37], v[32:33]
	ds_read2_b64 v[30:33], v24 offset0:224 offset1:240
	v_addc_co_u32_e32 v13, vcc, 0, v13, vcc
	s_add_u32 s28, s28, 8
	v_add_co_u32_e32 v14, vcc, 64, v14
	v_fmac_f64_e32 v[6:7], v[34:35], v[40:41]
	v_fmac_f64_e32 v[4:5], v[36:37], v[40:41]
	s_addc_u32 s29, s29, 0
	v_addc_co_u32_e32 v15, vcc, 0, v15, vcc
	s_waitcnt lgkmcnt(1)
	v_fmac_f64_e32 v[6:7], v[26:27], v[42:43]
	v_fmac_f64_e32 v[4:5], v[28:29], v[42:43]
	;; [unrolled: 1-line block ×4, first 2 shown]
	v_cmp_lt_i64_e32 vcc, s[28:29], v[18:19]
	s_waitcnt lgkmcnt(0)
	v_fmac_f64_e32 v[6:7], v[30:31], v[44:45]
	v_fmac_f64_e32 v[4:5], v[32:33], v[44:45]
	;; [unrolled: 1-line block ×4, first 2 shown]
	s_barrier
	s_cbranch_vccz .LBB79_7
.LBB79_3:                               ; =>This Inner Loop Header: Depth=1
	v_mov_b32_e32 v21, s29
	v_add_co_u32_e32 v20, vcc, s28, v8
	v_addc_co_u32_e32 v21, vcc, 0, v21, vcc
	v_cmp_gt_i64_e32 vcc, s[16:17], v[20:21]
	s_and_b64 s[22:23], s[0:1], vcc
	v_pk_mov_b32 v[20:21], v[16:17], v[16:17] op_sel:[0,1]
	s_and_saveexec_b64 s[20:21], s[22:23]
	s_cbranch_execz .LBB79_5
; %bb.4:                                ;   in Loop: Header=BB79_3 Depth=1
	global_load_dwordx2 v[20:21], v[14:15], off
.LBB79_5:                               ;   in Loop: Header=BB79_3 Depth=1
	s_or_b64 exec, exec, s[20:21]
	s_waitcnt vmcnt(0)
	ds_write_b64 v11, v[20:21]
	v_mov_b32_e32 v21, s29
	v_add_co_u32_e32 v20, vcc, s28, v10
	v_addc_co_u32_e32 v21, vcc, 0, v21, vcc
	v_cmp_gt_i64_e32 vcc, s[16:17], v[20:21]
	s_and_b64 s[22:23], vcc, s[2:3]
	v_pk_mov_b32 v[20:21], v[16:17], v[16:17] op_sel:[0,1]
	s_and_saveexec_b64 s[20:21], s[22:23]
	s_cbranch_execz .LBB79_2
; %bb.6:                                ;   in Loop: Header=BB79_3 Depth=1
	global_load_dwordx2 v[20:21], v[12:13], off
	s_branch .LBB79_2
.LBB79_7:
	s_load_dwordx2 s[0:1], s[4:5], 0x80
	v_mov_b32_e32 v10, s11
	v_add_co_u32_e32 v8, vcc, s10, v9
	v_addc_co_u32_e32 v9, vcc, 0, v10, vcc
	s_waitcnt lgkmcnt(0)
	s_mul_i32 s1, s8, s1
	s_mul_hi_u32 s2, s8, s0
	s_mul_i32 s0, s8, s0
	s_add_i32 s1, s2, s1
	s_lshl_b64 s[0:1], s[0:1], 3
	s_add_u32 s9, s48, s0
	v_cmp_neq_f64_e64 s[2:3], s[40:41], 0
	s_addc_u32 s20, s49, s1
	v_cmp_gt_i64_e64 s[0:1], s[14:15], v[8:9]
	s_and_b64 vcc, exec, s[2:3]
	s_cbranch_vccnz .LBB79_20
; %bb.8:
	s_and_saveexec_b64 s[10:11], s[0:1]
	s_cbranch_execz .LBB79_18
; %bb.9:
	v_mov_b32_e32 v10, s7
	v_add_co_u32_e32 v12, vcc, s6, v22
	v_addc_co_u32_e32 v13, vcc, 0, v10, vcc
	v_mul_lo_u32 v14, v9, s50
	v_mul_lo_u32 v15, v8, s51
	v_mad_u64_u32 v[10:11], s[2:3], v8, s50, 0
	v_add3_u32 v11, v11, v15, v14
	v_lshlrev_b64 v[10:11], 3, v[10:11]
	v_mov_b32_e32 v15, s20
	v_add_co_u32_e64 v14, s[2:3], s9, v10
	v_cmp_gt_i64_e32 vcc, s[12:13], v[12:13]
	v_addc_co_u32_e64 v15, s[2:3], v15, v11, s[2:3]
	v_lshlrev_b64 v[10:11], 3, v[12:13]
	s_and_saveexec_b64 s[4:5], vcc
	s_cbranch_execz .LBB79_11
; %bb.10:
	v_add_co_u32_e64 v16, s[2:3], v14, v10
	v_addc_co_u32_e64 v17, s[2:3], v15, v11, s[2:3]
	v_mul_f64 v[18:19], v[6:7], s[18:19]
	global_store_dwordx2 v[16:17], v[18:19], off
.LBB79_11:
	s_or_b64 exec, exec, s[4:5]
	v_add_co_u32_e64 v12, s[2:3], 16, v12
	v_addc_co_u32_e64 v13, s[2:3], 0, v13, s[2:3]
	v_cmp_gt_i64_e64 s[2:3], s[12:13], v[12:13]
	s_and_saveexec_b64 s[16:17], s[2:3]
	s_cbranch_execz .LBB79_13
; %bb.12:
	v_add_co_u32_e64 v12, s[4:5], v14, v10
	v_addc_co_u32_e64 v13, s[4:5], v15, v11, s[4:5]
	v_mul_f64 v[16:17], v[4:5], s[18:19]
	global_store_dwordx2 v[12:13], v[16:17], off offset:128
.LBB79_13:
	s_or_b64 exec, exec, s[16:17]
	v_add_co_u32_e64 v12, s[4:5], 16, v8
	v_addc_co_u32_e64 v13, s[4:5], 0, v9, s[4:5]
	v_cmp_gt_i64_e64 s[4:5], s[14:15], v[12:13]
	s_and_b64 exec, exec, s[4:5]
	s_cbranch_execz .LBB79_18
; %bb.14:
	s_lshl_b64 s[4:5], s[50:51], 7
	v_mov_b32_e32 v12, s5
	v_add_co_u32_e64 v13, s[4:5], s4, v14
	v_addc_co_u32_e64 v12, s[4:5], v15, v12, s[4:5]
	v_add_co_u32_e64 v10, s[4:5], v13, v10
	v_addc_co_u32_e64 v11, s[4:5], v12, v11, s[4:5]
	s_and_saveexec_b64 s[4:5], vcc
	s_cbranch_execz .LBB79_16
; %bb.15:
	v_mul_f64 v[12:13], v[2:3], s[18:19]
	global_store_dwordx2 v[10:11], v[12:13], off
.LBB79_16:
	s_or_b64 exec, exec, s[4:5]
	s_and_b64 exec, exec, s[2:3]
	s_cbranch_execz .LBB79_18
; %bb.17:
	v_mul_f64 v[12:13], v[0:1], s[18:19]
	global_store_dwordx2 v[10:11], v[12:13], off offset:128
.LBB79_18:
	s_or_b64 exec, exec, s[10:11]
	s_cbranch_execz .LBB79_21
.LBB79_19:
	s_endpgm
.LBB79_20:
.LBB79_21:
	s_and_saveexec_b64 s[2:3], s[0:1]
	s_cbranch_execz .LBB79_19
; %bb.22:
	s_mul_i32 s0, s8, s47
	s_mul_hi_u32 s1, s8, s46
	s_add_i32 s1, s1, s0
	s_mul_i32 s0, s8, s46
	s_lshl_b64 s[0:1], s[0:1], 3
	s_add_u32 s2, s42, s0
	v_mov_b32_e32 v10, s7
	v_add_co_u32_e32 v12, vcc, s6, v22
	s_addc_u32 s3, s43, s1
	v_addc_co_u32_e32 v13, vcc, 0, v10, vcc
	v_mul_lo_u32 v14, v9, s44
	v_mul_lo_u32 v15, v8, s45
	v_mad_u64_u32 v[10:11], s[0:1], v8, s44, 0
	v_add3_u32 v11, v11, v15, v14
	v_mul_lo_u32 v14, v9, s50
	v_mul_lo_u32 v15, v8, s51
	v_mad_u64_u32 v[16:17], s[0:1], v8, s50, 0
	v_lshlrev_b64 v[10:11], 3, v[10:11]
	v_add3_u32 v17, v17, v15, v14
	v_mov_b32_e32 v15, s3
	v_add_co_u32_e64 v14, s[0:1], s2, v10
	v_addc_co_u32_e64 v15, s[0:1], v15, v11, s[0:1]
	v_lshlrev_b64 v[10:11], 3, v[16:17]
	v_mov_b32_e32 v17, s20
	v_add_co_u32_e64 v16, s[0:1], s9, v10
	v_cmp_gt_i64_e32 vcc, s[12:13], v[12:13]
	v_addc_co_u32_e64 v17, s[0:1], v17, v11, s[0:1]
	v_lshlrev_b64 v[10:11], 3, v[12:13]
	s_and_saveexec_b64 s[2:3], vcc
	s_cbranch_execz .LBB79_24
; %bb.23:
	v_add_co_u32_e64 v18, s[0:1], v14, v10
	v_addc_co_u32_e64 v19, s[0:1], v15, v11, s[0:1]
	global_load_dwordx2 v[18:19], v[18:19], off
	s_waitcnt vmcnt(0)
	v_mul_f64 v[18:19], v[18:19], s[40:41]
	v_fmac_f64_e32 v[18:19], s[18:19], v[6:7]
	v_add_co_u32_e64 v6, s[0:1], v16, v10
	v_addc_co_u32_e64 v7, s[0:1], v17, v11, s[0:1]
	global_store_dwordx2 v[6:7], v[18:19], off
.LBB79_24:
	s_or_b64 exec, exec, s[2:3]
	v_add_co_u32_e64 v6, s[0:1], 16, v12
	v_addc_co_u32_e64 v7, s[0:1], 0, v13, s[0:1]
	v_cmp_gt_i64_e64 s[0:1], s[12:13], v[6:7]
	s_and_saveexec_b64 s[4:5], s[0:1]
	s_cbranch_execz .LBB79_26
; %bb.25:
	v_add_co_u32_e64 v6, s[2:3], v14, v10
	v_addc_co_u32_e64 v7, s[2:3], v15, v11, s[2:3]
	global_load_dwordx2 v[6:7], v[6:7], off offset:128
	s_waitcnt vmcnt(0)
	v_mul_f64 v[6:7], v[6:7], s[40:41]
	v_fmac_f64_e32 v[6:7], s[18:19], v[4:5]
	v_add_co_u32_e64 v4, s[2:3], v16, v10
	v_addc_co_u32_e64 v5, s[2:3], v17, v11, s[2:3]
	global_store_dwordx2 v[4:5], v[6:7], off offset:128
.LBB79_26:
	s_or_b64 exec, exec, s[4:5]
	v_add_co_u32_e64 v4, s[2:3], 16, v8
	v_addc_co_u32_e64 v5, s[2:3], 0, v9, s[2:3]
	v_cmp_gt_i64_e64 s[2:3], s[14:15], v[4:5]
	s_and_b64 exec, exec, s[2:3]
	s_cbranch_execz .LBB79_19
; %bb.27:
	s_lshl_b64 s[2:3], s[44:45], 7
	v_mov_b32_e32 v4, s3
	v_add_co_u32_e64 v5, s[2:3], s2, v14
	v_addc_co_u32_e64 v6, s[2:3], v15, v4, s[2:3]
	s_lshl_b64 s[2:3], s[50:51], 7
	v_mov_b32_e32 v4, s3
	v_add_co_u32_e64 v7, s[2:3], s2, v16
	v_addc_co_u32_e64 v8, s[2:3], v17, v4, s[2:3]
	v_add_co_u32_e64 v4, s[2:3], v5, v10
	v_addc_co_u32_e64 v5, s[2:3], v6, v11, s[2:3]
	;; [unrolled: 2-line block ×3, first 2 shown]
	s_and_saveexec_b64 s[2:3], vcc
	s_cbranch_execz .LBB79_29
; %bb.28:
	global_load_dwordx2 v[8:9], v[4:5], off
	s_waitcnt vmcnt(0)
	v_mul_f64 v[8:9], v[8:9], s[40:41]
	v_fmac_f64_e32 v[8:9], s[18:19], v[2:3]
	global_store_dwordx2 v[6:7], v[8:9], off
.LBB79_29:
	s_or_b64 exec, exec, s[2:3]
	s_and_b64 exec, exec, s[0:1]
	s_cbranch_execz .LBB79_19
; %bb.30:
	global_load_dwordx2 v[2:3], v[4:5], off offset:128
	s_waitcnt vmcnt(0)
	v_mul_f64 v[2:3], v[2:3], s[40:41]
	v_fmac_f64_e32 v[2:3], s[18:19], v[0:1]
	global_store_dwordx2 v[6:7], v[2:3], off offset:128
	s_endpgm
	.section	.rodata,"a",@progbits
	.p2align	6, 0x0
	.amdhsa_kernel _ZN12_GLOBAL__N_135rocblas_gemm_batched_general_kernelIdLi16ELi16ELi32ELi32ELi8ELi32ELi8ELi8ELi32ELc84ELc78EKdS1_dEEvlllT_PT11_llS4_llS2_PT12_llPT13_lli
		.amdhsa_group_segment_fixed_size 4096
		.amdhsa_private_segment_fixed_size 0
		.amdhsa_kernarg_size 140
		.amdhsa_user_sgpr_count 6
		.amdhsa_user_sgpr_private_segment_buffer 1
		.amdhsa_user_sgpr_dispatch_ptr 0
		.amdhsa_user_sgpr_queue_ptr 0
		.amdhsa_user_sgpr_kernarg_segment_ptr 1
		.amdhsa_user_sgpr_dispatch_id 0
		.amdhsa_user_sgpr_flat_scratch_init 0
		.amdhsa_user_sgpr_kernarg_preload_length 0
		.amdhsa_user_sgpr_kernarg_preload_offset 0
		.amdhsa_user_sgpr_private_segment_size 0
		.amdhsa_uses_dynamic_stack 0
		.amdhsa_system_sgpr_private_segment_wavefront_offset 0
		.amdhsa_system_sgpr_workgroup_id_x 1
		.amdhsa_system_sgpr_workgroup_id_y 1
		.amdhsa_system_sgpr_workgroup_id_z 1
		.amdhsa_system_sgpr_workgroup_info 0
		.amdhsa_system_vgpr_workitem_id 1
		.amdhsa_next_free_vgpr 58
		.amdhsa_next_free_sgpr 52
		.amdhsa_accum_offset 60
		.amdhsa_reserve_vcc 1
		.amdhsa_reserve_flat_scratch 0
		.amdhsa_float_round_mode_32 0
		.amdhsa_float_round_mode_16_64 0
		.amdhsa_float_denorm_mode_32 3
		.amdhsa_float_denorm_mode_16_64 3
		.amdhsa_dx10_clamp 1
		.amdhsa_ieee_mode 1
		.amdhsa_fp16_overflow 0
		.amdhsa_tg_split 0
		.amdhsa_exception_fp_ieee_invalid_op 0
		.amdhsa_exception_fp_denorm_src 0
		.amdhsa_exception_fp_ieee_div_zero 0
		.amdhsa_exception_fp_ieee_overflow 0
		.amdhsa_exception_fp_ieee_underflow 0
		.amdhsa_exception_fp_ieee_inexact 0
		.amdhsa_exception_int_div_zero 0
	.end_amdhsa_kernel
	.section	.text._ZN12_GLOBAL__N_135rocblas_gemm_batched_general_kernelIdLi16ELi16ELi32ELi32ELi8ELi32ELi8ELi8ELi32ELc84ELc78EKdS1_dEEvlllT_PT11_llS4_llS2_PT12_llPT13_lli,"axG",@progbits,_ZN12_GLOBAL__N_135rocblas_gemm_batched_general_kernelIdLi16ELi16ELi32ELi32ELi8ELi32ELi8ELi8ELi32ELc84ELc78EKdS1_dEEvlllT_PT11_llS4_llS2_PT12_llPT13_lli,comdat
.Lfunc_end79:
	.size	_ZN12_GLOBAL__N_135rocblas_gemm_batched_general_kernelIdLi16ELi16ELi32ELi32ELi8ELi32ELi8ELi8ELi32ELc84ELc78EKdS1_dEEvlllT_PT11_llS4_llS2_PT12_llPT13_lli, .Lfunc_end79-_ZN12_GLOBAL__N_135rocblas_gemm_batched_general_kernelIdLi16ELi16ELi32ELi32ELi8ELi32ELi8ELi8ELi32ELc84ELc78EKdS1_dEEvlllT_PT11_llS4_llS2_PT12_llPT13_lli
                                        ; -- End function
	.section	.AMDGPU.csdata,"",@progbits
; Kernel info:
; codeLenInByte = 1908
; NumSgprs: 56
; NumVgprs: 58
; NumAgprs: 0
; TotalNumVgprs: 58
; ScratchSize: 0
; MemoryBound: 0
; FloatMode: 240
; IeeeMode: 1
; LDSByteSize: 4096 bytes/workgroup (compile time only)
; SGPRBlocks: 6
; VGPRBlocks: 7
; NumSGPRsForWavesPerEU: 56
; NumVGPRsForWavesPerEU: 58
; AccumOffset: 60
; Occupancy: 8
; WaveLimiterHint : 0
; COMPUTE_PGM_RSRC2:SCRATCH_EN: 0
; COMPUTE_PGM_RSRC2:USER_SGPR: 6
; COMPUTE_PGM_RSRC2:TRAP_HANDLER: 0
; COMPUTE_PGM_RSRC2:TGID_X_EN: 1
; COMPUTE_PGM_RSRC2:TGID_Y_EN: 1
; COMPUTE_PGM_RSRC2:TGID_Z_EN: 1
; COMPUTE_PGM_RSRC2:TIDIG_COMP_CNT: 1
; COMPUTE_PGM_RSRC3_GFX90A:ACCUM_OFFSET: 14
; COMPUTE_PGM_RSRC3_GFX90A:TG_SPLIT: 0
	.section	.text._ZN12_GLOBAL__N_135rocblas_gemm_batched_general_kernelIdLi16ELi16ELi32ELi32ELi8ELi32ELi8ELi8ELi32ELc78ELc84EKdS1_dEEvlllT_PT11_llS4_llS2_PT12_llPT13_lli,"axG",@progbits,_ZN12_GLOBAL__N_135rocblas_gemm_batched_general_kernelIdLi16ELi16ELi32ELi32ELi8ELi32ELi8ELi8ELi32ELc78ELc84EKdS1_dEEvlllT_PT11_llS4_llS2_PT12_llPT13_lli,comdat
	.globl	_ZN12_GLOBAL__N_135rocblas_gemm_batched_general_kernelIdLi16ELi16ELi32ELi32ELi8ELi32ELi8ELi8ELi32ELc78ELc84EKdS1_dEEvlllT_PT11_llS4_llS2_PT12_llPT13_lli ; -- Begin function _ZN12_GLOBAL__N_135rocblas_gemm_batched_general_kernelIdLi16ELi16ELi32ELi32ELi8ELi32ELi8ELi8ELi32ELc78ELc84EKdS1_dEEvlllT_PT11_llS4_llS2_PT12_llPT13_lli
	.p2align	8
	.type	_ZN12_GLOBAL__N_135rocblas_gemm_batched_general_kernelIdLi16ELi16ELi32ELi32ELi8ELi32ELi8ELi8ELi32ELc78ELc84EKdS1_dEEvlllT_PT11_llS4_llS2_PT12_llPT13_lli,@function
_ZN12_GLOBAL__N_135rocblas_gemm_batched_general_kernelIdLi16ELi16ELi32ELi32ELi8ELi32ELi8ELi8ELi32ELc78ELc84EKdS1_dEEvlllT_PT11_llS4_llS2_PT12_llPT13_lli: ; @_ZN12_GLOBAL__N_135rocblas_gemm_batched_general_kernelIdLi16ELi16ELi32ELi32ELi8ELi32ELi8ELi8ELi32ELc78ELc84EKdS1_dEEvlllT_PT11_llS4_llS2_PT12_llPT13_lli
; %bb.0:
	s_load_dwordx16 s[12:27], s[4:5], 0x0
	s_load_dwordx16 s[36:51], s[4:5], 0x40
	s_mov_b32 s34, s7
	s_ashr_i32 s7, s6, 31
	s_ashr_i32 s35, s34, 31
	s_waitcnt lgkmcnt(0)
	v_cmp_lt_i64_e64 s[0:1], s[16:17], 1
	v_pk_mov_b32 v[6:7], 0, 0
	v_and_b32_e32 v20, 0x3ff, v0
	v_bfe_u32 v9, v0, 10, 10
	s_lshl_b64 s[10:11], s[6:7], 5
	s_lshl_b64 s[28:29], s[34:35], 5
	s_mov_b64 s[30:31], 0
	s_and_b64 vcc, exec, s[0:1]
	v_pk_mov_b32 v[4:5], v[6:7], v[6:7] op_sel:[0,1]
	v_pk_mov_b32 v[2:3], v[6:7], v[6:7] op_sel:[0,1]
	;; [unrolled: 1-line block ×3, first 2 shown]
	s_cbranch_vccnz .LBB80_7
; %bb.1:
	v_lshl_add_u32 v4, v9, 4, v20
	v_lshrrev_b32_e32 v5, 3, v4
	v_mov_b32_e32 v1, s29
	v_add_co_u32_e32 v0, vcc, s28, v5
	v_and_b32_e32 v10, 7, v20
	v_addc_co_u32_e32 v1, vcc, 0, v1, vcc
	v_cmp_gt_i64_e64 s[2:3], s[14:15], v[0:1]
	v_lshlrev_b32_e32 v0, 3, v10
	v_lshl_or_b32 v0, v5, 6, v0
	v_and_b32_e32 v6, 31, v4
	v_add_u32_e32 v21, 0x800, v0
	v_mov_b32_e32 v0, 0x800
	v_mov_b32_e32 v3, s11
	v_or_b32_e32 v2, s10, v6
	v_lshl_add_u32 v23, v9, 6, v0
	s_mul_i32 s9, s39, s8
	s_mul_hi_u32 s33, s38, s8
	v_mad_u64_u32 v[0:1], s[52:53], s36, v10, 0
	v_cmp_gt_i64_e64 s[0:1], s[12:13], v[2:3]
	s_add_i32 s39, s33, s9
	s_mul_i32 s38, s38, s8
	v_mov_b32_e32 v2, v1
	s_lshl_b64 s[38:39], s[38:39], 3
	v_mad_u64_u32 v[2:3], s[52:53], s37, v10, v[2:3]
	s_lshl_b64 s[34:35], s[34:35], 8
	v_mov_b32_e32 v1, v2
	s_add_u32 s9, s34, s38
	v_lshlrev_b64 v[0:1], 3, v[0:1]
	s_addc_u32 s33, s35, s39
	v_mov_b32_e32 v2, s33
	v_add_co_u32_e32 v0, vcc, s9, v0
	v_addc_co_u32_e32 v1, vcc, v2, v1, vcc
	v_and_b32_e32 v2, 0x7ff8, v4
	v_add_co_u32_e32 v0, vcc, v0, v2
	v_addc_co_u32_e32 v1, vcc, 0, v1, vcc
	v_lshrrev_b32_e32 v8, 5, v4
	v_mov_b32_e32 v2, s27
	v_add_co_u32_e32 v12, vcc, s26, v0
	v_addc_co_u32_e32 v13, vcc, v2, v1, vcc
	v_mad_u64_u32 v[0:1], s[34:35], s22, v8, 0
	s_mul_i32 s9, s25, s8
	s_mul_hi_u32 s25, s24, s8
	v_mov_b32_e32 v2, v1
	s_add_i32 s25, s25, s9
	s_mul_i32 s24, s24, s8
	s_lshl_b64 s[26:27], s[36:37], 6
	v_mad_u64_u32 v[2:3], s[34:35], s23, v8, v[2:3]
	s_lshl_b64 s[24:25], s[24:25], 3
	s_lshl_b64 s[6:7], s[6:7], 8
	v_mov_b32_e32 v1, v2
	s_add_u32 s6, s6, s24
	v_lshlrev_b64 v[0:1], 3, v[0:1]
	s_addc_u32 s7, s7, s25
	v_mov_b32_e32 v2, s7
	v_add_co_u32_e32 v0, vcc, s6, v0
	v_lshlrev_b32_e32 v6, 3, v6
	v_addc_co_u32_e32 v1, vcc, v2, v1, vcc
	v_add_co_u32_e32 v0, vcc, v0, v6
	v_addc_co_u32_e32 v1, vcc, 0, v1, vcc
	v_mov_b32_e32 v2, s21
	v_add_co_u32_e32 v14, vcc, s20, v0
	v_pk_mov_b32 v[16:17], 0, 0
	v_lshl_or_b32 v11, v8, 8, v6
	v_lshlrev_b32_e32 v22, 3, v20
	v_addc_co_u32_e32 v15, vcc, v2, v1, vcc
	s_lshl_b64 s[6:7], s[22:23], 6
	v_pk_mov_b32 v[0:1], v[16:17], v[16:17] op_sel:[0,1]
	v_pk_mov_b32 v[2:3], v[16:17], v[16:17] op_sel:[0,1]
	;; [unrolled: 1-line block ×4, first 2 shown]
	s_branch .LBB80_3
.LBB80_2:                               ;   in Loop: Header=BB80_3 Depth=1
	s_or_b64 exec, exec, s[20:21]
	s_waitcnt vmcnt(0)
	ds_write_b64 v21, v[18:19]
	s_waitcnt lgkmcnt(0)
	s_barrier
	ds_read2_b64 v[24:27], v22 offset1:16
	ds_read_b128 v[28:31], v23
	ds_read_b128 v[32:35], v23 offset:16
	ds_read_b128 v[36:39], v23 offset:32
	;; [unrolled: 1-line block ×4, first 2 shown]
	ds_read2_b64 v[48:51], v22 offset0:32 offset1:48
	s_waitcnt lgkmcnt(5)
	v_fmac_f64_e32 v[6:7], v[24:25], v[28:29]
	v_fmac_f64_e32 v[4:5], v[26:27], v[28:29]
	ds_read_b128 v[52:55], v23 offset:1040
	s_waitcnt lgkmcnt(2)
	v_fmac_f64_e32 v[2:3], v[24:25], v[44:45]
	v_fmac_f64_e32 v[0:1], v[26:27], v[44:45]
	ds_read2_b64 v[24:27], v22 offset0:64 offset1:80
	s_waitcnt lgkmcnt(2)
	v_fmac_f64_e32 v[6:7], v[48:49], v[30:31]
	v_fmac_f64_e32 v[4:5], v[50:51], v[30:31]
	ds_read2_b64 v[28:31], v22 offset0:96 offset1:112
	v_fmac_f64_e32 v[2:3], v[48:49], v[46:47]
	v_fmac_f64_e32 v[0:1], v[50:51], v[46:47]
	ds_read_b128 v[44:47], v23 offset:1072
	s_waitcnt lgkmcnt(2)
	v_fmac_f64_e32 v[6:7], v[24:25], v[32:33]
	v_fmac_f64_e32 v[4:5], v[26:27], v[32:33]
	;; [unrolled: 1-line block ×4, first 2 shown]
	s_waitcnt lgkmcnt(1)
	v_fmac_f64_e32 v[6:7], v[28:29], v[34:35]
	ds_read2_b64 v[24:27], v22 offset0:128 offset1:144
	v_fmac_f64_e32 v[4:5], v[30:31], v[34:35]
	v_fmac_f64_e32 v[2:3], v[28:29], v[54:55]
	;; [unrolled: 1-line block ×3, first 2 shown]
	ds_read_b128 v[28:31], v23 offset:1056
	ds_read2_b64 v[32:35], v22 offset0:160 offset1:176
	s_waitcnt lgkmcnt(2)
	v_fmac_f64_e32 v[6:7], v[24:25], v[36:37]
	v_fmac_f64_e32 v[4:5], v[26:27], v[36:37]
	v_mov_b32_e32 v18, s27
	s_waitcnt lgkmcnt(1)
	v_fmac_f64_e32 v[2:3], v[24:25], v[28:29]
	v_fmac_f64_e32 v[0:1], v[26:27], v[28:29]
	ds_read2_b64 v[24:27], v22 offset0:192 offset1:208
	s_waitcnt lgkmcnt(1)
	v_fmac_f64_e32 v[2:3], v[32:33], v[30:31]
	v_fmac_f64_e32 v[0:1], v[34:35], v[30:31]
	ds_read2_b64 v[28:31], v22 offset0:224 offset1:240
	v_add_co_u32_e32 v12, vcc, s26, v12
	v_addc_co_u32_e32 v13, vcc, v13, v18, vcc
	s_add_u32 s30, s30, 8
	v_mov_b32_e32 v18, s7
	v_add_co_u32_e32 v14, vcc, s6, v14
	v_fmac_f64_e32 v[6:7], v[32:33], v[38:39]
	v_fmac_f64_e32 v[4:5], v[34:35], v[38:39]
	s_addc_u32 s31, s31, 0
	v_addc_co_u32_e32 v15, vcc, v15, v18, vcc
	v_pk_mov_b32 v[18:19], s[16:17], s[16:17] op_sel:[0,1]
	s_waitcnt lgkmcnt(1)
	v_fmac_f64_e32 v[6:7], v[24:25], v[40:41]
	v_fmac_f64_e32 v[4:5], v[26:27], v[40:41]
	;; [unrolled: 1-line block ×4, first 2 shown]
	v_cmp_lt_i64_e32 vcc, s[30:31], v[18:19]
	s_waitcnt lgkmcnt(0)
	v_fmac_f64_e32 v[6:7], v[28:29], v[42:43]
	v_fmac_f64_e32 v[4:5], v[30:31], v[42:43]
	;; [unrolled: 1-line block ×4, first 2 shown]
	s_barrier
	s_cbranch_vccz .LBB80_7
.LBB80_3:                               ; =>This Inner Loop Header: Depth=1
	v_mov_b32_e32 v19, s31
	v_add_co_u32_e32 v18, vcc, s30, v8
	v_addc_co_u32_e32 v19, vcc, 0, v19, vcc
	v_cmp_gt_i64_e32 vcc, s[16:17], v[18:19]
	s_and_b64 s[22:23], s[0:1], vcc
	v_pk_mov_b32 v[18:19], v[16:17], v[16:17] op_sel:[0,1]
	s_and_saveexec_b64 s[20:21], s[22:23]
	s_cbranch_execz .LBB80_5
; %bb.4:                                ;   in Loop: Header=BB80_3 Depth=1
	global_load_dwordx2 v[18:19], v[14:15], off
.LBB80_5:                               ;   in Loop: Header=BB80_3 Depth=1
	s_or_b64 exec, exec, s[20:21]
	s_waitcnt vmcnt(0)
	ds_write_b64 v11, v[18:19]
	v_mov_b32_e32 v19, s31
	v_add_co_u32_e32 v18, vcc, s30, v10
	v_addc_co_u32_e32 v19, vcc, 0, v19, vcc
	v_cmp_gt_i64_e32 vcc, s[16:17], v[18:19]
	s_and_b64 s[22:23], vcc, s[2:3]
	v_pk_mov_b32 v[18:19], v[16:17], v[16:17] op_sel:[0,1]
	s_and_saveexec_b64 s[20:21], s[22:23]
	s_cbranch_execz .LBB80_2
; %bb.6:                                ;   in Loop: Header=BB80_3 Depth=1
	global_load_dwordx2 v[18:19], v[12:13], off
	s_branch .LBB80_2
.LBB80_7:
	s_load_dwordx2 s[0:1], s[4:5], 0x80
	v_mov_b32_e32 v10, s29
	v_add_co_u32_e32 v8, vcc, s28, v9
	v_addc_co_u32_e32 v9, vcc, 0, v10, vcc
	s_waitcnt lgkmcnt(0)
	s_mul_i32 s1, s8, s1
	s_mul_hi_u32 s2, s8, s0
	s_mul_i32 s0, s8, s0
	s_add_i32 s1, s2, s1
	s_lshl_b64 s[0:1], s[0:1], 3
	s_add_u32 s9, s48, s0
	v_cmp_neq_f64_e64 s[2:3], s[40:41], 0
	s_addc_u32 s20, s49, s1
	v_cmp_gt_i64_e64 s[0:1], s[14:15], v[8:9]
	s_and_b64 vcc, exec, s[2:3]
	s_cbranch_vccnz .LBB80_20
; %bb.8:
	s_and_saveexec_b64 s[6:7], s[0:1]
	s_cbranch_execz .LBB80_18
; %bb.9:
	v_mov_b32_e32 v10, s11
	v_add_co_u32_e32 v12, vcc, s10, v20
	v_addc_co_u32_e32 v13, vcc, 0, v10, vcc
	v_mul_lo_u32 v14, v9, s50
	v_mul_lo_u32 v15, v8, s51
	v_mad_u64_u32 v[10:11], s[2:3], v8, s50, 0
	v_add3_u32 v11, v11, v15, v14
	v_lshlrev_b64 v[10:11], 3, v[10:11]
	v_mov_b32_e32 v15, s20
	v_add_co_u32_e64 v14, s[2:3], s9, v10
	v_cmp_gt_i64_e32 vcc, s[12:13], v[12:13]
	v_addc_co_u32_e64 v15, s[2:3], v15, v11, s[2:3]
	v_lshlrev_b64 v[10:11], 3, v[12:13]
	s_and_saveexec_b64 s[4:5], vcc
	s_cbranch_execz .LBB80_11
; %bb.10:
	v_add_co_u32_e64 v16, s[2:3], v14, v10
	v_addc_co_u32_e64 v17, s[2:3], v15, v11, s[2:3]
	v_mul_f64 v[18:19], v[6:7], s[18:19]
	global_store_dwordx2 v[16:17], v[18:19], off
.LBB80_11:
	s_or_b64 exec, exec, s[4:5]
	v_add_co_u32_e64 v12, s[2:3], 16, v12
	v_addc_co_u32_e64 v13, s[2:3], 0, v13, s[2:3]
	v_cmp_gt_i64_e64 s[2:3], s[12:13], v[12:13]
	s_and_saveexec_b64 s[16:17], s[2:3]
	s_cbranch_execz .LBB80_13
; %bb.12:
	v_add_co_u32_e64 v12, s[4:5], v14, v10
	v_addc_co_u32_e64 v13, s[4:5], v15, v11, s[4:5]
	v_mul_f64 v[16:17], v[4:5], s[18:19]
	global_store_dwordx2 v[12:13], v[16:17], off offset:128
.LBB80_13:
	s_or_b64 exec, exec, s[16:17]
	v_add_co_u32_e64 v12, s[4:5], 16, v8
	v_addc_co_u32_e64 v13, s[4:5], 0, v9, s[4:5]
	v_cmp_gt_i64_e64 s[4:5], s[14:15], v[12:13]
	s_and_b64 exec, exec, s[4:5]
	s_cbranch_execz .LBB80_18
; %bb.14:
	s_lshl_b64 s[4:5], s[50:51], 7
	v_mov_b32_e32 v12, s5
	v_add_co_u32_e64 v13, s[4:5], s4, v14
	v_addc_co_u32_e64 v12, s[4:5], v15, v12, s[4:5]
	v_add_co_u32_e64 v10, s[4:5], v13, v10
	v_addc_co_u32_e64 v11, s[4:5], v12, v11, s[4:5]
	s_and_saveexec_b64 s[4:5], vcc
	s_cbranch_execz .LBB80_16
; %bb.15:
	v_mul_f64 v[12:13], v[2:3], s[18:19]
	global_store_dwordx2 v[10:11], v[12:13], off
.LBB80_16:
	s_or_b64 exec, exec, s[4:5]
	s_and_b64 exec, exec, s[2:3]
	s_cbranch_execz .LBB80_18
; %bb.17:
	v_mul_f64 v[12:13], v[0:1], s[18:19]
	global_store_dwordx2 v[10:11], v[12:13], off offset:128
.LBB80_18:
	s_or_b64 exec, exec, s[6:7]
	s_cbranch_execz .LBB80_21
.LBB80_19:
	s_endpgm
.LBB80_20:
.LBB80_21:
	s_and_saveexec_b64 s[2:3], s[0:1]
	s_cbranch_execz .LBB80_19
; %bb.22:
	s_mul_i32 s0, s8, s47
	s_mul_hi_u32 s1, s8, s46
	s_add_i32 s1, s1, s0
	s_mul_i32 s0, s8, s46
	s_lshl_b64 s[0:1], s[0:1], 3
	s_add_u32 s2, s42, s0
	v_mov_b32_e32 v10, s11
	v_add_co_u32_e32 v12, vcc, s10, v20
	s_addc_u32 s3, s43, s1
	v_addc_co_u32_e32 v13, vcc, 0, v10, vcc
	v_mul_lo_u32 v14, v9, s44
	v_mul_lo_u32 v15, v8, s45
	v_mad_u64_u32 v[10:11], s[0:1], v8, s44, 0
	v_add3_u32 v11, v11, v15, v14
	v_mul_lo_u32 v14, v9, s50
	v_mul_lo_u32 v15, v8, s51
	v_mad_u64_u32 v[16:17], s[0:1], v8, s50, 0
	v_lshlrev_b64 v[10:11], 3, v[10:11]
	v_add3_u32 v17, v17, v15, v14
	v_mov_b32_e32 v15, s3
	v_add_co_u32_e64 v14, s[0:1], s2, v10
	v_addc_co_u32_e64 v15, s[0:1], v15, v11, s[0:1]
	v_lshlrev_b64 v[10:11], 3, v[16:17]
	v_mov_b32_e32 v17, s20
	v_add_co_u32_e64 v16, s[0:1], s9, v10
	v_cmp_gt_i64_e32 vcc, s[12:13], v[12:13]
	v_addc_co_u32_e64 v17, s[0:1], v17, v11, s[0:1]
	v_lshlrev_b64 v[10:11], 3, v[12:13]
	s_and_saveexec_b64 s[2:3], vcc
	s_cbranch_execz .LBB80_24
; %bb.23:
	v_add_co_u32_e64 v18, s[0:1], v14, v10
	v_addc_co_u32_e64 v19, s[0:1], v15, v11, s[0:1]
	global_load_dwordx2 v[18:19], v[18:19], off
	s_waitcnt vmcnt(0)
	v_mul_f64 v[18:19], v[18:19], s[40:41]
	v_fmac_f64_e32 v[18:19], s[18:19], v[6:7]
	v_add_co_u32_e64 v6, s[0:1], v16, v10
	v_addc_co_u32_e64 v7, s[0:1], v17, v11, s[0:1]
	global_store_dwordx2 v[6:7], v[18:19], off
.LBB80_24:
	s_or_b64 exec, exec, s[2:3]
	v_add_co_u32_e64 v6, s[0:1], 16, v12
	v_addc_co_u32_e64 v7, s[0:1], 0, v13, s[0:1]
	v_cmp_gt_i64_e64 s[0:1], s[12:13], v[6:7]
	s_and_saveexec_b64 s[4:5], s[0:1]
	s_cbranch_execz .LBB80_26
; %bb.25:
	v_add_co_u32_e64 v6, s[2:3], v14, v10
	v_addc_co_u32_e64 v7, s[2:3], v15, v11, s[2:3]
	global_load_dwordx2 v[6:7], v[6:7], off offset:128
	s_waitcnt vmcnt(0)
	v_mul_f64 v[6:7], v[6:7], s[40:41]
	v_fmac_f64_e32 v[6:7], s[18:19], v[4:5]
	v_add_co_u32_e64 v4, s[2:3], v16, v10
	v_addc_co_u32_e64 v5, s[2:3], v17, v11, s[2:3]
	global_store_dwordx2 v[4:5], v[6:7], off offset:128
.LBB80_26:
	s_or_b64 exec, exec, s[4:5]
	v_add_co_u32_e64 v4, s[2:3], 16, v8
	v_addc_co_u32_e64 v5, s[2:3], 0, v9, s[2:3]
	v_cmp_gt_i64_e64 s[2:3], s[14:15], v[4:5]
	s_and_b64 exec, exec, s[2:3]
	s_cbranch_execz .LBB80_19
; %bb.27:
	s_lshl_b64 s[2:3], s[44:45], 7
	v_mov_b32_e32 v4, s3
	v_add_co_u32_e64 v5, s[2:3], s2, v14
	v_addc_co_u32_e64 v6, s[2:3], v15, v4, s[2:3]
	s_lshl_b64 s[2:3], s[50:51], 7
	v_mov_b32_e32 v4, s3
	v_add_co_u32_e64 v7, s[2:3], s2, v16
	v_addc_co_u32_e64 v8, s[2:3], v17, v4, s[2:3]
	v_add_co_u32_e64 v4, s[2:3], v5, v10
	v_addc_co_u32_e64 v5, s[2:3], v6, v11, s[2:3]
	;; [unrolled: 2-line block ×3, first 2 shown]
	s_and_saveexec_b64 s[2:3], vcc
	s_cbranch_execz .LBB80_29
; %bb.28:
	global_load_dwordx2 v[8:9], v[4:5], off
	s_waitcnt vmcnt(0)
	v_mul_f64 v[8:9], v[8:9], s[40:41]
	v_fmac_f64_e32 v[8:9], s[18:19], v[2:3]
	global_store_dwordx2 v[6:7], v[8:9], off
.LBB80_29:
	s_or_b64 exec, exec, s[2:3]
	s_and_b64 exec, exec, s[0:1]
	s_cbranch_execz .LBB80_19
; %bb.30:
	global_load_dwordx2 v[2:3], v[4:5], off offset:128
	s_waitcnt vmcnt(0)
	v_mul_f64 v[2:3], v[2:3], s[40:41]
	v_fmac_f64_e32 v[2:3], s[18:19], v[0:1]
	global_store_dwordx2 v[6:7], v[2:3], off offset:128
	s_endpgm
	.section	.rodata,"a",@progbits
	.p2align	6, 0x0
	.amdhsa_kernel _ZN12_GLOBAL__N_135rocblas_gemm_batched_general_kernelIdLi16ELi16ELi32ELi32ELi8ELi32ELi8ELi8ELi32ELc78ELc84EKdS1_dEEvlllT_PT11_llS4_llS2_PT12_llPT13_lli
		.amdhsa_group_segment_fixed_size 4096
		.amdhsa_private_segment_fixed_size 0
		.amdhsa_kernarg_size 140
		.amdhsa_user_sgpr_count 6
		.amdhsa_user_sgpr_private_segment_buffer 1
		.amdhsa_user_sgpr_dispatch_ptr 0
		.amdhsa_user_sgpr_queue_ptr 0
		.amdhsa_user_sgpr_kernarg_segment_ptr 1
		.amdhsa_user_sgpr_dispatch_id 0
		.amdhsa_user_sgpr_flat_scratch_init 0
		.amdhsa_user_sgpr_kernarg_preload_length 0
		.amdhsa_user_sgpr_kernarg_preload_offset 0
		.amdhsa_user_sgpr_private_segment_size 0
		.amdhsa_uses_dynamic_stack 0
		.amdhsa_system_sgpr_private_segment_wavefront_offset 0
		.amdhsa_system_sgpr_workgroup_id_x 1
		.amdhsa_system_sgpr_workgroup_id_y 1
		.amdhsa_system_sgpr_workgroup_id_z 1
		.amdhsa_system_sgpr_workgroup_info 0
		.amdhsa_system_vgpr_workitem_id 1
		.amdhsa_next_free_vgpr 56
		.amdhsa_next_free_sgpr 54
		.amdhsa_accum_offset 56
		.amdhsa_reserve_vcc 1
		.amdhsa_reserve_flat_scratch 0
		.amdhsa_float_round_mode_32 0
		.amdhsa_float_round_mode_16_64 0
		.amdhsa_float_denorm_mode_32 3
		.amdhsa_float_denorm_mode_16_64 3
		.amdhsa_dx10_clamp 1
		.amdhsa_ieee_mode 1
		.amdhsa_fp16_overflow 0
		.amdhsa_tg_split 0
		.amdhsa_exception_fp_ieee_invalid_op 0
		.amdhsa_exception_fp_denorm_src 0
		.amdhsa_exception_fp_ieee_div_zero 0
		.amdhsa_exception_fp_ieee_overflow 0
		.amdhsa_exception_fp_ieee_underflow 0
		.amdhsa_exception_fp_ieee_inexact 0
		.amdhsa_exception_int_div_zero 0
	.end_amdhsa_kernel
	.section	.text._ZN12_GLOBAL__N_135rocblas_gemm_batched_general_kernelIdLi16ELi16ELi32ELi32ELi8ELi32ELi8ELi8ELi32ELc78ELc84EKdS1_dEEvlllT_PT11_llS4_llS2_PT12_llPT13_lli,"axG",@progbits,_ZN12_GLOBAL__N_135rocblas_gemm_batched_general_kernelIdLi16ELi16ELi32ELi32ELi8ELi32ELi8ELi8ELi32ELc78ELc84EKdS1_dEEvlllT_PT11_llS4_llS2_PT12_llPT13_lli,comdat
.Lfunc_end80:
	.size	_ZN12_GLOBAL__N_135rocblas_gemm_batched_general_kernelIdLi16ELi16ELi32ELi32ELi8ELi32ELi8ELi8ELi32ELc78ELc84EKdS1_dEEvlllT_PT11_llS4_llS2_PT12_llPT13_lli, .Lfunc_end80-_ZN12_GLOBAL__N_135rocblas_gemm_batched_general_kernelIdLi16ELi16ELi32ELi32ELi8ELi32ELi8ELi8ELi32ELc78ELc84EKdS1_dEEvlllT_PT11_llS4_llS2_PT12_llPT13_lli
                                        ; -- End function
	.section	.AMDGPU.csdata,"",@progbits
; Kernel info:
; codeLenInByte = 1924
; NumSgprs: 58
; NumVgprs: 56
; NumAgprs: 0
; TotalNumVgprs: 56
; ScratchSize: 0
; MemoryBound: 0
; FloatMode: 240
; IeeeMode: 1
; LDSByteSize: 4096 bytes/workgroup (compile time only)
; SGPRBlocks: 7
; VGPRBlocks: 6
; NumSGPRsForWavesPerEU: 58
; NumVGPRsForWavesPerEU: 56
; AccumOffset: 56
; Occupancy: 8
; WaveLimiterHint : 0
; COMPUTE_PGM_RSRC2:SCRATCH_EN: 0
; COMPUTE_PGM_RSRC2:USER_SGPR: 6
; COMPUTE_PGM_RSRC2:TRAP_HANDLER: 0
; COMPUTE_PGM_RSRC2:TGID_X_EN: 1
; COMPUTE_PGM_RSRC2:TGID_Y_EN: 1
; COMPUTE_PGM_RSRC2:TGID_Z_EN: 1
; COMPUTE_PGM_RSRC2:TIDIG_COMP_CNT: 1
; COMPUTE_PGM_RSRC3_GFX90A:ACCUM_OFFSET: 13
; COMPUTE_PGM_RSRC3_GFX90A:TG_SPLIT: 0
	.section	.text._ZN12_GLOBAL__N_135rocblas_gemm_batched_general_kernelIdLi16ELi16ELi32ELi32ELi8ELi32ELi8ELi8ELi32ELc84ELc84EKdS1_dEEvlllT_PT11_llS4_llS2_PT12_llPT13_lli,"axG",@progbits,_ZN12_GLOBAL__N_135rocblas_gemm_batched_general_kernelIdLi16ELi16ELi32ELi32ELi8ELi32ELi8ELi8ELi32ELc84ELc84EKdS1_dEEvlllT_PT11_llS4_llS2_PT12_llPT13_lli,comdat
	.globl	_ZN12_GLOBAL__N_135rocblas_gemm_batched_general_kernelIdLi16ELi16ELi32ELi32ELi8ELi32ELi8ELi8ELi32ELc84ELc84EKdS1_dEEvlllT_PT11_llS4_llS2_PT12_llPT13_lli ; -- Begin function _ZN12_GLOBAL__N_135rocblas_gemm_batched_general_kernelIdLi16ELi16ELi32ELi32ELi8ELi32ELi8ELi8ELi32ELc84ELc84EKdS1_dEEvlllT_PT11_llS4_llS2_PT12_llPT13_lli
	.p2align	8
	.type	_ZN12_GLOBAL__N_135rocblas_gemm_batched_general_kernelIdLi16ELi16ELi32ELi32ELi8ELi32ELi8ELi8ELi32ELc84ELc84EKdS1_dEEvlllT_PT11_llS4_llS2_PT12_llPT13_lli,@function
_ZN12_GLOBAL__N_135rocblas_gemm_batched_general_kernelIdLi16ELi16ELi32ELi32ELi8ELi32ELi8ELi8ELi32ELc84ELc84EKdS1_dEEvlllT_PT11_llS4_llS2_PT12_llPT13_lli: ; @_ZN12_GLOBAL__N_135rocblas_gemm_batched_general_kernelIdLi16ELi16ELi32ELi32ELi8ELi32ELi8ELi8ELi32ELc84ELc84EKdS1_dEEvlllT_PT11_llS4_llS2_PT12_llPT13_lli
; %bb.0:
	s_load_dwordx16 s[12:27], s[4:5], 0x0
	s_load_dwordx16 s[36:51], s[4:5], 0x40
	s_mov_b32 s30, s7
	s_ashr_i32 s7, s6, 31
	s_ashr_i32 s31, s30, 31
	s_waitcnt lgkmcnt(0)
	v_cmp_lt_i64_e64 s[0:1], s[16:17], 1
	v_pk_mov_b32 v[6:7], 0, 0
	v_and_b32_e32 v20, 0x3ff, v0
	v_bfe_u32 v9, v0, 10, 10
	s_lshl_b64 s[6:7], s[6:7], 5
	s_lshl_b64 s[10:11], s[30:31], 5
	s_mov_b64 s[28:29], 0
	s_and_b64 vcc, exec, s[0:1]
	v_pk_mov_b32 v[4:5], v[6:7], v[6:7] op_sel:[0,1]
	v_pk_mov_b32 v[2:3], v[6:7], v[6:7] op_sel:[0,1]
	;; [unrolled: 1-line block ×3, first 2 shown]
	s_cbranch_vccnz .LBB81_7
; %bb.1:
	v_lshl_add_u32 v4, v9, 4, v20
	v_lshrrev_b32_e32 v5, 3, v4
	v_mov_b32_e32 v1, s11
	v_add_co_u32_e32 v0, vcc, s10, v5
	v_and_b32_e32 v10, 7, v20
	v_addc_co_u32_e32 v1, vcc, 0, v1, vcc
	v_cmp_gt_i64_e64 s[2:3], s[14:15], v[0:1]
	v_lshlrev_b32_e32 v0, 3, v10
	v_and_b32_e32 v6, 31, v4
	v_lshl_or_b32 v0, v5, 6, v0
	v_mov_b32_e32 v3, s7
	v_or_b32_e32 v2, s6, v6
	v_add_u32_e32 v21, 0x800, v0
	v_mov_b32_e32 v0, 0x800
	v_lshrrev_b32_e32 v8, 5, v4
	v_cmp_gt_i64_e64 s[0:1], s[12:13], v[2:3]
	v_lshlrev_b32_e32 v2, 3, v6
	v_lshl_add_u32 v23, v9, 6, v0
	s_mul_i32 s9, s39, s8
	s_mul_hi_u32 s33, s38, s8
	s_mul_i32 s34, s38, s8
	v_mad_u64_u32 v[0:1], s[38:39], s36, v10, 0
	v_lshl_or_b32 v11, v8, 8, v2
	s_add_i32 s35, s33, s9
	v_mov_b32_e32 v2, v1
	s_lshl_b64 s[34:35], s[34:35], 3
	v_mad_u64_u32 v[2:3], s[38:39], s37, v10, v[2:3]
	s_lshl_b64 s[30:31], s[30:31], 8
	v_mov_b32_e32 v1, v2
	s_add_u32 s9, s30, s34
	v_lshlrev_b64 v[0:1], 3, v[0:1]
	s_addc_u32 s30, s31, s35
	v_mov_b32_e32 v2, s30
	v_add_co_u32_e32 v0, vcc, s9, v0
	v_addc_co_u32_e32 v1, vcc, v2, v1, vcc
	v_and_b32_e32 v2, 0x7ff8, v4
	v_add_co_u32_e32 v0, vcc, v0, v2
	v_addc_co_u32_e32 v1, vcc, 0, v1, vcc
	v_mov_b32_e32 v2, s27
	v_add_co_u32_e32 v12, vcc, s26, v0
	v_addc_co_u32_e32 v13, vcc, v2, v1, vcc
	v_mov_b32_e32 v0, s7
	v_add_co_u32_e32 v1, vcc, s6, v6
	v_addc_co_u32_e32 v0, vcc, 0, v0, vcc
	v_mul_lo_u32 v2, s23, v1
	v_mul_lo_u32 v3, s22, v0
	v_mad_u64_u32 v[0:1], s[22:23], s22, v1, 0
	s_mul_i32 s9, s25, s8
	s_mul_hi_u32 s22, s24, s8
	v_add3_u32 v1, v1, v3, v2
	s_add_i32 s23, s22, s9
	s_mul_i32 s22, s24, s8
	v_lshlrev_b64 v[0:1], 3, v[0:1]
	s_lshl_b64 s[22:23], s[22:23], 3
	v_mov_b32_e32 v2, s23
	v_add_co_u32_e32 v0, vcc, s22, v0
	v_addc_co_u32_e32 v1, vcc, v1, v2, vcc
	v_lshlrev_b32_e32 v2, 3, v8
	v_add_co_u32_e32 v0, vcc, v0, v2
	v_addc_co_u32_e32 v1, vcc, 0, v1, vcc
	s_lshl_b64 s[26:27], s[36:37], 6
	v_mov_b32_e32 v2, s21
	v_add_co_u32_e32 v14, vcc, s20, v0
	v_pk_mov_b32 v[16:17], 0, 0
	v_lshlrev_b32_e32 v22, 3, v20
	v_addc_co_u32_e32 v15, vcc, v2, v1, vcc
	v_mov_b32_e32 v24, s27
	v_pk_mov_b32 v[0:1], v[16:17], v[16:17] op_sel:[0,1]
	v_pk_mov_b32 v[2:3], v[16:17], v[16:17] op_sel:[0,1]
	;; [unrolled: 1-line block ×4, first 2 shown]
	s_branch .LBB81_3
.LBB81_2:                               ;   in Loop: Header=BB81_3 Depth=1
	s_or_b64 exec, exec, s[20:21]
	s_waitcnt vmcnt(0)
	ds_write_b64 v21, v[18:19]
	s_waitcnt lgkmcnt(0)
	s_barrier
	ds_read2_b64 v[26:29], v22 offset1:16
	ds_read_b128 v[30:33], v23
	ds_read_b128 v[34:37], v23 offset:16
	ds_read_b128 v[38:41], v23 offset:32
	;; [unrolled: 1-line block ×4, first 2 shown]
	ds_read2_b64 v[50:53], v22 offset0:32 offset1:48
	s_waitcnt lgkmcnt(5)
	v_fmac_f64_e32 v[6:7], v[26:27], v[30:31]
	v_fmac_f64_e32 v[4:5], v[28:29], v[30:31]
	ds_read_b128 v[54:57], v23 offset:1040
	s_waitcnt lgkmcnt(2)
	v_fmac_f64_e32 v[2:3], v[26:27], v[46:47]
	v_fmac_f64_e32 v[0:1], v[28:29], v[46:47]
	ds_read2_b64 v[26:29], v22 offset0:64 offset1:80
	s_waitcnt lgkmcnt(2)
	v_fmac_f64_e32 v[6:7], v[50:51], v[32:33]
	v_fmac_f64_e32 v[4:5], v[52:53], v[32:33]
	ds_read2_b64 v[30:33], v22 offset0:96 offset1:112
	v_fmac_f64_e32 v[2:3], v[50:51], v[48:49]
	v_fmac_f64_e32 v[0:1], v[52:53], v[48:49]
	ds_read_b128 v[46:49], v23 offset:1072
	s_waitcnt lgkmcnt(2)
	v_fmac_f64_e32 v[6:7], v[26:27], v[34:35]
	v_fmac_f64_e32 v[4:5], v[28:29], v[34:35]
	;; [unrolled: 1-line block ×4, first 2 shown]
	s_waitcnt lgkmcnt(1)
	v_fmac_f64_e32 v[6:7], v[30:31], v[36:37]
	ds_read2_b64 v[26:29], v22 offset0:128 offset1:144
	v_fmac_f64_e32 v[4:5], v[32:33], v[36:37]
	v_fmac_f64_e32 v[2:3], v[30:31], v[56:57]
	v_fmac_f64_e32 v[0:1], v[32:33], v[56:57]
	ds_read_b128 v[30:33], v23 offset:1056
	ds_read2_b64 v[34:37], v22 offset0:160 offset1:176
	s_waitcnt lgkmcnt(2)
	v_fmac_f64_e32 v[6:7], v[26:27], v[38:39]
	v_fmac_f64_e32 v[4:5], v[28:29], v[38:39]
	v_add_co_u32_e32 v12, vcc, s26, v12
	s_waitcnt lgkmcnt(1)
	v_fmac_f64_e32 v[2:3], v[26:27], v[30:31]
	v_fmac_f64_e32 v[0:1], v[28:29], v[30:31]
	ds_read2_b64 v[26:29], v22 offset0:192 offset1:208
	s_waitcnt lgkmcnt(1)
	v_fmac_f64_e32 v[2:3], v[34:35], v[32:33]
	v_fmac_f64_e32 v[0:1], v[36:37], v[32:33]
	ds_read2_b64 v[30:33], v22 offset0:224 offset1:240
	v_addc_co_u32_e32 v13, vcc, v13, v24, vcc
	s_add_u32 s28, s28, 8
	v_add_co_u32_e32 v14, vcc, 64, v14
	v_fmac_f64_e32 v[6:7], v[34:35], v[40:41]
	v_fmac_f64_e32 v[4:5], v[36:37], v[40:41]
	s_addc_u32 s29, s29, 0
	v_addc_co_u32_e32 v15, vcc, 0, v15, vcc
	v_pk_mov_b32 v[18:19], s[16:17], s[16:17] op_sel:[0,1]
	s_waitcnt lgkmcnt(1)
	v_fmac_f64_e32 v[6:7], v[26:27], v[42:43]
	v_fmac_f64_e32 v[4:5], v[28:29], v[42:43]
	;; [unrolled: 1-line block ×4, first 2 shown]
	v_cmp_lt_i64_e32 vcc, s[28:29], v[18:19]
	s_waitcnt lgkmcnt(0)
	v_fmac_f64_e32 v[6:7], v[30:31], v[44:45]
	v_fmac_f64_e32 v[4:5], v[32:33], v[44:45]
	;; [unrolled: 1-line block ×4, first 2 shown]
	s_barrier
	s_cbranch_vccz .LBB81_7
.LBB81_3:                               ; =>This Inner Loop Header: Depth=1
	v_mov_b32_e32 v19, s29
	v_add_co_u32_e32 v18, vcc, s28, v8
	v_addc_co_u32_e32 v19, vcc, 0, v19, vcc
	v_cmp_gt_i64_e32 vcc, s[16:17], v[18:19]
	s_and_b64 s[22:23], s[0:1], vcc
	v_pk_mov_b32 v[18:19], v[16:17], v[16:17] op_sel:[0,1]
	s_and_saveexec_b64 s[20:21], s[22:23]
	s_cbranch_execz .LBB81_5
; %bb.4:                                ;   in Loop: Header=BB81_3 Depth=1
	global_load_dwordx2 v[18:19], v[14:15], off
.LBB81_5:                               ;   in Loop: Header=BB81_3 Depth=1
	s_or_b64 exec, exec, s[20:21]
	s_waitcnt vmcnt(0)
	ds_write_b64 v11, v[18:19]
	v_mov_b32_e32 v19, s29
	v_add_co_u32_e32 v18, vcc, s28, v10
	v_addc_co_u32_e32 v19, vcc, 0, v19, vcc
	v_cmp_gt_i64_e32 vcc, s[16:17], v[18:19]
	s_and_b64 s[22:23], vcc, s[2:3]
	v_pk_mov_b32 v[18:19], v[16:17], v[16:17] op_sel:[0,1]
	s_and_saveexec_b64 s[20:21], s[22:23]
	s_cbranch_execz .LBB81_2
; %bb.6:                                ;   in Loop: Header=BB81_3 Depth=1
	global_load_dwordx2 v[18:19], v[12:13], off
	s_branch .LBB81_2
.LBB81_7:
	s_load_dwordx2 s[0:1], s[4:5], 0x80
	v_mov_b32_e32 v10, s11
	v_add_co_u32_e32 v8, vcc, s10, v9
	v_addc_co_u32_e32 v9, vcc, 0, v10, vcc
	s_waitcnt lgkmcnt(0)
	s_mul_i32 s1, s8, s1
	s_mul_hi_u32 s2, s8, s0
	s_mul_i32 s0, s8, s0
	s_add_i32 s1, s2, s1
	s_lshl_b64 s[0:1], s[0:1], 3
	s_add_u32 s9, s48, s0
	v_cmp_neq_f64_e64 s[2:3], s[40:41], 0
	s_addc_u32 s20, s49, s1
	v_cmp_gt_i64_e64 s[0:1], s[14:15], v[8:9]
	s_and_b64 vcc, exec, s[2:3]
	s_cbranch_vccnz .LBB81_20
; %bb.8:
	s_and_saveexec_b64 s[10:11], s[0:1]
	s_cbranch_execz .LBB81_18
; %bb.9:
	v_mov_b32_e32 v10, s7
	v_add_co_u32_e32 v12, vcc, s6, v20
	v_addc_co_u32_e32 v13, vcc, 0, v10, vcc
	v_mul_lo_u32 v14, v9, s50
	v_mul_lo_u32 v15, v8, s51
	v_mad_u64_u32 v[10:11], s[2:3], v8, s50, 0
	v_add3_u32 v11, v11, v15, v14
	v_lshlrev_b64 v[10:11], 3, v[10:11]
	v_mov_b32_e32 v15, s20
	v_add_co_u32_e64 v14, s[2:3], s9, v10
	v_cmp_gt_i64_e32 vcc, s[12:13], v[12:13]
	v_addc_co_u32_e64 v15, s[2:3], v15, v11, s[2:3]
	v_lshlrev_b64 v[10:11], 3, v[12:13]
	s_and_saveexec_b64 s[4:5], vcc
	s_cbranch_execz .LBB81_11
; %bb.10:
	v_add_co_u32_e64 v16, s[2:3], v14, v10
	v_addc_co_u32_e64 v17, s[2:3], v15, v11, s[2:3]
	v_mul_f64 v[18:19], v[6:7], s[18:19]
	global_store_dwordx2 v[16:17], v[18:19], off
.LBB81_11:
	s_or_b64 exec, exec, s[4:5]
	v_add_co_u32_e64 v12, s[2:3], 16, v12
	v_addc_co_u32_e64 v13, s[2:3], 0, v13, s[2:3]
	v_cmp_gt_i64_e64 s[2:3], s[12:13], v[12:13]
	s_and_saveexec_b64 s[16:17], s[2:3]
	s_cbranch_execz .LBB81_13
; %bb.12:
	v_add_co_u32_e64 v12, s[4:5], v14, v10
	v_addc_co_u32_e64 v13, s[4:5], v15, v11, s[4:5]
	v_mul_f64 v[16:17], v[4:5], s[18:19]
	global_store_dwordx2 v[12:13], v[16:17], off offset:128
.LBB81_13:
	s_or_b64 exec, exec, s[16:17]
	v_add_co_u32_e64 v12, s[4:5], 16, v8
	v_addc_co_u32_e64 v13, s[4:5], 0, v9, s[4:5]
	v_cmp_gt_i64_e64 s[4:5], s[14:15], v[12:13]
	s_and_b64 exec, exec, s[4:5]
	s_cbranch_execz .LBB81_18
; %bb.14:
	s_lshl_b64 s[4:5], s[50:51], 7
	v_mov_b32_e32 v12, s5
	v_add_co_u32_e64 v13, s[4:5], s4, v14
	v_addc_co_u32_e64 v12, s[4:5], v15, v12, s[4:5]
	v_add_co_u32_e64 v10, s[4:5], v13, v10
	v_addc_co_u32_e64 v11, s[4:5], v12, v11, s[4:5]
	s_and_saveexec_b64 s[4:5], vcc
	s_cbranch_execz .LBB81_16
; %bb.15:
	v_mul_f64 v[12:13], v[2:3], s[18:19]
	global_store_dwordx2 v[10:11], v[12:13], off
.LBB81_16:
	s_or_b64 exec, exec, s[4:5]
	s_and_b64 exec, exec, s[2:3]
	s_cbranch_execz .LBB81_18
; %bb.17:
	v_mul_f64 v[12:13], v[0:1], s[18:19]
	global_store_dwordx2 v[10:11], v[12:13], off offset:128
.LBB81_18:
	s_or_b64 exec, exec, s[10:11]
	s_cbranch_execz .LBB81_21
.LBB81_19:
	s_endpgm
.LBB81_20:
.LBB81_21:
	s_and_saveexec_b64 s[2:3], s[0:1]
	s_cbranch_execz .LBB81_19
; %bb.22:
	s_mul_i32 s0, s8, s47
	s_mul_hi_u32 s1, s8, s46
	s_add_i32 s1, s1, s0
	s_mul_i32 s0, s8, s46
	s_lshl_b64 s[0:1], s[0:1], 3
	s_add_u32 s2, s42, s0
	v_mov_b32_e32 v10, s7
	v_add_co_u32_e32 v12, vcc, s6, v20
	s_addc_u32 s3, s43, s1
	v_addc_co_u32_e32 v13, vcc, 0, v10, vcc
	v_mul_lo_u32 v14, v9, s44
	v_mul_lo_u32 v15, v8, s45
	v_mad_u64_u32 v[10:11], s[0:1], v8, s44, 0
	v_add3_u32 v11, v11, v15, v14
	v_mul_lo_u32 v14, v9, s50
	v_mul_lo_u32 v15, v8, s51
	v_mad_u64_u32 v[16:17], s[0:1], v8, s50, 0
	v_lshlrev_b64 v[10:11], 3, v[10:11]
	v_add3_u32 v17, v17, v15, v14
	v_mov_b32_e32 v15, s3
	v_add_co_u32_e64 v14, s[0:1], s2, v10
	v_addc_co_u32_e64 v15, s[0:1], v15, v11, s[0:1]
	v_lshlrev_b64 v[10:11], 3, v[16:17]
	v_mov_b32_e32 v17, s20
	v_add_co_u32_e64 v16, s[0:1], s9, v10
	v_cmp_gt_i64_e32 vcc, s[12:13], v[12:13]
	v_addc_co_u32_e64 v17, s[0:1], v17, v11, s[0:1]
	v_lshlrev_b64 v[10:11], 3, v[12:13]
	s_and_saveexec_b64 s[2:3], vcc
	s_cbranch_execz .LBB81_24
; %bb.23:
	v_add_co_u32_e64 v18, s[0:1], v14, v10
	v_addc_co_u32_e64 v19, s[0:1], v15, v11, s[0:1]
	global_load_dwordx2 v[18:19], v[18:19], off
	s_waitcnt vmcnt(0)
	v_mul_f64 v[18:19], v[18:19], s[40:41]
	v_fmac_f64_e32 v[18:19], s[18:19], v[6:7]
	v_add_co_u32_e64 v6, s[0:1], v16, v10
	v_addc_co_u32_e64 v7, s[0:1], v17, v11, s[0:1]
	global_store_dwordx2 v[6:7], v[18:19], off
.LBB81_24:
	s_or_b64 exec, exec, s[2:3]
	v_add_co_u32_e64 v6, s[0:1], 16, v12
	v_addc_co_u32_e64 v7, s[0:1], 0, v13, s[0:1]
	v_cmp_gt_i64_e64 s[0:1], s[12:13], v[6:7]
	s_and_saveexec_b64 s[4:5], s[0:1]
	s_cbranch_execz .LBB81_26
; %bb.25:
	v_add_co_u32_e64 v6, s[2:3], v14, v10
	v_addc_co_u32_e64 v7, s[2:3], v15, v11, s[2:3]
	global_load_dwordx2 v[6:7], v[6:7], off offset:128
	s_waitcnt vmcnt(0)
	v_mul_f64 v[6:7], v[6:7], s[40:41]
	v_fmac_f64_e32 v[6:7], s[18:19], v[4:5]
	v_add_co_u32_e64 v4, s[2:3], v16, v10
	v_addc_co_u32_e64 v5, s[2:3], v17, v11, s[2:3]
	global_store_dwordx2 v[4:5], v[6:7], off offset:128
.LBB81_26:
	s_or_b64 exec, exec, s[4:5]
	v_add_co_u32_e64 v4, s[2:3], 16, v8
	v_addc_co_u32_e64 v5, s[2:3], 0, v9, s[2:3]
	v_cmp_gt_i64_e64 s[2:3], s[14:15], v[4:5]
	s_and_b64 exec, exec, s[2:3]
	s_cbranch_execz .LBB81_19
; %bb.27:
	s_lshl_b64 s[2:3], s[44:45], 7
	v_mov_b32_e32 v4, s3
	v_add_co_u32_e64 v5, s[2:3], s2, v14
	v_addc_co_u32_e64 v6, s[2:3], v15, v4, s[2:3]
	s_lshl_b64 s[2:3], s[50:51], 7
	v_mov_b32_e32 v4, s3
	v_add_co_u32_e64 v7, s[2:3], s2, v16
	v_addc_co_u32_e64 v8, s[2:3], v17, v4, s[2:3]
	v_add_co_u32_e64 v4, s[2:3], v5, v10
	v_addc_co_u32_e64 v5, s[2:3], v6, v11, s[2:3]
	v_add_co_u32_e64 v6, s[2:3], v7, v10
	v_addc_co_u32_e64 v7, s[2:3], v8, v11, s[2:3]
	s_and_saveexec_b64 s[2:3], vcc
	s_cbranch_execz .LBB81_29
; %bb.28:
	global_load_dwordx2 v[8:9], v[4:5], off
	s_waitcnt vmcnt(0)
	v_mul_f64 v[8:9], v[8:9], s[40:41]
	v_fmac_f64_e32 v[8:9], s[18:19], v[2:3]
	global_store_dwordx2 v[6:7], v[8:9], off
.LBB81_29:
	s_or_b64 exec, exec, s[2:3]
	s_and_b64 exec, exec, s[0:1]
	s_cbranch_execz .LBB81_19
; %bb.30:
	global_load_dwordx2 v[2:3], v[4:5], off offset:128
	s_waitcnt vmcnt(0)
	v_mul_f64 v[2:3], v[2:3], s[40:41]
	v_fmac_f64_e32 v[2:3], s[18:19], v[0:1]
	global_store_dwordx2 v[6:7], v[2:3], off offset:128
	s_endpgm
	.section	.rodata,"a",@progbits
	.p2align	6, 0x0
	.amdhsa_kernel _ZN12_GLOBAL__N_135rocblas_gemm_batched_general_kernelIdLi16ELi16ELi32ELi32ELi8ELi32ELi8ELi8ELi32ELc84ELc84EKdS1_dEEvlllT_PT11_llS4_llS2_PT12_llPT13_lli
		.amdhsa_group_segment_fixed_size 4096
		.amdhsa_private_segment_fixed_size 0
		.amdhsa_kernarg_size 140
		.amdhsa_user_sgpr_count 6
		.amdhsa_user_sgpr_private_segment_buffer 1
		.amdhsa_user_sgpr_dispatch_ptr 0
		.amdhsa_user_sgpr_queue_ptr 0
		.amdhsa_user_sgpr_kernarg_segment_ptr 1
		.amdhsa_user_sgpr_dispatch_id 0
		.amdhsa_user_sgpr_flat_scratch_init 0
		.amdhsa_user_sgpr_kernarg_preload_length 0
		.amdhsa_user_sgpr_kernarg_preload_offset 0
		.amdhsa_user_sgpr_private_segment_size 0
		.amdhsa_uses_dynamic_stack 0
		.amdhsa_system_sgpr_private_segment_wavefront_offset 0
		.amdhsa_system_sgpr_workgroup_id_x 1
		.amdhsa_system_sgpr_workgroup_id_y 1
		.amdhsa_system_sgpr_workgroup_id_z 1
		.amdhsa_system_sgpr_workgroup_info 0
		.amdhsa_system_vgpr_workitem_id 1
		.amdhsa_next_free_vgpr 58
		.amdhsa_next_free_sgpr 52
		.amdhsa_accum_offset 60
		.amdhsa_reserve_vcc 1
		.amdhsa_reserve_flat_scratch 0
		.amdhsa_float_round_mode_32 0
		.amdhsa_float_round_mode_16_64 0
		.amdhsa_float_denorm_mode_32 3
		.amdhsa_float_denorm_mode_16_64 3
		.amdhsa_dx10_clamp 1
		.amdhsa_ieee_mode 1
		.amdhsa_fp16_overflow 0
		.amdhsa_tg_split 0
		.amdhsa_exception_fp_ieee_invalid_op 0
		.amdhsa_exception_fp_denorm_src 0
		.amdhsa_exception_fp_ieee_div_zero 0
		.amdhsa_exception_fp_ieee_overflow 0
		.amdhsa_exception_fp_ieee_underflow 0
		.amdhsa_exception_fp_ieee_inexact 0
		.amdhsa_exception_int_div_zero 0
	.end_amdhsa_kernel
	.section	.text._ZN12_GLOBAL__N_135rocblas_gemm_batched_general_kernelIdLi16ELi16ELi32ELi32ELi8ELi32ELi8ELi8ELi32ELc84ELc84EKdS1_dEEvlllT_PT11_llS4_llS2_PT12_llPT13_lli,"axG",@progbits,_ZN12_GLOBAL__N_135rocblas_gemm_batched_general_kernelIdLi16ELi16ELi32ELi32ELi8ELi32ELi8ELi8ELi32ELc84ELc84EKdS1_dEEvlllT_PT11_llS4_llS2_PT12_llPT13_lli,comdat
.Lfunc_end81:
	.size	_ZN12_GLOBAL__N_135rocblas_gemm_batched_general_kernelIdLi16ELi16ELi32ELi32ELi8ELi32ELi8ELi8ELi32ELc84ELc84EKdS1_dEEvlllT_PT11_llS4_llS2_PT12_llPT13_lli, .Lfunc_end81-_ZN12_GLOBAL__N_135rocblas_gemm_batched_general_kernelIdLi16ELi16ELi32ELi32ELi8ELi32ELi8ELi8ELi32ELc84ELc84EKdS1_dEEvlllT_PT11_llS4_llS2_PT12_llPT13_lli
                                        ; -- End function
	.section	.AMDGPU.csdata,"",@progbits
; Kernel info:
; codeLenInByte = 1928
; NumSgprs: 56
; NumVgprs: 58
; NumAgprs: 0
; TotalNumVgprs: 58
; ScratchSize: 0
; MemoryBound: 0
; FloatMode: 240
; IeeeMode: 1
; LDSByteSize: 4096 bytes/workgroup (compile time only)
; SGPRBlocks: 6
; VGPRBlocks: 7
; NumSGPRsForWavesPerEU: 56
; NumVGPRsForWavesPerEU: 58
; AccumOffset: 60
; Occupancy: 8
; WaveLimiterHint : 0
; COMPUTE_PGM_RSRC2:SCRATCH_EN: 0
; COMPUTE_PGM_RSRC2:USER_SGPR: 6
; COMPUTE_PGM_RSRC2:TRAP_HANDLER: 0
; COMPUTE_PGM_RSRC2:TGID_X_EN: 1
; COMPUTE_PGM_RSRC2:TGID_Y_EN: 1
; COMPUTE_PGM_RSRC2:TGID_Z_EN: 1
; COMPUTE_PGM_RSRC2:TIDIG_COMP_CNT: 1
; COMPUTE_PGM_RSRC3_GFX90A:ACCUM_OFFSET: 14
; COMPUTE_PGM_RSRC3_GFX90A:TG_SPLIT: 0
	.section	.text._ZN12_GLOBAL__N_135rocblas_gemm_batched_general_kernelIdLi16ELi16ELi32ELi32ELi8ELi32ELi8ELi8ELi32ELc67ELc67EKdS1_dEEvlllT_PT11_llS4_llS2_PT12_llPT13_lli,"axG",@progbits,_ZN12_GLOBAL__N_135rocblas_gemm_batched_general_kernelIdLi16ELi16ELi32ELi32ELi8ELi32ELi8ELi8ELi32ELc67ELc67EKdS1_dEEvlllT_PT11_llS4_llS2_PT12_llPT13_lli,comdat
	.globl	_ZN12_GLOBAL__N_135rocblas_gemm_batched_general_kernelIdLi16ELi16ELi32ELi32ELi8ELi32ELi8ELi8ELi32ELc67ELc67EKdS1_dEEvlllT_PT11_llS4_llS2_PT12_llPT13_lli ; -- Begin function _ZN12_GLOBAL__N_135rocblas_gemm_batched_general_kernelIdLi16ELi16ELi32ELi32ELi8ELi32ELi8ELi8ELi32ELc67ELc67EKdS1_dEEvlllT_PT11_llS4_llS2_PT12_llPT13_lli
	.p2align	8
	.type	_ZN12_GLOBAL__N_135rocblas_gemm_batched_general_kernelIdLi16ELi16ELi32ELi32ELi8ELi32ELi8ELi8ELi32ELc67ELc67EKdS1_dEEvlllT_PT11_llS4_llS2_PT12_llPT13_lli,@function
_ZN12_GLOBAL__N_135rocblas_gemm_batched_general_kernelIdLi16ELi16ELi32ELi32ELi8ELi32ELi8ELi8ELi32ELc67ELc67EKdS1_dEEvlllT_PT11_llS4_llS2_PT12_llPT13_lli: ; @_ZN12_GLOBAL__N_135rocblas_gemm_batched_general_kernelIdLi16ELi16ELi32ELi32ELi8ELi32ELi8ELi8ELi32ELc67ELc67EKdS1_dEEvlllT_PT11_llS4_llS2_PT12_llPT13_lli
; %bb.0:
	s_load_dwordx16 s[12:27], s[4:5], 0x0
	s_load_dwordx16 s[36:51], s[4:5], 0x40
	s_mov_b32 s30, s7
	s_ashr_i32 s7, s6, 31
	s_ashr_i32 s31, s30, 31
	s_waitcnt lgkmcnt(0)
	v_cmp_lt_i64_e64 s[0:1], s[16:17], 1
	v_pk_mov_b32 v[6:7], 0, 0
	v_and_b32_e32 v20, 0x3ff, v0
	v_bfe_u32 v9, v0, 10, 10
	s_lshl_b64 s[6:7], s[6:7], 5
	s_lshl_b64 s[10:11], s[30:31], 5
	s_mov_b64 s[28:29], 0
	s_and_b64 vcc, exec, s[0:1]
	v_pk_mov_b32 v[4:5], v[6:7], v[6:7] op_sel:[0,1]
	v_pk_mov_b32 v[2:3], v[6:7], v[6:7] op_sel:[0,1]
	;; [unrolled: 1-line block ×3, first 2 shown]
	s_cbranch_vccnz .LBB82_7
; %bb.1:
	v_lshl_add_u32 v4, v9, 4, v20
	v_lshrrev_b32_e32 v5, 3, v4
	v_mov_b32_e32 v1, s11
	v_add_co_u32_e32 v0, vcc, s10, v5
	v_and_b32_e32 v10, 7, v20
	v_addc_co_u32_e32 v1, vcc, 0, v1, vcc
	v_cmp_gt_i64_e64 s[2:3], s[14:15], v[0:1]
	v_lshlrev_b32_e32 v0, 3, v10
	v_and_b32_e32 v6, 31, v4
	v_lshl_or_b32 v0, v5, 6, v0
	v_mov_b32_e32 v3, s7
	v_or_b32_e32 v2, s6, v6
	v_add_u32_e32 v21, 0x800, v0
	v_mov_b32_e32 v0, 0x800
	v_lshrrev_b32_e32 v8, 5, v4
	v_cmp_gt_i64_e64 s[0:1], s[12:13], v[2:3]
	v_lshlrev_b32_e32 v2, 3, v6
	v_lshl_add_u32 v23, v9, 6, v0
	s_mul_i32 s9, s39, s8
	s_mul_hi_u32 s33, s38, s8
	s_mul_i32 s34, s38, s8
	v_mad_u64_u32 v[0:1], s[38:39], s36, v10, 0
	v_lshl_or_b32 v11, v8, 8, v2
	s_add_i32 s35, s33, s9
	v_mov_b32_e32 v2, v1
	s_lshl_b64 s[34:35], s[34:35], 3
	v_mad_u64_u32 v[2:3], s[38:39], s37, v10, v[2:3]
	s_lshl_b64 s[30:31], s[30:31], 8
	v_mov_b32_e32 v1, v2
	s_add_u32 s9, s30, s34
	v_lshlrev_b64 v[0:1], 3, v[0:1]
	s_addc_u32 s30, s31, s35
	v_mov_b32_e32 v2, s30
	v_add_co_u32_e32 v0, vcc, s9, v0
	v_addc_co_u32_e32 v1, vcc, v2, v1, vcc
	v_and_b32_e32 v2, 0x7ff8, v4
	v_add_co_u32_e32 v0, vcc, v0, v2
	v_addc_co_u32_e32 v1, vcc, 0, v1, vcc
	v_mov_b32_e32 v2, s27
	v_add_co_u32_e32 v12, vcc, s26, v0
	v_addc_co_u32_e32 v13, vcc, v2, v1, vcc
	v_mov_b32_e32 v0, s7
	v_add_co_u32_e32 v1, vcc, s6, v6
	v_addc_co_u32_e32 v0, vcc, 0, v0, vcc
	v_mul_lo_u32 v2, s23, v1
	v_mul_lo_u32 v3, s22, v0
	v_mad_u64_u32 v[0:1], s[22:23], s22, v1, 0
	s_mul_i32 s9, s25, s8
	s_mul_hi_u32 s22, s24, s8
	v_add3_u32 v1, v1, v3, v2
	s_add_i32 s23, s22, s9
	s_mul_i32 s22, s24, s8
	v_lshlrev_b64 v[0:1], 3, v[0:1]
	s_lshl_b64 s[22:23], s[22:23], 3
	v_mov_b32_e32 v2, s23
	v_add_co_u32_e32 v0, vcc, s22, v0
	v_addc_co_u32_e32 v1, vcc, v1, v2, vcc
	v_lshlrev_b32_e32 v2, 3, v8
	v_add_co_u32_e32 v0, vcc, v0, v2
	v_addc_co_u32_e32 v1, vcc, 0, v1, vcc
	s_lshl_b64 s[26:27], s[36:37], 6
	v_mov_b32_e32 v2, s21
	v_add_co_u32_e32 v14, vcc, s20, v0
	v_pk_mov_b32 v[16:17], 0, 0
	v_lshlrev_b32_e32 v22, 3, v20
	v_addc_co_u32_e32 v15, vcc, v2, v1, vcc
	v_mov_b32_e32 v24, s27
	v_pk_mov_b32 v[0:1], v[16:17], v[16:17] op_sel:[0,1]
	v_pk_mov_b32 v[2:3], v[16:17], v[16:17] op_sel:[0,1]
	;; [unrolled: 1-line block ×4, first 2 shown]
	s_branch .LBB82_3
.LBB82_2:                               ;   in Loop: Header=BB82_3 Depth=1
	s_or_b64 exec, exec, s[20:21]
	s_waitcnt vmcnt(0)
	ds_write_b64 v21, v[18:19]
	s_waitcnt lgkmcnt(0)
	s_barrier
	ds_read2_b64 v[26:29], v22 offset1:16
	ds_read_b128 v[30:33], v23
	ds_read_b128 v[34:37], v23 offset:16
	ds_read_b128 v[38:41], v23 offset:32
	;; [unrolled: 1-line block ×4, first 2 shown]
	ds_read2_b64 v[50:53], v22 offset0:32 offset1:48
	s_waitcnt lgkmcnt(5)
	v_fmac_f64_e32 v[6:7], v[26:27], v[30:31]
	v_fmac_f64_e32 v[4:5], v[28:29], v[30:31]
	ds_read_b128 v[54:57], v23 offset:1040
	s_waitcnt lgkmcnt(2)
	v_fmac_f64_e32 v[2:3], v[26:27], v[46:47]
	v_fmac_f64_e32 v[0:1], v[28:29], v[46:47]
	ds_read2_b64 v[26:29], v22 offset0:64 offset1:80
	s_waitcnt lgkmcnt(2)
	v_fmac_f64_e32 v[6:7], v[50:51], v[32:33]
	v_fmac_f64_e32 v[4:5], v[52:53], v[32:33]
	ds_read2_b64 v[30:33], v22 offset0:96 offset1:112
	v_fmac_f64_e32 v[2:3], v[50:51], v[48:49]
	v_fmac_f64_e32 v[0:1], v[52:53], v[48:49]
	ds_read_b128 v[46:49], v23 offset:1072
	s_waitcnt lgkmcnt(2)
	v_fmac_f64_e32 v[6:7], v[26:27], v[34:35]
	v_fmac_f64_e32 v[4:5], v[28:29], v[34:35]
	v_fmac_f64_e32 v[2:3], v[26:27], v[54:55]
	v_fmac_f64_e32 v[0:1], v[28:29], v[54:55]
	s_waitcnt lgkmcnt(1)
	v_fmac_f64_e32 v[6:7], v[30:31], v[36:37]
	ds_read2_b64 v[26:29], v22 offset0:128 offset1:144
	v_fmac_f64_e32 v[4:5], v[32:33], v[36:37]
	v_fmac_f64_e32 v[2:3], v[30:31], v[56:57]
	;; [unrolled: 1-line block ×3, first 2 shown]
	ds_read_b128 v[30:33], v23 offset:1056
	ds_read2_b64 v[34:37], v22 offset0:160 offset1:176
	s_waitcnt lgkmcnt(2)
	v_fmac_f64_e32 v[6:7], v[26:27], v[38:39]
	v_fmac_f64_e32 v[4:5], v[28:29], v[38:39]
	v_add_co_u32_e32 v12, vcc, s26, v12
	s_waitcnt lgkmcnt(1)
	v_fmac_f64_e32 v[2:3], v[26:27], v[30:31]
	v_fmac_f64_e32 v[0:1], v[28:29], v[30:31]
	ds_read2_b64 v[26:29], v22 offset0:192 offset1:208
	s_waitcnt lgkmcnt(1)
	v_fmac_f64_e32 v[2:3], v[34:35], v[32:33]
	v_fmac_f64_e32 v[0:1], v[36:37], v[32:33]
	ds_read2_b64 v[30:33], v22 offset0:224 offset1:240
	v_addc_co_u32_e32 v13, vcc, v13, v24, vcc
	s_add_u32 s28, s28, 8
	v_add_co_u32_e32 v14, vcc, 64, v14
	v_fmac_f64_e32 v[6:7], v[34:35], v[40:41]
	v_fmac_f64_e32 v[4:5], v[36:37], v[40:41]
	s_addc_u32 s29, s29, 0
	v_addc_co_u32_e32 v15, vcc, 0, v15, vcc
	v_pk_mov_b32 v[18:19], s[16:17], s[16:17] op_sel:[0,1]
	s_waitcnt lgkmcnt(1)
	v_fmac_f64_e32 v[6:7], v[26:27], v[42:43]
	v_fmac_f64_e32 v[4:5], v[28:29], v[42:43]
	;; [unrolled: 1-line block ×4, first 2 shown]
	v_cmp_lt_i64_e32 vcc, s[28:29], v[18:19]
	s_waitcnt lgkmcnt(0)
	v_fmac_f64_e32 v[6:7], v[30:31], v[44:45]
	v_fmac_f64_e32 v[4:5], v[32:33], v[44:45]
	v_fmac_f64_e32 v[2:3], v[30:31], v[48:49]
	v_fmac_f64_e32 v[0:1], v[32:33], v[48:49]
	s_barrier
	s_cbranch_vccz .LBB82_7
.LBB82_3:                               ; =>This Inner Loop Header: Depth=1
	v_mov_b32_e32 v19, s29
	v_add_co_u32_e32 v18, vcc, s28, v8
	v_addc_co_u32_e32 v19, vcc, 0, v19, vcc
	v_cmp_gt_i64_e32 vcc, s[16:17], v[18:19]
	s_and_b64 s[22:23], s[0:1], vcc
	v_pk_mov_b32 v[18:19], v[16:17], v[16:17] op_sel:[0,1]
	s_and_saveexec_b64 s[20:21], s[22:23]
	s_cbranch_execz .LBB82_5
; %bb.4:                                ;   in Loop: Header=BB82_3 Depth=1
	global_load_dwordx2 v[18:19], v[14:15], off
.LBB82_5:                               ;   in Loop: Header=BB82_3 Depth=1
	s_or_b64 exec, exec, s[20:21]
	s_waitcnt vmcnt(0)
	ds_write_b64 v11, v[18:19]
	v_mov_b32_e32 v19, s29
	v_add_co_u32_e32 v18, vcc, s28, v10
	v_addc_co_u32_e32 v19, vcc, 0, v19, vcc
	v_cmp_gt_i64_e32 vcc, s[16:17], v[18:19]
	s_and_b64 s[22:23], vcc, s[2:3]
	v_pk_mov_b32 v[18:19], v[16:17], v[16:17] op_sel:[0,1]
	s_and_saveexec_b64 s[20:21], s[22:23]
	s_cbranch_execz .LBB82_2
; %bb.6:                                ;   in Loop: Header=BB82_3 Depth=1
	global_load_dwordx2 v[18:19], v[12:13], off
	s_branch .LBB82_2
.LBB82_7:
	s_load_dwordx2 s[0:1], s[4:5], 0x80
	v_mov_b32_e32 v10, s11
	v_add_co_u32_e32 v8, vcc, s10, v9
	v_addc_co_u32_e32 v9, vcc, 0, v10, vcc
	s_waitcnt lgkmcnt(0)
	s_mul_i32 s1, s8, s1
	s_mul_hi_u32 s2, s8, s0
	s_mul_i32 s0, s8, s0
	s_add_i32 s1, s2, s1
	s_lshl_b64 s[0:1], s[0:1], 3
	s_add_u32 s9, s48, s0
	v_cmp_neq_f64_e64 s[2:3], s[40:41], 0
	s_addc_u32 s20, s49, s1
	v_cmp_gt_i64_e64 s[0:1], s[14:15], v[8:9]
	s_and_b64 vcc, exec, s[2:3]
	s_cbranch_vccnz .LBB82_20
; %bb.8:
	s_and_saveexec_b64 s[10:11], s[0:1]
	s_cbranch_execz .LBB82_18
; %bb.9:
	v_mov_b32_e32 v10, s7
	v_add_co_u32_e32 v12, vcc, s6, v20
	v_addc_co_u32_e32 v13, vcc, 0, v10, vcc
	v_mul_lo_u32 v14, v9, s50
	v_mul_lo_u32 v15, v8, s51
	v_mad_u64_u32 v[10:11], s[2:3], v8, s50, 0
	v_add3_u32 v11, v11, v15, v14
	v_lshlrev_b64 v[10:11], 3, v[10:11]
	v_mov_b32_e32 v15, s20
	v_add_co_u32_e64 v14, s[2:3], s9, v10
	v_cmp_gt_i64_e32 vcc, s[12:13], v[12:13]
	v_addc_co_u32_e64 v15, s[2:3], v15, v11, s[2:3]
	v_lshlrev_b64 v[10:11], 3, v[12:13]
	s_and_saveexec_b64 s[4:5], vcc
	s_cbranch_execz .LBB82_11
; %bb.10:
	v_add_co_u32_e64 v16, s[2:3], v14, v10
	v_addc_co_u32_e64 v17, s[2:3], v15, v11, s[2:3]
	v_mul_f64 v[18:19], v[6:7], s[18:19]
	global_store_dwordx2 v[16:17], v[18:19], off
.LBB82_11:
	s_or_b64 exec, exec, s[4:5]
	v_add_co_u32_e64 v12, s[2:3], 16, v12
	v_addc_co_u32_e64 v13, s[2:3], 0, v13, s[2:3]
	v_cmp_gt_i64_e64 s[2:3], s[12:13], v[12:13]
	s_and_saveexec_b64 s[16:17], s[2:3]
	s_cbranch_execz .LBB82_13
; %bb.12:
	v_add_co_u32_e64 v12, s[4:5], v14, v10
	v_addc_co_u32_e64 v13, s[4:5], v15, v11, s[4:5]
	v_mul_f64 v[16:17], v[4:5], s[18:19]
	global_store_dwordx2 v[12:13], v[16:17], off offset:128
.LBB82_13:
	s_or_b64 exec, exec, s[16:17]
	v_add_co_u32_e64 v12, s[4:5], 16, v8
	v_addc_co_u32_e64 v13, s[4:5], 0, v9, s[4:5]
	v_cmp_gt_i64_e64 s[4:5], s[14:15], v[12:13]
	s_and_b64 exec, exec, s[4:5]
	s_cbranch_execz .LBB82_18
; %bb.14:
	s_lshl_b64 s[4:5], s[50:51], 7
	v_mov_b32_e32 v12, s5
	v_add_co_u32_e64 v13, s[4:5], s4, v14
	v_addc_co_u32_e64 v12, s[4:5], v15, v12, s[4:5]
	v_add_co_u32_e64 v10, s[4:5], v13, v10
	v_addc_co_u32_e64 v11, s[4:5], v12, v11, s[4:5]
	s_and_saveexec_b64 s[4:5], vcc
	s_cbranch_execz .LBB82_16
; %bb.15:
	v_mul_f64 v[12:13], v[2:3], s[18:19]
	global_store_dwordx2 v[10:11], v[12:13], off
.LBB82_16:
	s_or_b64 exec, exec, s[4:5]
	s_and_b64 exec, exec, s[2:3]
	s_cbranch_execz .LBB82_18
; %bb.17:
	v_mul_f64 v[12:13], v[0:1], s[18:19]
	global_store_dwordx2 v[10:11], v[12:13], off offset:128
.LBB82_18:
	s_or_b64 exec, exec, s[10:11]
	s_cbranch_execz .LBB82_21
.LBB82_19:
	s_endpgm
.LBB82_20:
.LBB82_21:
	s_and_saveexec_b64 s[2:3], s[0:1]
	s_cbranch_execz .LBB82_19
; %bb.22:
	s_mul_i32 s0, s8, s47
	s_mul_hi_u32 s1, s8, s46
	s_add_i32 s1, s1, s0
	s_mul_i32 s0, s8, s46
	s_lshl_b64 s[0:1], s[0:1], 3
	s_add_u32 s2, s42, s0
	v_mov_b32_e32 v10, s7
	v_add_co_u32_e32 v12, vcc, s6, v20
	s_addc_u32 s3, s43, s1
	v_addc_co_u32_e32 v13, vcc, 0, v10, vcc
	v_mul_lo_u32 v14, v9, s44
	v_mul_lo_u32 v15, v8, s45
	v_mad_u64_u32 v[10:11], s[0:1], v8, s44, 0
	v_add3_u32 v11, v11, v15, v14
	v_mul_lo_u32 v14, v9, s50
	v_mul_lo_u32 v15, v8, s51
	v_mad_u64_u32 v[16:17], s[0:1], v8, s50, 0
	v_lshlrev_b64 v[10:11], 3, v[10:11]
	v_add3_u32 v17, v17, v15, v14
	v_mov_b32_e32 v15, s3
	v_add_co_u32_e64 v14, s[0:1], s2, v10
	v_addc_co_u32_e64 v15, s[0:1], v15, v11, s[0:1]
	v_lshlrev_b64 v[10:11], 3, v[16:17]
	v_mov_b32_e32 v17, s20
	v_add_co_u32_e64 v16, s[0:1], s9, v10
	v_cmp_gt_i64_e32 vcc, s[12:13], v[12:13]
	v_addc_co_u32_e64 v17, s[0:1], v17, v11, s[0:1]
	v_lshlrev_b64 v[10:11], 3, v[12:13]
	s_and_saveexec_b64 s[2:3], vcc
	s_cbranch_execz .LBB82_24
; %bb.23:
	v_add_co_u32_e64 v18, s[0:1], v14, v10
	v_addc_co_u32_e64 v19, s[0:1], v15, v11, s[0:1]
	global_load_dwordx2 v[18:19], v[18:19], off
	s_waitcnt vmcnt(0)
	v_mul_f64 v[18:19], v[18:19], s[40:41]
	v_fmac_f64_e32 v[18:19], s[18:19], v[6:7]
	v_add_co_u32_e64 v6, s[0:1], v16, v10
	v_addc_co_u32_e64 v7, s[0:1], v17, v11, s[0:1]
	global_store_dwordx2 v[6:7], v[18:19], off
.LBB82_24:
	s_or_b64 exec, exec, s[2:3]
	v_add_co_u32_e64 v6, s[0:1], 16, v12
	v_addc_co_u32_e64 v7, s[0:1], 0, v13, s[0:1]
	v_cmp_gt_i64_e64 s[0:1], s[12:13], v[6:7]
	s_and_saveexec_b64 s[4:5], s[0:1]
	s_cbranch_execz .LBB82_26
; %bb.25:
	v_add_co_u32_e64 v6, s[2:3], v14, v10
	v_addc_co_u32_e64 v7, s[2:3], v15, v11, s[2:3]
	global_load_dwordx2 v[6:7], v[6:7], off offset:128
	s_waitcnt vmcnt(0)
	v_mul_f64 v[6:7], v[6:7], s[40:41]
	v_fmac_f64_e32 v[6:7], s[18:19], v[4:5]
	v_add_co_u32_e64 v4, s[2:3], v16, v10
	v_addc_co_u32_e64 v5, s[2:3], v17, v11, s[2:3]
	global_store_dwordx2 v[4:5], v[6:7], off offset:128
.LBB82_26:
	s_or_b64 exec, exec, s[4:5]
	v_add_co_u32_e64 v4, s[2:3], 16, v8
	v_addc_co_u32_e64 v5, s[2:3], 0, v9, s[2:3]
	v_cmp_gt_i64_e64 s[2:3], s[14:15], v[4:5]
	s_and_b64 exec, exec, s[2:3]
	s_cbranch_execz .LBB82_19
; %bb.27:
	s_lshl_b64 s[2:3], s[44:45], 7
	v_mov_b32_e32 v4, s3
	v_add_co_u32_e64 v5, s[2:3], s2, v14
	v_addc_co_u32_e64 v6, s[2:3], v15, v4, s[2:3]
	s_lshl_b64 s[2:3], s[50:51], 7
	v_mov_b32_e32 v4, s3
	v_add_co_u32_e64 v7, s[2:3], s2, v16
	v_addc_co_u32_e64 v8, s[2:3], v17, v4, s[2:3]
	v_add_co_u32_e64 v4, s[2:3], v5, v10
	v_addc_co_u32_e64 v5, s[2:3], v6, v11, s[2:3]
	;; [unrolled: 2-line block ×3, first 2 shown]
	s_and_saveexec_b64 s[2:3], vcc
	s_cbranch_execz .LBB82_29
; %bb.28:
	global_load_dwordx2 v[8:9], v[4:5], off
	s_waitcnt vmcnt(0)
	v_mul_f64 v[8:9], v[8:9], s[40:41]
	v_fmac_f64_e32 v[8:9], s[18:19], v[2:3]
	global_store_dwordx2 v[6:7], v[8:9], off
.LBB82_29:
	s_or_b64 exec, exec, s[2:3]
	s_and_b64 exec, exec, s[0:1]
	s_cbranch_execz .LBB82_19
; %bb.30:
	global_load_dwordx2 v[2:3], v[4:5], off offset:128
	s_waitcnt vmcnt(0)
	v_mul_f64 v[2:3], v[2:3], s[40:41]
	v_fmac_f64_e32 v[2:3], s[18:19], v[0:1]
	global_store_dwordx2 v[6:7], v[2:3], off offset:128
	s_endpgm
	.section	.rodata,"a",@progbits
	.p2align	6, 0x0
	.amdhsa_kernel _ZN12_GLOBAL__N_135rocblas_gemm_batched_general_kernelIdLi16ELi16ELi32ELi32ELi8ELi32ELi8ELi8ELi32ELc67ELc67EKdS1_dEEvlllT_PT11_llS4_llS2_PT12_llPT13_lli
		.amdhsa_group_segment_fixed_size 4096
		.amdhsa_private_segment_fixed_size 0
		.amdhsa_kernarg_size 140
		.amdhsa_user_sgpr_count 6
		.amdhsa_user_sgpr_private_segment_buffer 1
		.amdhsa_user_sgpr_dispatch_ptr 0
		.amdhsa_user_sgpr_queue_ptr 0
		.amdhsa_user_sgpr_kernarg_segment_ptr 1
		.amdhsa_user_sgpr_dispatch_id 0
		.amdhsa_user_sgpr_flat_scratch_init 0
		.amdhsa_user_sgpr_kernarg_preload_length 0
		.amdhsa_user_sgpr_kernarg_preload_offset 0
		.amdhsa_user_sgpr_private_segment_size 0
		.amdhsa_uses_dynamic_stack 0
		.amdhsa_system_sgpr_private_segment_wavefront_offset 0
		.amdhsa_system_sgpr_workgroup_id_x 1
		.amdhsa_system_sgpr_workgroup_id_y 1
		.amdhsa_system_sgpr_workgroup_id_z 1
		.amdhsa_system_sgpr_workgroup_info 0
		.amdhsa_system_vgpr_workitem_id 1
		.amdhsa_next_free_vgpr 58
		.amdhsa_next_free_sgpr 52
		.amdhsa_accum_offset 60
		.amdhsa_reserve_vcc 1
		.amdhsa_reserve_flat_scratch 0
		.amdhsa_float_round_mode_32 0
		.amdhsa_float_round_mode_16_64 0
		.amdhsa_float_denorm_mode_32 3
		.amdhsa_float_denorm_mode_16_64 3
		.amdhsa_dx10_clamp 1
		.amdhsa_ieee_mode 1
		.amdhsa_fp16_overflow 0
		.amdhsa_tg_split 0
		.amdhsa_exception_fp_ieee_invalid_op 0
		.amdhsa_exception_fp_denorm_src 0
		.amdhsa_exception_fp_ieee_div_zero 0
		.amdhsa_exception_fp_ieee_overflow 0
		.amdhsa_exception_fp_ieee_underflow 0
		.amdhsa_exception_fp_ieee_inexact 0
		.amdhsa_exception_int_div_zero 0
	.end_amdhsa_kernel
	.section	.text._ZN12_GLOBAL__N_135rocblas_gemm_batched_general_kernelIdLi16ELi16ELi32ELi32ELi8ELi32ELi8ELi8ELi32ELc67ELc67EKdS1_dEEvlllT_PT11_llS4_llS2_PT12_llPT13_lli,"axG",@progbits,_ZN12_GLOBAL__N_135rocblas_gemm_batched_general_kernelIdLi16ELi16ELi32ELi32ELi8ELi32ELi8ELi8ELi32ELc67ELc67EKdS1_dEEvlllT_PT11_llS4_llS2_PT12_llPT13_lli,comdat
.Lfunc_end82:
	.size	_ZN12_GLOBAL__N_135rocblas_gemm_batched_general_kernelIdLi16ELi16ELi32ELi32ELi8ELi32ELi8ELi8ELi32ELc67ELc67EKdS1_dEEvlllT_PT11_llS4_llS2_PT12_llPT13_lli, .Lfunc_end82-_ZN12_GLOBAL__N_135rocblas_gemm_batched_general_kernelIdLi16ELi16ELi32ELi32ELi8ELi32ELi8ELi8ELi32ELc67ELc67EKdS1_dEEvlllT_PT11_llS4_llS2_PT12_llPT13_lli
                                        ; -- End function
	.section	.AMDGPU.csdata,"",@progbits
; Kernel info:
; codeLenInByte = 1928
; NumSgprs: 56
; NumVgprs: 58
; NumAgprs: 0
; TotalNumVgprs: 58
; ScratchSize: 0
; MemoryBound: 0
; FloatMode: 240
; IeeeMode: 1
; LDSByteSize: 4096 bytes/workgroup (compile time only)
; SGPRBlocks: 6
; VGPRBlocks: 7
; NumSGPRsForWavesPerEU: 56
; NumVGPRsForWavesPerEU: 58
; AccumOffset: 60
; Occupancy: 8
; WaveLimiterHint : 0
; COMPUTE_PGM_RSRC2:SCRATCH_EN: 0
; COMPUTE_PGM_RSRC2:USER_SGPR: 6
; COMPUTE_PGM_RSRC2:TRAP_HANDLER: 0
; COMPUTE_PGM_RSRC2:TGID_X_EN: 1
; COMPUTE_PGM_RSRC2:TGID_Y_EN: 1
; COMPUTE_PGM_RSRC2:TGID_Z_EN: 1
; COMPUTE_PGM_RSRC2:TIDIG_COMP_CNT: 1
; COMPUTE_PGM_RSRC3_GFX90A:ACCUM_OFFSET: 14
; COMPUTE_PGM_RSRC3_GFX90A:TG_SPLIT: 0
	.section	.text._ZN12_GLOBAL__N_135rocblas_gemm_batched_general_kernelIdLi16ELi16ELi32ELi32ELi8ELi32ELi8ELi8ELi32ELc67ELc78EKdS1_dEEvlllT_PT11_llS4_llS2_PT12_llPT13_lli,"axG",@progbits,_ZN12_GLOBAL__N_135rocblas_gemm_batched_general_kernelIdLi16ELi16ELi32ELi32ELi8ELi32ELi8ELi8ELi32ELc67ELc78EKdS1_dEEvlllT_PT11_llS4_llS2_PT12_llPT13_lli,comdat
	.globl	_ZN12_GLOBAL__N_135rocblas_gemm_batched_general_kernelIdLi16ELi16ELi32ELi32ELi8ELi32ELi8ELi8ELi32ELc67ELc78EKdS1_dEEvlllT_PT11_llS4_llS2_PT12_llPT13_lli ; -- Begin function _ZN12_GLOBAL__N_135rocblas_gemm_batched_general_kernelIdLi16ELi16ELi32ELi32ELi8ELi32ELi8ELi8ELi32ELc67ELc78EKdS1_dEEvlllT_PT11_llS4_llS2_PT12_llPT13_lli
	.p2align	8
	.type	_ZN12_GLOBAL__N_135rocblas_gemm_batched_general_kernelIdLi16ELi16ELi32ELi32ELi8ELi32ELi8ELi8ELi32ELc67ELc78EKdS1_dEEvlllT_PT11_llS4_llS2_PT12_llPT13_lli,@function
_ZN12_GLOBAL__N_135rocblas_gemm_batched_general_kernelIdLi16ELi16ELi32ELi32ELi8ELi32ELi8ELi8ELi32ELc67ELc78EKdS1_dEEvlllT_PT11_llS4_llS2_PT12_llPT13_lli: ; @_ZN12_GLOBAL__N_135rocblas_gemm_batched_general_kernelIdLi16ELi16ELi32ELi32ELi8ELi32ELi8ELi8ELi32ELc67ELc78EKdS1_dEEvlllT_PT11_llS4_llS2_PT12_llPT13_lli
; %bb.0:
	s_load_dwordx16 s[12:27], s[4:5], 0x0
	s_load_dwordx16 s[36:51], s[4:5], 0x40
	s_mov_b32 s0, s7
	s_ashr_i32 s1, s0, 31
	s_ashr_i32 s7, s6, 31
	s_lshl_b64 s[10:11], s[0:1], 5
	s_waitcnt lgkmcnt(0)
	v_cmp_lt_i64_e64 s[0:1], s[16:17], 1
	v_pk_mov_b32 v[6:7], 0, 0
	v_and_b32_e32 v22, 0x3ff, v0
	v_bfe_u32 v9, v0, 10, 10
	s_lshl_b64 s[6:7], s[6:7], 5
	s_mov_b64 s[28:29], 0
	s_and_b64 vcc, exec, s[0:1]
	v_pk_mov_b32 v[4:5], v[6:7], v[6:7] op_sel:[0,1]
	v_pk_mov_b32 v[2:3], v[6:7], v[6:7] op_sel:[0,1]
	;; [unrolled: 1-line block ×3, first 2 shown]
	s_cbranch_vccnz .LBB83_7
; %bb.1:
	v_lshl_add_u32 v2, v9, 4, v22
	v_and_b32_e32 v5, 31, v2
	v_lshrrev_b32_e32 v8, 5, v2
	v_lshrrev_b32_e32 v4, 3, v2
	v_mov_b32_e32 v3, s7
	v_or_b32_e32 v2, s6, v5
	v_and_b32_e32 v10, 7, v22
	v_cmp_gt_i64_e64 s[0:1], s[12:13], v[2:3]
	v_lshlrev_b32_e32 v2, 3, v5
	v_lshl_or_b32 v11, v8, 8, v2
	v_lshlrev_b32_e32 v2, 3, v10
	v_mov_b32_e32 v1, s11
	v_add_co_u32_e32 v0, vcc, s10, v4
	v_lshl_or_b32 v3, v4, 6, v2
	v_addc_co_u32_e32 v1, vcc, 0, v1, vcc
	v_add_u32_e32 v23, 0x800, v3
	v_mov_b32_e32 v3, 0x800
	v_cmp_gt_i64_e64 s[2:3], s[14:15], v[0:1]
	v_lshl_add_u32 v25, v9, 6, v3
	v_mul_lo_u32 v3, s37, v0
	v_mul_lo_u32 v4, s36, v1
	v_mad_u64_u32 v[0:1], s[30:31], s36, v0, 0
	s_mul_i32 s9, s39, s8
	s_mul_hi_u32 s30, s38, s8
	v_add3_u32 v1, v1, v4, v3
	s_add_i32 s31, s30, s9
	s_mul_i32 s30, s38, s8
	v_lshlrev_b64 v[0:1], 3, v[0:1]
	s_lshl_b64 s[30:31], s[30:31], 3
	v_mov_b32_e32 v3, s31
	v_add_co_u32_e32 v0, vcc, s30, v0
	v_addc_co_u32_e32 v1, vcc, v1, v3, vcc
	v_add_co_u32_e32 v0, vcc, v0, v2
	v_addc_co_u32_e32 v1, vcc, 0, v1, vcc
	v_mov_b32_e32 v2, s27
	v_add_co_u32_e32 v12, vcc, s26, v0
	v_addc_co_u32_e32 v13, vcc, v2, v1, vcc
	v_mov_b32_e32 v0, s7
	v_add_co_u32_e32 v1, vcc, s6, v5
	v_addc_co_u32_e32 v0, vcc, 0, v0, vcc
	v_mul_lo_u32 v2, s23, v1
	v_mul_lo_u32 v3, s22, v0
	v_mad_u64_u32 v[0:1], s[22:23], s22, v1, 0
	s_mul_i32 s9, s25, s8
	s_mul_hi_u32 s22, s24, s8
	v_add3_u32 v1, v1, v3, v2
	s_add_i32 s23, s22, s9
	s_mul_i32 s22, s24, s8
	v_lshlrev_b64 v[0:1], 3, v[0:1]
	s_lshl_b64 s[22:23], s[22:23], 3
	v_mov_b32_e32 v2, s23
	v_add_co_u32_e32 v0, vcc, s22, v0
	v_addc_co_u32_e32 v1, vcc, v1, v2, vcc
	v_lshlrev_b32_e32 v2, 3, v8
	v_add_co_u32_e32 v0, vcc, v0, v2
	v_addc_co_u32_e32 v1, vcc, 0, v1, vcc
	v_mov_b32_e32 v2, s21
	v_add_co_u32_e32 v14, vcc, s20, v0
	v_pk_mov_b32 v[16:17], 0, 0
	v_lshlrev_b32_e32 v24, 3, v22
	v_addc_co_u32_e32 v15, vcc, v2, v1, vcc
	v_pk_mov_b32 v[18:19], s[16:17], s[16:17] op_sel:[0,1]
	v_pk_mov_b32 v[0:1], v[16:17], v[16:17] op_sel:[0,1]
	;; [unrolled: 1-line block ×5, first 2 shown]
	s_branch .LBB83_3
.LBB83_2:                               ;   in Loop: Header=BB83_3 Depth=1
	s_or_b64 exec, exec, s[20:21]
	s_waitcnt vmcnt(0)
	ds_write_b64 v23, v[20:21]
	s_waitcnt lgkmcnt(0)
	s_barrier
	ds_read2_b64 v[26:29], v24 offset1:16
	ds_read_b128 v[30:33], v25
	ds_read_b128 v[34:37], v25 offset:16
	ds_read_b128 v[38:41], v25 offset:32
	;; [unrolled: 1-line block ×4, first 2 shown]
	ds_read2_b64 v[50:53], v24 offset0:32 offset1:48
	s_waitcnt lgkmcnt(5)
	v_fmac_f64_e32 v[6:7], v[26:27], v[30:31]
	v_fmac_f64_e32 v[4:5], v[28:29], v[30:31]
	ds_read_b128 v[54:57], v25 offset:1040
	s_waitcnt lgkmcnt(2)
	v_fmac_f64_e32 v[2:3], v[26:27], v[46:47]
	v_fmac_f64_e32 v[0:1], v[28:29], v[46:47]
	ds_read2_b64 v[26:29], v24 offset0:64 offset1:80
	s_waitcnt lgkmcnt(2)
	v_fmac_f64_e32 v[6:7], v[50:51], v[32:33]
	v_fmac_f64_e32 v[4:5], v[52:53], v[32:33]
	ds_read2_b64 v[30:33], v24 offset0:96 offset1:112
	v_fmac_f64_e32 v[2:3], v[50:51], v[48:49]
	v_fmac_f64_e32 v[0:1], v[52:53], v[48:49]
	ds_read_b128 v[46:49], v25 offset:1072
	s_waitcnt lgkmcnt(2)
	v_fmac_f64_e32 v[6:7], v[26:27], v[34:35]
	v_fmac_f64_e32 v[4:5], v[28:29], v[34:35]
	;; [unrolled: 1-line block ×4, first 2 shown]
	s_waitcnt lgkmcnt(1)
	v_fmac_f64_e32 v[6:7], v[30:31], v[36:37]
	ds_read2_b64 v[26:29], v24 offset0:128 offset1:144
	v_fmac_f64_e32 v[4:5], v[32:33], v[36:37]
	v_fmac_f64_e32 v[2:3], v[30:31], v[56:57]
	;; [unrolled: 1-line block ×3, first 2 shown]
	ds_read_b128 v[30:33], v25 offset:1056
	ds_read2_b64 v[34:37], v24 offset0:160 offset1:176
	s_waitcnt lgkmcnt(2)
	v_fmac_f64_e32 v[6:7], v[26:27], v[38:39]
	v_fmac_f64_e32 v[4:5], v[28:29], v[38:39]
	v_add_co_u32_e32 v12, vcc, 64, v12
	s_waitcnt lgkmcnt(1)
	v_fmac_f64_e32 v[2:3], v[26:27], v[30:31]
	v_fmac_f64_e32 v[0:1], v[28:29], v[30:31]
	ds_read2_b64 v[26:29], v24 offset0:192 offset1:208
	s_waitcnt lgkmcnt(1)
	v_fmac_f64_e32 v[2:3], v[34:35], v[32:33]
	v_fmac_f64_e32 v[0:1], v[36:37], v[32:33]
	ds_read2_b64 v[30:33], v24 offset0:224 offset1:240
	v_addc_co_u32_e32 v13, vcc, 0, v13, vcc
	s_add_u32 s28, s28, 8
	v_add_co_u32_e32 v14, vcc, 64, v14
	v_fmac_f64_e32 v[6:7], v[34:35], v[40:41]
	v_fmac_f64_e32 v[4:5], v[36:37], v[40:41]
	s_addc_u32 s29, s29, 0
	v_addc_co_u32_e32 v15, vcc, 0, v15, vcc
	s_waitcnt lgkmcnt(1)
	v_fmac_f64_e32 v[6:7], v[26:27], v[42:43]
	v_fmac_f64_e32 v[4:5], v[28:29], v[42:43]
	;; [unrolled: 1-line block ×4, first 2 shown]
	v_cmp_lt_i64_e32 vcc, s[28:29], v[18:19]
	s_waitcnt lgkmcnt(0)
	v_fmac_f64_e32 v[6:7], v[30:31], v[44:45]
	v_fmac_f64_e32 v[4:5], v[32:33], v[44:45]
	;; [unrolled: 1-line block ×4, first 2 shown]
	s_barrier
	s_cbranch_vccz .LBB83_7
.LBB83_3:                               ; =>This Inner Loop Header: Depth=1
	v_mov_b32_e32 v21, s29
	v_add_co_u32_e32 v20, vcc, s28, v8
	v_addc_co_u32_e32 v21, vcc, 0, v21, vcc
	v_cmp_gt_i64_e32 vcc, s[16:17], v[20:21]
	s_and_b64 s[22:23], s[0:1], vcc
	v_pk_mov_b32 v[20:21], v[16:17], v[16:17] op_sel:[0,1]
	s_and_saveexec_b64 s[20:21], s[22:23]
	s_cbranch_execz .LBB83_5
; %bb.4:                                ;   in Loop: Header=BB83_3 Depth=1
	global_load_dwordx2 v[20:21], v[14:15], off
.LBB83_5:                               ;   in Loop: Header=BB83_3 Depth=1
	s_or_b64 exec, exec, s[20:21]
	s_waitcnt vmcnt(0)
	ds_write_b64 v11, v[20:21]
	v_mov_b32_e32 v21, s29
	v_add_co_u32_e32 v20, vcc, s28, v10
	v_addc_co_u32_e32 v21, vcc, 0, v21, vcc
	v_cmp_gt_i64_e32 vcc, s[16:17], v[20:21]
	s_and_b64 s[22:23], vcc, s[2:3]
	v_pk_mov_b32 v[20:21], v[16:17], v[16:17] op_sel:[0,1]
	s_and_saveexec_b64 s[20:21], s[22:23]
	s_cbranch_execz .LBB83_2
; %bb.6:                                ;   in Loop: Header=BB83_3 Depth=1
	global_load_dwordx2 v[20:21], v[12:13], off
	s_branch .LBB83_2
.LBB83_7:
	s_load_dwordx2 s[0:1], s[4:5], 0x80
	v_mov_b32_e32 v10, s11
	v_add_co_u32_e32 v8, vcc, s10, v9
	v_addc_co_u32_e32 v9, vcc, 0, v10, vcc
	s_waitcnt lgkmcnt(0)
	s_mul_i32 s1, s8, s1
	s_mul_hi_u32 s2, s8, s0
	s_mul_i32 s0, s8, s0
	s_add_i32 s1, s2, s1
	s_lshl_b64 s[0:1], s[0:1], 3
	s_add_u32 s9, s48, s0
	v_cmp_neq_f64_e64 s[2:3], s[40:41], 0
	s_addc_u32 s20, s49, s1
	v_cmp_gt_i64_e64 s[0:1], s[14:15], v[8:9]
	s_and_b64 vcc, exec, s[2:3]
	s_cbranch_vccnz .LBB83_20
; %bb.8:
	s_and_saveexec_b64 s[10:11], s[0:1]
	s_cbranch_execz .LBB83_18
; %bb.9:
	v_mov_b32_e32 v10, s7
	v_add_co_u32_e32 v12, vcc, s6, v22
	v_addc_co_u32_e32 v13, vcc, 0, v10, vcc
	v_mul_lo_u32 v14, v9, s50
	v_mul_lo_u32 v15, v8, s51
	v_mad_u64_u32 v[10:11], s[2:3], v8, s50, 0
	v_add3_u32 v11, v11, v15, v14
	v_lshlrev_b64 v[10:11], 3, v[10:11]
	v_mov_b32_e32 v15, s20
	v_add_co_u32_e64 v14, s[2:3], s9, v10
	v_cmp_gt_i64_e32 vcc, s[12:13], v[12:13]
	v_addc_co_u32_e64 v15, s[2:3], v15, v11, s[2:3]
	v_lshlrev_b64 v[10:11], 3, v[12:13]
	s_and_saveexec_b64 s[4:5], vcc
	s_cbranch_execz .LBB83_11
; %bb.10:
	v_add_co_u32_e64 v16, s[2:3], v14, v10
	v_addc_co_u32_e64 v17, s[2:3], v15, v11, s[2:3]
	v_mul_f64 v[18:19], v[6:7], s[18:19]
	global_store_dwordx2 v[16:17], v[18:19], off
.LBB83_11:
	s_or_b64 exec, exec, s[4:5]
	v_add_co_u32_e64 v12, s[2:3], 16, v12
	v_addc_co_u32_e64 v13, s[2:3], 0, v13, s[2:3]
	v_cmp_gt_i64_e64 s[2:3], s[12:13], v[12:13]
	s_and_saveexec_b64 s[16:17], s[2:3]
	s_cbranch_execz .LBB83_13
; %bb.12:
	v_add_co_u32_e64 v12, s[4:5], v14, v10
	v_addc_co_u32_e64 v13, s[4:5], v15, v11, s[4:5]
	v_mul_f64 v[16:17], v[4:5], s[18:19]
	global_store_dwordx2 v[12:13], v[16:17], off offset:128
.LBB83_13:
	s_or_b64 exec, exec, s[16:17]
	v_add_co_u32_e64 v12, s[4:5], 16, v8
	v_addc_co_u32_e64 v13, s[4:5], 0, v9, s[4:5]
	v_cmp_gt_i64_e64 s[4:5], s[14:15], v[12:13]
	s_and_b64 exec, exec, s[4:5]
	s_cbranch_execz .LBB83_18
; %bb.14:
	s_lshl_b64 s[4:5], s[50:51], 7
	v_mov_b32_e32 v12, s5
	v_add_co_u32_e64 v13, s[4:5], s4, v14
	v_addc_co_u32_e64 v12, s[4:5], v15, v12, s[4:5]
	v_add_co_u32_e64 v10, s[4:5], v13, v10
	v_addc_co_u32_e64 v11, s[4:5], v12, v11, s[4:5]
	s_and_saveexec_b64 s[4:5], vcc
	s_cbranch_execz .LBB83_16
; %bb.15:
	v_mul_f64 v[12:13], v[2:3], s[18:19]
	global_store_dwordx2 v[10:11], v[12:13], off
.LBB83_16:
	s_or_b64 exec, exec, s[4:5]
	s_and_b64 exec, exec, s[2:3]
	s_cbranch_execz .LBB83_18
; %bb.17:
	v_mul_f64 v[12:13], v[0:1], s[18:19]
	global_store_dwordx2 v[10:11], v[12:13], off offset:128
.LBB83_18:
	s_or_b64 exec, exec, s[10:11]
	s_cbranch_execz .LBB83_21
.LBB83_19:
	s_endpgm
.LBB83_20:
.LBB83_21:
	s_and_saveexec_b64 s[2:3], s[0:1]
	s_cbranch_execz .LBB83_19
; %bb.22:
	s_mul_i32 s0, s8, s47
	s_mul_hi_u32 s1, s8, s46
	s_add_i32 s1, s1, s0
	s_mul_i32 s0, s8, s46
	s_lshl_b64 s[0:1], s[0:1], 3
	s_add_u32 s2, s42, s0
	v_mov_b32_e32 v10, s7
	v_add_co_u32_e32 v12, vcc, s6, v22
	s_addc_u32 s3, s43, s1
	v_addc_co_u32_e32 v13, vcc, 0, v10, vcc
	v_mul_lo_u32 v14, v9, s44
	v_mul_lo_u32 v15, v8, s45
	v_mad_u64_u32 v[10:11], s[0:1], v8, s44, 0
	v_add3_u32 v11, v11, v15, v14
	v_mul_lo_u32 v14, v9, s50
	v_mul_lo_u32 v15, v8, s51
	v_mad_u64_u32 v[16:17], s[0:1], v8, s50, 0
	v_lshlrev_b64 v[10:11], 3, v[10:11]
	v_add3_u32 v17, v17, v15, v14
	v_mov_b32_e32 v15, s3
	v_add_co_u32_e64 v14, s[0:1], s2, v10
	v_addc_co_u32_e64 v15, s[0:1], v15, v11, s[0:1]
	v_lshlrev_b64 v[10:11], 3, v[16:17]
	v_mov_b32_e32 v17, s20
	v_add_co_u32_e64 v16, s[0:1], s9, v10
	v_cmp_gt_i64_e32 vcc, s[12:13], v[12:13]
	v_addc_co_u32_e64 v17, s[0:1], v17, v11, s[0:1]
	v_lshlrev_b64 v[10:11], 3, v[12:13]
	s_and_saveexec_b64 s[2:3], vcc
	s_cbranch_execz .LBB83_24
; %bb.23:
	v_add_co_u32_e64 v18, s[0:1], v14, v10
	v_addc_co_u32_e64 v19, s[0:1], v15, v11, s[0:1]
	global_load_dwordx2 v[18:19], v[18:19], off
	s_waitcnt vmcnt(0)
	v_mul_f64 v[18:19], v[18:19], s[40:41]
	v_fmac_f64_e32 v[18:19], s[18:19], v[6:7]
	v_add_co_u32_e64 v6, s[0:1], v16, v10
	v_addc_co_u32_e64 v7, s[0:1], v17, v11, s[0:1]
	global_store_dwordx2 v[6:7], v[18:19], off
.LBB83_24:
	s_or_b64 exec, exec, s[2:3]
	v_add_co_u32_e64 v6, s[0:1], 16, v12
	v_addc_co_u32_e64 v7, s[0:1], 0, v13, s[0:1]
	v_cmp_gt_i64_e64 s[0:1], s[12:13], v[6:7]
	s_and_saveexec_b64 s[4:5], s[0:1]
	s_cbranch_execz .LBB83_26
; %bb.25:
	v_add_co_u32_e64 v6, s[2:3], v14, v10
	v_addc_co_u32_e64 v7, s[2:3], v15, v11, s[2:3]
	global_load_dwordx2 v[6:7], v[6:7], off offset:128
	s_waitcnt vmcnt(0)
	v_mul_f64 v[6:7], v[6:7], s[40:41]
	v_fmac_f64_e32 v[6:7], s[18:19], v[4:5]
	v_add_co_u32_e64 v4, s[2:3], v16, v10
	v_addc_co_u32_e64 v5, s[2:3], v17, v11, s[2:3]
	global_store_dwordx2 v[4:5], v[6:7], off offset:128
.LBB83_26:
	s_or_b64 exec, exec, s[4:5]
	v_add_co_u32_e64 v4, s[2:3], 16, v8
	v_addc_co_u32_e64 v5, s[2:3], 0, v9, s[2:3]
	v_cmp_gt_i64_e64 s[2:3], s[14:15], v[4:5]
	s_and_b64 exec, exec, s[2:3]
	s_cbranch_execz .LBB83_19
; %bb.27:
	s_lshl_b64 s[2:3], s[44:45], 7
	v_mov_b32_e32 v4, s3
	v_add_co_u32_e64 v5, s[2:3], s2, v14
	v_addc_co_u32_e64 v6, s[2:3], v15, v4, s[2:3]
	s_lshl_b64 s[2:3], s[50:51], 7
	v_mov_b32_e32 v4, s3
	v_add_co_u32_e64 v7, s[2:3], s2, v16
	v_addc_co_u32_e64 v8, s[2:3], v17, v4, s[2:3]
	v_add_co_u32_e64 v4, s[2:3], v5, v10
	v_addc_co_u32_e64 v5, s[2:3], v6, v11, s[2:3]
	;; [unrolled: 2-line block ×3, first 2 shown]
	s_and_saveexec_b64 s[2:3], vcc
	s_cbranch_execz .LBB83_29
; %bb.28:
	global_load_dwordx2 v[8:9], v[4:5], off
	s_waitcnt vmcnt(0)
	v_mul_f64 v[8:9], v[8:9], s[40:41]
	v_fmac_f64_e32 v[8:9], s[18:19], v[2:3]
	global_store_dwordx2 v[6:7], v[8:9], off
.LBB83_29:
	s_or_b64 exec, exec, s[2:3]
	s_and_b64 exec, exec, s[0:1]
	s_cbranch_execz .LBB83_19
; %bb.30:
	global_load_dwordx2 v[2:3], v[4:5], off offset:128
	s_waitcnt vmcnt(0)
	v_mul_f64 v[2:3], v[2:3], s[40:41]
	v_fmac_f64_e32 v[2:3], s[18:19], v[0:1]
	global_store_dwordx2 v[6:7], v[2:3], off offset:128
	s_endpgm
	.section	.rodata,"a",@progbits
	.p2align	6, 0x0
	.amdhsa_kernel _ZN12_GLOBAL__N_135rocblas_gemm_batched_general_kernelIdLi16ELi16ELi32ELi32ELi8ELi32ELi8ELi8ELi32ELc67ELc78EKdS1_dEEvlllT_PT11_llS4_llS2_PT12_llPT13_lli
		.amdhsa_group_segment_fixed_size 4096
		.amdhsa_private_segment_fixed_size 0
		.amdhsa_kernarg_size 140
		.amdhsa_user_sgpr_count 6
		.amdhsa_user_sgpr_private_segment_buffer 1
		.amdhsa_user_sgpr_dispatch_ptr 0
		.amdhsa_user_sgpr_queue_ptr 0
		.amdhsa_user_sgpr_kernarg_segment_ptr 1
		.amdhsa_user_sgpr_dispatch_id 0
		.amdhsa_user_sgpr_flat_scratch_init 0
		.amdhsa_user_sgpr_kernarg_preload_length 0
		.amdhsa_user_sgpr_kernarg_preload_offset 0
		.amdhsa_user_sgpr_private_segment_size 0
		.amdhsa_uses_dynamic_stack 0
		.amdhsa_system_sgpr_private_segment_wavefront_offset 0
		.amdhsa_system_sgpr_workgroup_id_x 1
		.amdhsa_system_sgpr_workgroup_id_y 1
		.amdhsa_system_sgpr_workgroup_id_z 1
		.amdhsa_system_sgpr_workgroup_info 0
		.amdhsa_system_vgpr_workitem_id 1
		.amdhsa_next_free_vgpr 58
		.amdhsa_next_free_sgpr 52
		.amdhsa_accum_offset 60
		.amdhsa_reserve_vcc 1
		.amdhsa_reserve_flat_scratch 0
		.amdhsa_float_round_mode_32 0
		.amdhsa_float_round_mode_16_64 0
		.amdhsa_float_denorm_mode_32 3
		.amdhsa_float_denorm_mode_16_64 3
		.amdhsa_dx10_clamp 1
		.amdhsa_ieee_mode 1
		.amdhsa_fp16_overflow 0
		.amdhsa_tg_split 0
		.amdhsa_exception_fp_ieee_invalid_op 0
		.amdhsa_exception_fp_denorm_src 0
		.amdhsa_exception_fp_ieee_div_zero 0
		.amdhsa_exception_fp_ieee_overflow 0
		.amdhsa_exception_fp_ieee_underflow 0
		.amdhsa_exception_fp_ieee_inexact 0
		.amdhsa_exception_int_div_zero 0
	.end_amdhsa_kernel
	.section	.text._ZN12_GLOBAL__N_135rocblas_gemm_batched_general_kernelIdLi16ELi16ELi32ELi32ELi8ELi32ELi8ELi8ELi32ELc67ELc78EKdS1_dEEvlllT_PT11_llS4_llS2_PT12_llPT13_lli,"axG",@progbits,_ZN12_GLOBAL__N_135rocblas_gemm_batched_general_kernelIdLi16ELi16ELi32ELi32ELi8ELi32ELi8ELi8ELi32ELc67ELc78EKdS1_dEEvlllT_PT11_llS4_llS2_PT12_llPT13_lli,comdat
.Lfunc_end83:
	.size	_ZN12_GLOBAL__N_135rocblas_gemm_batched_general_kernelIdLi16ELi16ELi32ELi32ELi8ELi32ELi8ELi8ELi32ELc67ELc78EKdS1_dEEvlllT_PT11_llS4_llS2_PT12_llPT13_lli, .Lfunc_end83-_ZN12_GLOBAL__N_135rocblas_gemm_batched_general_kernelIdLi16ELi16ELi32ELi32ELi8ELi32ELi8ELi8ELi32ELc67ELc78EKdS1_dEEvlllT_PT11_llS4_llS2_PT12_llPT13_lli
                                        ; -- End function
	.section	.AMDGPU.csdata,"",@progbits
; Kernel info:
; codeLenInByte = 1908
; NumSgprs: 56
; NumVgprs: 58
; NumAgprs: 0
; TotalNumVgprs: 58
; ScratchSize: 0
; MemoryBound: 0
; FloatMode: 240
; IeeeMode: 1
; LDSByteSize: 4096 bytes/workgroup (compile time only)
; SGPRBlocks: 6
; VGPRBlocks: 7
; NumSGPRsForWavesPerEU: 56
; NumVGPRsForWavesPerEU: 58
; AccumOffset: 60
; Occupancy: 8
; WaveLimiterHint : 0
; COMPUTE_PGM_RSRC2:SCRATCH_EN: 0
; COMPUTE_PGM_RSRC2:USER_SGPR: 6
; COMPUTE_PGM_RSRC2:TRAP_HANDLER: 0
; COMPUTE_PGM_RSRC2:TGID_X_EN: 1
; COMPUTE_PGM_RSRC2:TGID_Y_EN: 1
; COMPUTE_PGM_RSRC2:TGID_Z_EN: 1
; COMPUTE_PGM_RSRC2:TIDIG_COMP_CNT: 1
; COMPUTE_PGM_RSRC3_GFX90A:ACCUM_OFFSET: 14
; COMPUTE_PGM_RSRC3_GFX90A:TG_SPLIT: 0
	.section	.text._ZN12_GLOBAL__N_135rocblas_gemm_batched_general_kernelIdLi16ELi16ELi32ELi32ELi8ELi32ELi8ELi8ELi32ELc67ELc84EKdS1_dEEvlllT_PT11_llS4_llS2_PT12_llPT13_lli,"axG",@progbits,_ZN12_GLOBAL__N_135rocblas_gemm_batched_general_kernelIdLi16ELi16ELi32ELi32ELi8ELi32ELi8ELi8ELi32ELc67ELc84EKdS1_dEEvlllT_PT11_llS4_llS2_PT12_llPT13_lli,comdat
	.globl	_ZN12_GLOBAL__N_135rocblas_gemm_batched_general_kernelIdLi16ELi16ELi32ELi32ELi8ELi32ELi8ELi8ELi32ELc67ELc84EKdS1_dEEvlllT_PT11_llS4_llS2_PT12_llPT13_lli ; -- Begin function _ZN12_GLOBAL__N_135rocblas_gemm_batched_general_kernelIdLi16ELi16ELi32ELi32ELi8ELi32ELi8ELi8ELi32ELc67ELc84EKdS1_dEEvlllT_PT11_llS4_llS2_PT12_llPT13_lli
	.p2align	8
	.type	_ZN12_GLOBAL__N_135rocblas_gemm_batched_general_kernelIdLi16ELi16ELi32ELi32ELi8ELi32ELi8ELi8ELi32ELc67ELc84EKdS1_dEEvlllT_PT11_llS4_llS2_PT12_llPT13_lli,@function
_ZN12_GLOBAL__N_135rocblas_gemm_batched_general_kernelIdLi16ELi16ELi32ELi32ELi8ELi32ELi8ELi8ELi32ELc67ELc84EKdS1_dEEvlllT_PT11_llS4_llS2_PT12_llPT13_lli: ; @_ZN12_GLOBAL__N_135rocblas_gemm_batched_general_kernelIdLi16ELi16ELi32ELi32ELi8ELi32ELi8ELi8ELi32ELc67ELc84EKdS1_dEEvlllT_PT11_llS4_llS2_PT12_llPT13_lli
; %bb.0:
	s_load_dwordx16 s[12:27], s[4:5], 0x0
	s_load_dwordx16 s[36:51], s[4:5], 0x40
	s_mov_b32 s30, s7
	s_ashr_i32 s7, s6, 31
	s_ashr_i32 s31, s30, 31
	s_waitcnt lgkmcnt(0)
	v_cmp_lt_i64_e64 s[0:1], s[16:17], 1
	v_pk_mov_b32 v[6:7], 0, 0
	v_and_b32_e32 v20, 0x3ff, v0
	v_bfe_u32 v9, v0, 10, 10
	s_lshl_b64 s[6:7], s[6:7], 5
	s_lshl_b64 s[10:11], s[30:31], 5
	s_mov_b64 s[28:29], 0
	s_and_b64 vcc, exec, s[0:1]
	v_pk_mov_b32 v[4:5], v[6:7], v[6:7] op_sel:[0,1]
	v_pk_mov_b32 v[2:3], v[6:7], v[6:7] op_sel:[0,1]
	;; [unrolled: 1-line block ×3, first 2 shown]
	s_cbranch_vccnz .LBB84_7
; %bb.1:
	v_lshl_add_u32 v4, v9, 4, v20
	v_lshrrev_b32_e32 v5, 3, v4
	v_mov_b32_e32 v1, s11
	v_add_co_u32_e32 v0, vcc, s10, v5
	v_and_b32_e32 v10, 7, v20
	v_addc_co_u32_e32 v1, vcc, 0, v1, vcc
	v_cmp_gt_i64_e64 s[2:3], s[14:15], v[0:1]
	v_lshlrev_b32_e32 v0, 3, v10
	v_and_b32_e32 v6, 31, v4
	v_lshl_or_b32 v0, v5, 6, v0
	v_mov_b32_e32 v3, s7
	v_or_b32_e32 v2, s6, v6
	v_add_u32_e32 v21, 0x800, v0
	v_mov_b32_e32 v0, 0x800
	v_lshrrev_b32_e32 v8, 5, v4
	v_cmp_gt_i64_e64 s[0:1], s[12:13], v[2:3]
	v_lshlrev_b32_e32 v2, 3, v6
	v_lshl_add_u32 v23, v9, 6, v0
	s_mul_i32 s9, s39, s8
	s_mul_hi_u32 s33, s38, s8
	s_mul_i32 s34, s38, s8
	v_mad_u64_u32 v[0:1], s[38:39], s36, v10, 0
	v_lshl_or_b32 v11, v8, 8, v2
	s_add_i32 s35, s33, s9
	v_mov_b32_e32 v2, v1
	s_lshl_b64 s[34:35], s[34:35], 3
	v_mad_u64_u32 v[2:3], s[38:39], s37, v10, v[2:3]
	s_lshl_b64 s[30:31], s[30:31], 8
	v_mov_b32_e32 v1, v2
	s_add_u32 s9, s30, s34
	v_lshlrev_b64 v[0:1], 3, v[0:1]
	s_addc_u32 s30, s31, s35
	v_mov_b32_e32 v2, s30
	v_add_co_u32_e32 v0, vcc, s9, v0
	v_addc_co_u32_e32 v1, vcc, v2, v1, vcc
	v_and_b32_e32 v2, 0x7ff8, v4
	v_add_co_u32_e32 v0, vcc, v0, v2
	v_addc_co_u32_e32 v1, vcc, 0, v1, vcc
	v_mov_b32_e32 v2, s27
	v_add_co_u32_e32 v12, vcc, s26, v0
	v_addc_co_u32_e32 v13, vcc, v2, v1, vcc
	v_mov_b32_e32 v0, s7
	v_add_co_u32_e32 v1, vcc, s6, v6
	v_addc_co_u32_e32 v0, vcc, 0, v0, vcc
	v_mul_lo_u32 v2, s23, v1
	v_mul_lo_u32 v3, s22, v0
	v_mad_u64_u32 v[0:1], s[22:23], s22, v1, 0
	s_mul_i32 s9, s25, s8
	s_mul_hi_u32 s22, s24, s8
	v_add3_u32 v1, v1, v3, v2
	s_add_i32 s23, s22, s9
	s_mul_i32 s22, s24, s8
	v_lshlrev_b64 v[0:1], 3, v[0:1]
	s_lshl_b64 s[22:23], s[22:23], 3
	v_mov_b32_e32 v2, s23
	v_add_co_u32_e32 v0, vcc, s22, v0
	v_addc_co_u32_e32 v1, vcc, v1, v2, vcc
	v_lshlrev_b32_e32 v2, 3, v8
	v_add_co_u32_e32 v0, vcc, v0, v2
	v_addc_co_u32_e32 v1, vcc, 0, v1, vcc
	s_lshl_b64 s[26:27], s[36:37], 6
	v_mov_b32_e32 v2, s21
	v_add_co_u32_e32 v14, vcc, s20, v0
	v_pk_mov_b32 v[16:17], 0, 0
	v_lshlrev_b32_e32 v22, 3, v20
	v_addc_co_u32_e32 v15, vcc, v2, v1, vcc
	v_mov_b32_e32 v24, s27
	v_pk_mov_b32 v[0:1], v[16:17], v[16:17] op_sel:[0,1]
	v_pk_mov_b32 v[2:3], v[16:17], v[16:17] op_sel:[0,1]
	;; [unrolled: 1-line block ×4, first 2 shown]
	s_branch .LBB84_3
.LBB84_2:                               ;   in Loop: Header=BB84_3 Depth=1
	s_or_b64 exec, exec, s[20:21]
	s_waitcnt vmcnt(0)
	ds_write_b64 v21, v[18:19]
	s_waitcnt lgkmcnt(0)
	s_barrier
	ds_read2_b64 v[26:29], v22 offset1:16
	ds_read_b128 v[30:33], v23
	ds_read_b128 v[34:37], v23 offset:16
	ds_read_b128 v[38:41], v23 offset:32
	;; [unrolled: 1-line block ×4, first 2 shown]
	ds_read2_b64 v[50:53], v22 offset0:32 offset1:48
	s_waitcnt lgkmcnt(5)
	v_fmac_f64_e32 v[6:7], v[26:27], v[30:31]
	v_fmac_f64_e32 v[4:5], v[28:29], v[30:31]
	ds_read_b128 v[54:57], v23 offset:1040
	s_waitcnt lgkmcnt(2)
	v_fmac_f64_e32 v[2:3], v[26:27], v[46:47]
	v_fmac_f64_e32 v[0:1], v[28:29], v[46:47]
	ds_read2_b64 v[26:29], v22 offset0:64 offset1:80
	s_waitcnt lgkmcnt(2)
	v_fmac_f64_e32 v[6:7], v[50:51], v[32:33]
	v_fmac_f64_e32 v[4:5], v[52:53], v[32:33]
	ds_read2_b64 v[30:33], v22 offset0:96 offset1:112
	v_fmac_f64_e32 v[2:3], v[50:51], v[48:49]
	v_fmac_f64_e32 v[0:1], v[52:53], v[48:49]
	ds_read_b128 v[46:49], v23 offset:1072
	s_waitcnt lgkmcnt(2)
	v_fmac_f64_e32 v[6:7], v[26:27], v[34:35]
	v_fmac_f64_e32 v[4:5], v[28:29], v[34:35]
	;; [unrolled: 1-line block ×4, first 2 shown]
	s_waitcnt lgkmcnt(1)
	v_fmac_f64_e32 v[6:7], v[30:31], v[36:37]
	ds_read2_b64 v[26:29], v22 offset0:128 offset1:144
	v_fmac_f64_e32 v[4:5], v[32:33], v[36:37]
	v_fmac_f64_e32 v[2:3], v[30:31], v[56:57]
	v_fmac_f64_e32 v[0:1], v[32:33], v[56:57]
	ds_read_b128 v[30:33], v23 offset:1056
	ds_read2_b64 v[34:37], v22 offset0:160 offset1:176
	s_waitcnt lgkmcnt(2)
	v_fmac_f64_e32 v[6:7], v[26:27], v[38:39]
	v_fmac_f64_e32 v[4:5], v[28:29], v[38:39]
	v_add_co_u32_e32 v12, vcc, s26, v12
	s_waitcnt lgkmcnt(1)
	v_fmac_f64_e32 v[2:3], v[26:27], v[30:31]
	v_fmac_f64_e32 v[0:1], v[28:29], v[30:31]
	ds_read2_b64 v[26:29], v22 offset0:192 offset1:208
	s_waitcnt lgkmcnt(1)
	v_fmac_f64_e32 v[2:3], v[34:35], v[32:33]
	v_fmac_f64_e32 v[0:1], v[36:37], v[32:33]
	ds_read2_b64 v[30:33], v22 offset0:224 offset1:240
	v_addc_co_u32_e32 v13, vcc, v13, v24, vcc
	s_add_u32 s28, s28, 8
	v_add_co_u32_e32 v14, vcc, 64, v14
	v_fmac_f64_e32 v[6:7], v[34:35], v[40:41]
	v_fmac_f64_e32 v[4:5], v[36:37], v[40:41]
	s_addc_u32 s29, s29, 0
	v_addc_co_u32_e32 v15, vcc, 0, v15, vcc
	v_pk_mov_b32 v[18:19], s[16:17], s[16:17] op_sel:[0,1]
	s_waitcnt lgkmcnt(1)
	v_fmac_f64_e32 v[6:7], v[26:27], v[42:43]
	v_fmac_f64_e32 v[4:5], v[28:29], v[42:43]
	v_fmac_f64_e32 v[2:3], v[26:27], v[46:47]
	v_fmac_f64_e32 v[0:1], v[28:29], v[46:47]
	v_cmp_lt_i64_e32 vcc, s[28:29], v[18:19]
	s_waitcnt lgkmcnt(0)
	v_fmac_f64_e32 v[6:7], v[30:31], v[44:45]
	v_fmac_f64_e32 v[4:5], v[32:33], v[44:45]
	;; [unrolled: 1-line block ×4, first 2 shown]
	s_barrier
	s_cbranch_vccz .LBB84_7
.LBB84_3:                               ; =>This Inner Loop Header: Depth=1
	v_mov_b32_e32 v19, s29
	v_add_co_u32_e32 v18, vcc, s28, v8
	v_addc_co_u32_e32 v19, vcc, 0, v19, vcc
	v_cmp_gt_i64_e32 vcc, s[16:17], v[18:19]
	s_and_b64 s[22:23], s[0:1], vcc
	v_pk_mov_b32 v[18:19], v[16:17], v[16:17] op_sel:[0,1]
	s_and_saveexec_b64 s[20:21], s[22:23]
	s_cbranch_execz .LBB84_5
; %bb.4:                                ;   in Loop: Header=BB84_3 Depth=1
	global_load_dwordx2 v[18:19], v[14:15], off
.LBB84_5:                               ;   in Loop: Header=BB84_3 Depth=1
	s_or_b64 exec, exec, s[20:21]
	s_waitcnt vmcnt(0)
	ds_write_b64 v11, v[18:19]
	v_mov_b32_e32 v19, s29
	v_add_co_u32_e32 v18, vcc, s28, v10
	v_addc_co_u32_e32 v19, vcc, 0, v19, vcc
	v_cmp_gt_i64_e32 vcc, s[16:17], v[18:19]
	s_and_b64 s[22:23], vcc, s[2:3]
	v_pk_mov_b32 v[18:19], v[16:17], v[16:17] op_sel:[0,1]
	s_and_saveexec_b64 s[20:21], s[22:23]
	s_cbranch_execz .LBB84_2
; %bb.6:                                ;   in Loop: Header=BB84_3 Depth=1
	global_load_dwordx2 v[18:19], v[12:13], off
	s_branch .LBB84_2
.LBB84_7:
	s_load_dwordx2 s[0:1], s[4:5], 0x80
	v_mov_b32_e32 v10, s11
	v_add_co_u32_e32 v8, vcc, s10, v9
	v_addc_co_u32_e32 v9, vcc, 0, v10, vcc
	s_waitcnt lgkmcnt(0)
	s_mul_i32 s1, s8, s1
	s_mul_hi_u32 s2, s8, s0
	s_mul_i32 s0, s8, s0
	s_add_i32 s1, s2, s1
	s_lshl_b64 s[0:1], s[0:1], 3
	s_add_u32 s9, s48, s0
	v_cmp_neq_f64_e64 s[2:3], s[40:41], 0
	s_addc_u32 s20, s49, s1
	v_cmp_gt_i64_e64 s[0:1], s[14:15], v[8:9]
	s_and_b64 vcc, exec, s[2:3]
	s_cbranch_vccnz .LBB84_20
; %bb.8:
	s_and_saveexec_b64 s[10:11], s[0:1]
	s_cbranch_execz .LBB84_18
; %bb.9:
	v_mov_b32_e32 v10, s7
	v_add_co_u32_e32 v12, vcc, s6, v20
	v_addc_co_u32_e32 v13, vcc, 0, v10, vcc
	v_mul_lo_u32 v14, v9, s50
	v_mul_lo_u32 v15, v8, s51
	v_mad_u64_u32 v[10:11], s[2:3], v8, s50, 0
	v_add3_u32 v11, v11, v15, v14
	v_lshlrev_b64 v[10:11], 3, v[10:11]
	v_mov_b32_e32 v15, s20
	v_add_co_u32_e64 v14, s[2:3], s9, v10
	v_cmp_gt_i64_e32 vcc, s[12:13], v[12:13]
	v_addc_co_u32_e64 v15, s[2:3], v15, v11, s[2:3]
	v_lshlrev_b64 v[10:11], 3, v[12:13]
	s_and_saveexec_b64 s[4:5], vcc
	s_cbranch_execz .LBB84_11
; %bb.10:
	v_add_co_u32_e64 v16, s[2:3], v14, v10
	v_addc_co_u32_e64 v17, s[2:3], v15, v11, s[2:3]
	v_mul_f64 v[18:19], v[6:7], s[18:19]
	global_store_dwordx2 v[16:17], v[18:19], off
.LBB84_11:
	s_or_b64 exec, exec, s[4:5]
	v_add_co_u32_e64 v12, s[2:3], 16, v12
	v_addc_co_u32_e64 v13, s[2:3], 0, v13, s[2:3]
	v_cmp_gt_i64_e64 s[2:3], s[12:13], v[12:13]
	s_and_saveexec_b64 s[16:17], s[2:3]
	s_cbranch_execz .LBB84_13
; %bb.12:
	v_add_co_u32_e64 v12, s[4:5], v14, v10
	v_addc_co_u32_e64 v13, s[4:5], v15, v11, s[4:5]
	v_mul_f64 v[16:17], v[4:5], s[18:19]
	global_store_dwordx2 v[12:13], v[16:17], off offset:128
.LBB84_13:
	s_or_b64 exec, exec, s[16:17]
	v_add_co_u32_e64 v12, s[4:5], 16, v8
	v_addc_co_u32_e64 v13, s[4:5], 0, v9, s[4:5]
	v_cmp_gt_i64_e64 s[4:5], s[14:15], v[12:13]
	s_and_b64 exec, exec, s[4:5]
	s_cbranch_execz .LBB84_18
; %bb.14:
	s_lshl_b64 s[4:5], s[50:51], 7
	v_mov_b32_e32 v12, s5
	v_add_co_u32_e64 v13, s[4:5], s4, v14
	v_addc_co_u32_e64 v12, s[4:5], v15, v12, s[4:5]
	v_add_co_u32_e64 v10, s[4:5], v13, v10
	v_addc_co_u32_e64 v11, s[4:5], v12, v11, s[4:5]
	s_and_saveexec_b64 s[4:5], vcc
	s_cbranch_execz .LBB84_16
; %bb.15:
	v_mul_f64 v[12:13], v[2:3], s[18:19]
	global_store_dwordx2 v[10:11], v[12:13], off
.LBB84_16:
	s_or_b64 exec, exec, s[4:5]
	s_and_b64 exec, exec, s[2:3]
	s_cbranch_execz .LBB84_18
; %bb.17:
	v_mul_f64 v[12:13], v[0:1], s[18:19]
	global_store_dwordx2 v[10:11], v[12:13], off offset:128
.LBB84_18:
	s_or_b64 exec, exec, s[10:11]
	s_cbranch_execz .LBB84_21
.LBB84_19:
	s_endpgm
.LBB84_20:
.LBB84_21:
	s_and_saveexec_b64 s[2:3], s[0:1]
	s_cbranch_execz .LBB84_19
; %bb.22:
	s_mul_i32 s0, s8, s47
	s_mul_hi_u32 s1, s8, s46
	s_add_i32 s1, s1, s0
	s_mul_i32 s0, s8, s46
	s_lshl_b64 s[0:1], s[0:1], 3
	s_add_u32 s2, s42, s0
	v_mov_b32_e32 v10, s7
	v_add_co_u32_e32 v12, vcc, s6, v20
	s_addc_u32 s3, s43, s1
	v_addc_co_u32_e32 v13, vcc, 0, v10, vcc
	v_mul_lo_u32 v14, v9, s44
	v_mul_lo_u32 v15, v8, s45
	v_mad_u64_u32 v[10:11], s[0:1], v8, s44, 0
	v_add3_u32 v11, v11, v15, v14
	v_mul_lo_u32 v14, v9, s50
	v_mul_lo_u32 v15, v8, s51
	v_mad_u64_u32 v[16:17], s[0:1], v8, s50, 0
	v_lshlrev_b64 v[10:11], 3, v[10:11]
	v_add3_u32 v17, v17, v15, v14
	v_mov_b32_e32 v15, s3
	v_add_co_u32_e64 v14, s[0:1], s2, v10
	v_addc_co_u32_e64 v15, s[0:1], v15, v11, s[0:1]
	v_lshlrev_b64 v[10:11], 3, v[16:17]
	v_mov_b32_e32 v17, s20
	v_add_co_u32_e64 v16, s[0:1], s9, v10
	v_cmp_gt_i64_e32 vcc, s[12:13], v[12:13]
	v_addc_co_u32_e64 v17, s[0:1], v17, v11, s[0:1]
	v_lshlrev_b64 v[10:11], 3, v[12:13]
	s_and_saveexec_b64 s[2:3], vcc
	s_cbranch_execz .LBB84_24
; %bb.23:
	v_add_co_u32_e64 v18, s[0:1], v14, v10
	v_addc_co_u32_e64 v19, s[0:1], v15, v11, s[0:1]
	global_load_dwordx2 v[18:19], v[18:19], off
	s_waitcnt vmcnt(0)
	v_mul_f64 v[18:19], v[18:19], s[40:41]
	v_fmac_f64_e32 v[18:19], s[18:19], v[6:7]
	v_add_co_u32_e64 v6, s[0:1], v16, v10
	v_addc_co_u32_e64 v7, s[0:1], v17, v11, s[0:1]
	global_store_dwordx2 v[6:7], v[18:19], off
.LBB84_24:
	s_or_b64 exec, exec, s[2:3]
	v_add_co_u32_e64 v6, s[0:1], 16, v12
	v_addc_co_u32_e64 v7, s[0:1], 0, v13, s[0:1]
	v_cmp_gt_i64_e64 s[0:1], s[12:13], v[6:7]
	s_and_saveexec_b64 s[4:5], s[0:1]
	s_cbranch_execz .LBB84_26
; %bb.25:
	v_add_co_u32_e64 v6, s[2:3], v14, v10
	v_addc_co_u32_e64 v7, s[2:3], v15, v11, s[2:3]
	global_load_dwordx2 v[6:7], v[6:7], off offset:128
	s_waitcnt vmcnt(0)
	v_mul_f64 v[6:7], v[6:7], s[40:41]
	v_fmac_f64_e32 v[6:7], s[18:19], v[4:5]
	v_add_co_u32_e64 v4, s[2:3], v16, v10
	v_addc_co_u32_e64 v5, s[2:3], v17, v11, s[2:3]
	global_store_dwordx2 v[4:5], v[6:7], off offset:128
.LBB84_26:
	s_or_b64 exec, exec, s[4:5]
	v_add_co_u32_e64 v4, s[2:3], 16, v8
	v_addc_co_u32_e64 v5, s[2:3], 0, v9, s[2:3]
	v_cmp_gt_i64_e64 s[2:3], s[14:15], v[4:5]
	s_and_b64 exec, exec, s[2:3]
	s_cbranch_execz .LBB84_19
; %bb.27:
	s_lshl_b64 s[2:3], s[44:45], 7
	v_mov_b32_e32 v4, s3
	v_add_co_u32_e64 v5, s[2:3], s2, v14
	v_addc_co_u32_e64 v6, s[2:3], v15, v4, s[2:3]
	s_lshl_b64 s[2:3], s[50:51], 7
	v_mov_b32_e32 v4, s3
	v_add_co_u32_e64 v7, s[2:3], s2, v16
	v_addc_co_u32_e64 v8, s[2:3], v17, v4, s[2:3]
	v_add_co_u32_e64 v4, s[2:3], v5, v10
	v_addc_co_u32_e64 v5, s[2:3], v6, v11, s[2:3]
	;; [unrolled: 2-line block ×3, first 2 shown]
	s_and_saveexec_b64 s[2:3], vcc
	s_cbranch_execz .LBB84_29
; %bb.28:
	global_load_dwordx2 v[8:9], v[4:5], off
	s_waitcnt vmcnt(0)
	v_mul_f64 v[8:9], v[8:9], s[40:41]
	v_fmac_f64_e32 v[8:9], s[18:19], v[2:3]
	global_store_dwordx2 v[6:7], v[8:9], off
.LBB84_29:
	s_or_b64 exec, exec, s[2:3]
	s_and_b64 exec, exec, s[0:1]
	s_cbranch_execz .LBB84_19
; %bb.30:
	global_load_dwordx2 v[2:3], v[4:5], off offset:128
	s_waitcnt vmcnt(0)
	v_mul_f64 v[2:3], v[2:3], s[40:41]
	v_fmac_f64_e32 v[2:3], s[18:19], v[0:1]
	global_store_dwordx2 v[6:7], v[2:3], off offset:128
	s_endpgm
	.section	.rodata,"a",@progbits
	.p2align	6, 0x0
	.amdhsa_kernel _ZN12_GLOBAL__N_135rocblas_gemm_batched_general_kernelIdLi16ELi16ELi32ELi32ELi8ELi32ELi8ELi8ELi32ELc67ELc84EKdS1_dEEvlllT_PT11_llS4_llS2_PT12_llPT13_lli
		.amdhsa_group_segment_fixed_size 4096
		.amdhsa_private_segment_fixed_size 0
		.amdhsa_kernarg_size 140
		.amdhsa_user_sgpr_count 6
		.amdhsa_user_sgpr_private_segment_buffer 1
		.amdhsa_user_sgpr_dispatch_ptr 0
		.amdhsa_user_sgpr_queue_ptr 0
		.amdhsa_user_sgpr_kernarg_segment_ptr 1
		.amdhsa_user_sgpr_dispatch_id 0
		.amdhsa_user_sgpr_flat_scratch_init 0
		.amdhsa_user_sgpr_kernarg_preload_length 0
		.amdhsa_user_sgpr_kernarg_preload_offset 0
		.amdhsa_user_sgpr_private_segment_size 0
		.amdhsa_uses_dynamic_stack 0
		.amdhsa_system_sgpr_private_segment_wavefront_offset 0
		.amdhsa_system_sgpr_workgroup_id_x 1
		.amdhsa_system_sgpr_workgroup_id_y 1
		.amdhsa_system_sgpr_workgroup_id_z 1
		.amdhsa_system_sgpr_workgroup_info 0
		.amdhsa_system_vgpr_workitem_id 1
		.amdhsa_next_free_vgpr 58
		.amdhsa_next_free_sgpr 52
		.amdhsa_accum_offset 60
		.amdhsa_reserve_vcc 1
		.amdhsa_reserve_flat_scratch 0
		.amdhsa_float_round_mode_32 0
		.amdhsa_float_round_mode_16_64 0
		.amdhsa_float_denorm_mode_32 3
		.amdhsa_float_denorm_mode_16_64 3
		.amdhsa_dx10_clamp 1
		.amdhsa_ieee_mode 1
		.amdhsa_fp16_overflow 0
		.amdhsa_tg_split 0
		.amdhsa_exception_fp_ieee_invalid_op 0
		.amdhsa_exception_fp_denorm_src 0
		.amdhsa_exception_fp_ieee_div_zero 0
		.amdhsa_exception_fp_ieee_overflow 0
		.amdhsa_exception_fp_ieee_underflow 0
		.amdhsa_exception_fp_ieee_inexact 0
		.amdhsa_exception_int_div_zero 0
	.end_amdhsa_kernel
	.section	.text._ZN12_GLOBAL__N_135rocblas_gemm_batched_general_kernelIdLi16ELi16ELi32ELi32ELi8ELi32ELi8ELi8ELi32ELc67ELc84EKdS1_dEEvlllT_PT11_llS4_llS2_PT12_llPT13_lli,"axG",@progbits,_ZN12_GLOBAL__N_135rocblas_gemm_batched_general_kernelIdLi16ELi16ELi32ELi32ELi8ELi32ELi8ELi8ELi32ELc67ELc84EKdS1_dEEvlllT_PT11_llS4_llS2_PT12_llPT13_lli,comdat
.Lfunc_end84:
	.size	_ZN12_GLOBAL__N_135rocblas_gemm_batched_general_kernelIdLi16ELi16ELi32ELi32ELi8ELi32ELi8ELi8ELi32ELc67ELc84EKdS1_dEEvlllT_PT11_llS4_llS2_PT12_llPT13_lli, .Lfunc_end84-_ZN12_GLOBAL__N_135rocblas_gemm_batched_general_kernelIdLi16ELi16ELi32ELi32ELi8ELi32ELi8ELi8ELi32ELc67ELc84EKdS1_dEEvlllT_PT11_llS4_llS2_PT12_llPT13_lli
                                        ; -- End function
	.section	.AMDGPU.csdata,"",@progbits
; Kernel info:
; codeLenInByte = 1928
; NumSgprs: 56
; NumVgprs: 58
; NumAgprs: 0
; TotalNumVgprs: 58
; ScratchSize: 0
; MemoryBound: 0
; FloatMode: 240
; IeeeMode: 1
; LDSByteSize: 4096 bytes/workgroup (compile time only)
; SGPRBlocks: 6
; VGPRBlocks: 7
; NumSGPRsForWavesPerEU: 56
; NumVGPRsForWavesPerEU: 58
; AccumOffset: 60
; Occupancy: 8
; WaveLimiterHint : 0
; COMPUTE_PGM_RSRC2:SCRATCH_EN: 0
; COMPUTE_PGM_RSRC2:USER_SGPR: 6
; COMPUTE_PGM_RSRC2:TRAP_HANDLER: 0
; COMPUTE_PGM_RSRC2:TGID_X_EN: 1
; COMPUTE_PGM_RSRC2:TGID_Y_EN: 1
; COMPUTE_PGM_RSRC2:TGID_Z_EN: 1
; COMPUTE_PGM_RSRC2:TIDIG_COMP_CNT: 1
; COMPUTE_PGM_RSRC3_GFX90A:ACCUM_OFFSET: 14
; COMPUTE_PGM_RSRC3_GFX90A:TG_SPLIT: 0
	.section	.text._ZN12_GLOBAL__N_135rocblas_gemm_batched_general_kernelIdLi16ELi16ELi32ELi32ELi8ELi32ELi8ELi8ELi32ELc78ELc67EKdS1_dEEvlllT_PT11_llS4_llS2_PT12_llPT13_lli,"axG",@progbits,_ZN12_GLOBAL__N_135rocblas_gemm_batched_general_kernelIdLi16ELi16ELi32ELi32ELi8ELi32ELi8ELi8ELi32ELc78ELc67EKdS1_dEEvlllT_PT11_llS4_llS2_PT12_llPT13_lli,comdat
	.globl	_ZN12_GLOBAL__N_135rocblas_gemm_batched_general_kernelIdLi16ELi16ELi32ELi32ELi8ELi32ELi8ELi8ELi32ELc78ELc67EKdS1_dEEvlllT_PT11_llS4_llS2_PT12_llPT13_lli ; -- Begin function _ZN12_GLOBAL__N_135rocblas_gemm_batched_general_kernelIdLi16ELi16ELi32ELi32ELi8ELi32ELi8ELi8ELi32ELc78ELc67EKdS1_dEEvlllT_PT11_llS4_llS2_PT12_llPT13_lli
	.p2align	8
	.type	_ZN12_GLOBAL__N_135rocblas_gemm_batched_general_kernelIdLi16ELi16ELi32ELi32ELi8ELi32ELi8ELi8ELi32ELc78ELc67EKdS1_dEEvlllT_PT11_llS4_llS2_PT12_llPT13_lli,@function
_ZN12_GLOBAL__N_135rocblas_gemm_batched_general_kernelIdLi16ELi16ELi32ELi32ELi8ELi32ELi8ELi8ELi32ELc78ELc67EKdS1_dEEvlllT_PT11_llS4_llS2_PT12_llPT13_lli: ; @_ZN12_GLOBAL__N_135rocblas_gemm_batched_general_kernelIdLi16ELi16ELi32ELi32ELi8ELi32ELi8ELi8ELi32ELc78ELc67EKdS1_dEEvlllT_PT11_llS4_llS2_PT12_llPT13_lli
; %bb.0:
	s_load_dwordx16 s[12:27], s[4:5], 0x0
	s_load_dwordx16 s[36:51], s[4:5], 0x40
	s_mov_b32 s34, s7
	s_ashr_i32 s7, s6, 31
	s_ashr_i32 s35, s34, 31
	s_waitcnt lgkmcnt(0)
	v_cmp_lt_i64_e64 s[0:1], s[16:17], 1
	v_pk_mov_b32 v[6:7], 0, 0
	v_and_b32_e32 v20, 0x3ff, v0
	v_bfe_u32 v9, v0, 10, 10
	s_lshl_b64 s[10:11], s[6:7], 5
	s_lshl_b64 s[28:29], s[34:35], 5
	s_mov_b64 s[30:31], 0
	s_and_b64 vcc, exec, s[0:1]
	v_pk_mov_b32 v[4:5], v[6:7], v[6:7] op_sel:[0,1]
	v_pk_mov_b32 v[2:3], v[6:7], v[6:7] op_sel:[0,1]
	;; [unrolled: 1-line block ×3, first 2 shown]
	s_cbranch_vccnz .LBB85_7
; %bb.1:
	v_lshl_add_u32 v4, v9, 4, v20
	v_lshrrev_b32_e32 v5, 3, v4
	v_mov_b32_e32 v1, s29
	v_add_co_u32_e32 v0, vcc, s28, v5
	v_and_b32_e32 v10, 7, v20
	v_addc_co_u32_e32 v1, vcc, 0, v1, vcc
	v_cmp_gt_i64_e64 s[2:3], s[14:15], v[0:1]
	v_lshlrev_b32_e32 v0, 3, v10
	v_lshl_or_b32 v0, v5, 6, v0
	v_and_b32_e32 v6, 31, v4
	v_add_u32_e32 v21, 0x800, v0
	v_mov_b32_e32 v0, 0x800
	v_mov_b32_e32 v3, s11
	v_or_b32_e32 v2, s10, v6
	v_lshl_add_u32 v23, v9, 6, v0
	s_mul_i32 s9, s39, s8
	s_mul_hi_u32 s33, s38, s8
	v_mad_u64_u32 v[0:1], s[52:53], s36, v10, 0
	v_cmp_gt_i64_e64 s[0:1], s[12:13], v[2:3]
	s_add_i32 s39, s33, s9
	s_mul_i32 s38, s38, s8
	v_mov_b32_e32 v2, v1
	s_lshl_b64 s[38:39], s[38:39], 3
	v_mad_u64_u32 v[2:3], s[52:53], s37, v10, v[2:3]
	s_lshl_b64 s[34:35], s[34:35], 8
	v_mov_b32_e32 v1, v2
	s_add_u32 s9, s34, s38
	v_lshlrev_b64 v[0:1], 3, v[0:1]
	s_addc_u32 s33, s35, s39
	v_mov_b32_e32 v2, s33
	v_add_co_u32_e32 v0, vcc, s9, v0
	v_addc_co_u32_e32 v1, vcc, v2, v1, vcc
	v_and_b32_e32 v2, 0x7ff8, v4
	v_add_co_u32_e32 v0, vcc, v0, v2
	v_addc_co_u32_e32 v1, vcc, 0, v1, vcc
	v_lshrrev_b32_e32 v8, 5, v4
	v_mov_b32_e32 v2, s27
	v_add_co_u32_e32 v12, vcc, s26, v0
	v_addc_co_u32_e32 v13, vcc, v2, v1, vcc
	v_mad_u64_u32 v[0:1], s[34:35], s22, v8, 0
	s_mul_i32 s9, s25, s8
	s_mul_hi_u32 s25, s24, s8
	v_mov_b32_e32 v2, v1
	s_add_i32 s25, s25, s9
	s_mul_i32 s24, s24, s8
	s_lshl_b64 s[26:27], s[36:37], 6
	v_mad_u64_u32 v[2:3], s[34:35], s23, v8, v[2:3]
	s_lshl_b64 s[24:25], s[24:25], 3
	s_lshl_b64 s[6:7], s[6:7], 8
	v_mov_b32_e32 v1, v2
	s_add_u32 s6, s6, s24
	v_lshlrev_b64 v[0:1], 3, v[0:1]
	s_addc_u32 s7, s7, s25
	v_mov_b32_e32 v2, s7
	v_add_co_u32_e32 v0, vcc, s6, v0
	v_lshlrev_b32_e32 v6, 3, v6
	v_addc_co_u32_e32 v1, vcc, v2, v1, vcc
	v_add_co_u32_e32 v0, vcc, v0, v6
	v_addc_co_u32_e32 v1, vcc, 0, v1, vcc
	v_mov_b32_e32 v2, s21
	v_add_co_u32_e32 v14, vcc, s20, v0
	v_pk_mov_b32 v[16:17], 0, 0
	v_lshl_or_b32 v11, v8, 8, v6
	v_lshlrev_b32_e32 v22, 3, v20
	v_addc_co_u32_e32 v15, vcc, v2, v1, vcc
	s_lshl_b64 s[6:7], s[22:23], 6
	v_pk_mov_b32 v[0:1], v[16:17], v[16:17] op_sel:[0,1]
	v_pk_mov_b32 v[2:3], v[16:17], v[16:17] op_sel:[0,1]
	;; [unrolled: 1-line block ×4, first 2 shown]
	s_branch .LBB85_3
.LBB85_2:                               ;   in Loop: Header=BB85_3 Depth=1
	s_or_b64 exec, exec, s[20:21]
	s_waitcnt vmcnt(0)
	ds_write_b64 v21, v[18:19]
	s_waitcnt lgkmcnt(0)
	s_barrier
	ds_read2_b64 v[24:27], v22 offset1:16
	ds_read_b128 v[28:31], v23
	ds_read_b128 v[32:35], v23 offset:16
	ds_read_b128 v[36:39], v23 offset:32
	;; [unrolled: 1-line block ×4, first 2 shown]
	ds_read2_b64 v[48:51], v22 offset0:32 offset1:48
	s_waitcnt lgkmcnt(5)
	v_fmac_f64_e32 v[6:7], v[24:25], v[28:29]
	v_fmac_f64_e32 v[4:5], v[26:27], v[28:29]
	ds_read_b128 v[52:55], v23 offset:1040
	s_waitcnt lgkmcnt(2)
	v_fmac_f64_e32 v[2:3], v[24:25], v[44:45]
	v_fmac_f64_e32 v[0:1], v[26:27], v[44:45]
	ds_read2_b64 v[24:27], v22 offset0:64 offset1:80
	s_waitcnt lgkmcnt(2)
	v_fmac_f64_e32 v[6:7], v[48:49], v[30:31]
	v_fmac_f64_e32 v[4:5], v[50:51], v[30:31]
	ds_read2_b64 v[28:31], v22 offset0:96 offset1:112
	v_fmac_f64_e32 v[2:3], v[48:49], v[46:47]
	v_fmac_f64_e32 v[0:1], v[50:51], v[46:47]
	ds_read_b128 v[44:47], v23 offset:1072
	s_waitcnt lgkmcnt(2)
	v_fmac_f64_e32 v[6:7], v[24:25], v[32:33]
	v_fmac_f64_e32 v[4:5], v[26:27], v[32:33]
	;; [unrolled: 1-line block ×4, first 2 shown]
	s_waitcnt lgkmcnt(1)
	v_fmac_f64_e32 v[6:7], v[28:29], v[34:35]
	ds_read2_b64 v[24:27], v22 offset0:128 offset1:144
	v_fmac_f64_e32 v[4:5], v[30:31], v[34:35]
	v_fmac_f64_e32 v[2:3], v[28:29], v[54:55]
	;; [unrolled: 1-line block ×3, first 2 shown]
	ds_read_b128 v[28:31], v23 offset:1056
	ds_read2_b64 v[32:35], v22 offset0:160 offset1:176
	s_waitcnt lgkmcnt(2)
	v_fmac_f64_e32 v[6:7], v[24:25], v[36:37]
	v_fmac_f64_e32 v[4:5], v[26:27], v[36:37]
	v_mov_b32_e32 v18, s27
	s_waitcnt lgkmcnt(1)
	v_fmac_f64_e32 v[2:3], v[24:25], v[28:29]
	v_fmac_f64_e32 v[0:1], v[26:27], v[28:29]
	ds_read2_b64 v[24:27], v22 offset0:192 offset1:208
	s_waitcnt lgkmcnt(1)
	v_fmac_f64_e32 v[2:3], v[32:33], v[30:31]
	v_fmac_f64_e32 v[0:1], v[34:35], v[30:31]
	ds_read2_b64 v[28:31], v22 offset0:224 offset1:240
	v_add_co_u32_e32 v12, vcc, s26, v12
	v_addc_co_u32_e32 v13, vcc, v13, v18, vcc
	s_add_u32 s30, s30, 8
	v_mov_b32_e32 v18, s7
	v_add_co_u32_e32 v14, vcc, s6, v14
	v_fmac_f64_e32 v[6:7], v[32:33], v[38:39]
	v_fmac_f64_e32 v[4:5], v[34:35], v[38:39]
	s_addc_u32 s31, s31, 0
	v_addc_co_u32_e32 v15, vcc, v15, v18, vcc
	v_pk_mov_b32 v[18:19], s[16:17], s[16:17] op_sel:[0,1]
	s_waitcnt lgkmcnt(1)
	v_fmac_f64_e32 v[6:7], v[24:25], v[40:41]
	v_fmac_f64_e32 v[4:5], v[26:27], v[40:41]
	v_fmac_f64_e32 v[2:3], v[24:25], v[44:45]
	v_fmac_f64_e32 v[0:1], v[26:27], v[44:45]
	v_cmp_lt_i64_e32 vcc, s[30:31], v[18:19]
	s_waitcnt lgkmcnt(0)
	v_fmac_f64_e32 v[6:7], v[28:29], v[42:43]
	v_fmac_f64_e32 v[4:5], v[30:31], v[42:43]
	;; [unrolled: 1-line block ×4, first 2 shown]
	s_barrier
	s_cbranch_vccz .LBB85_7
.LBB85_3:                               ; =>This Inner Loop Header: Depth=1
	v_mov_b32_e32 v19, s31
	v_add_co_u32_e32 v18, vcc, s30, v8
	v_addc_co_u32_e32 v19, vcc, 0, v19, vcc
	v_cmp_gt_i64_e32 vcc, s[16:17], v[18:19]
	s_and_b64 s[22:23], s[0:1], vcc
	v_pk_mov_b32 v[18:19], v[16:17], v[16:17] op_sel:[0,1]
	s_and_saveexec_b64 s[20:21], s[22:23]
	s_cbranch_execz .LBB85_5
; %bb.4:                                ;   in Loop: Header=BB85_3 Depth=1
	global_load_dwordx2 v[18:19], v[14:15], off
.LBB85_5:                               ;   in Loop: Header=BB85_3 Depth=1
	s_or_b64 exec, exec, s[20:21]
	s_waitcnt vmcnt(0)
	ds_write_b64 v11, v[18:19]
	v_mov_b32_e32 v19, s31
	v_add_co_u32_e32 v18, vcc, s30, v10
	v_addc_co_u32_e32 v19, vcc, 0, v19, vcc
	v_cmp_gt_i64_e32 vcc, s[16:17], v[18:19]
	s_and_b64 s[22:23], vcc, s[2:3]
	v_pk_mov_b32 v[18:19], v[16:17], v[16:17] op_sel:[0,1]
	s_and_saveexec_b64 s[20:21], s[22:23]
	s_cbranch_execz .LBB85_2
; %bb.6:                                ;   in Loop: Header=BB85_3 Depth=1
	global_load_dwordx2 v[18:19], v[12:13], off
	s_branch .LBB85_2
.LBB85_7:
	s_load_dwordx2 s[0:1], s[4:5], 0x80
	v_mov_b32_e32 v10, s29
	v_add_co_u32_e32 v8, vcc, s28, v9
	v_addc_co_u32_e32 v9, vcc, 0, v10, vcc
	s_waitcnt lgkmcnt(0)
	s_mul_i32 s1, s8, s1
	s_mul_hi_u32 s2, s8, s0
	s_mul_i32 s0, s8, s0
	s_add_i32 s1, s2, s1
	s_lshl_b64 s[0:1], s[0:1], 3
	s_add_u32 s9, s48, s0
	v_cmp_neq_f64_e64 s[2:3], s[40:41], 0
	s_addc_u32 s20, s49, s1
	v_cmp_gt_i64_e64 s[0:1], s[14:15], v[8:9]
	s_and_b64 vcc, exec, s[2:3]
	s_cbranch_vccnz .LBB85_20
; %bb.8:
	s_and_saveexec_b64 s[6:7], s[0:1]
	s_cbranch_execz .LBB85_18
; %bb.9:
	v_mov_b32_e32 v10, s11
	v_add_co_u32_e32 v12, vcc, s10, v20
	v_addc_co_u32_e32 v13, vcc, 0, v10, vcc
	v_mul_lo_u32 v14, v9, s50
	v_mul_lo_u32 v15, v8, s51
	v_mad_u64_u32 v[10:11], s[2:3], v8, s50, 0
	v_add3_u32 v11, v11, v15, v14
	v_lshlrev_b64 v[10:11], 3, v[10:11]
	v_mov_b32_e32 v15, s20
	v_add_co_u32_e64 v14, s[2:3], s9, v10
	v_cmp_gt_i64_e32 vcc, s[12:13], v[12:13]
	v_addc_co_u32_e64 v15, s[2:3], v15, v11, s[2:3]
	v_lshlrev_b64 v[10:11], 3, v[12:13]
	s_and_saveexec_b64 s[4:5], vcc
	s_cbranch_execz .LBB85_11
; %bb.10:
	v_add_co_u32_e64 v16, s[2:3], v14, v10
	v_addc_co_u32_e64 v17, s[2:3], v15, v11, s[2:3]
	v_mul_f64 v[18:19], v[6:7], s[18:19]
	global_store_dwordx2 v[16:17], v[18:19], off
.LBB85_11:
	s_or_b64 exec, exec, s[4:5]
	v_add_co_u32_e64 v12, s[2:3], 16, v12
	v_addc_co_u32_e64 v13, s[2:3], 0, v13, s[2:3]
	v_cmp_gt_i64_e64 s[2:3], s[12:13], v[12:13]
	s_and_saveexec_b64 s[16:17], s[2:3]
	s_cbranch_execz .LBB85_13
; %bb.12:
	v_add_co_u32_e64 v12, s[4:5], v14, v10
	v_addc_co_u32_e64 v13, s[4:5], v15, v11, s[4:5]
	v_mul_f64 v[16:17], v[4:5], s[18:19]
	global_store_dwordx2 v[12:13], v[16:17], off offset:128
.LBB85_13:
	s_or_b64 exec, exec, s[16:17]
	v_add_co_u32_e64 v12, s[4:5], 16, v8
	v_addc_co_u32_e64 v13, s[4:5], 0, v9, s[4:5]
	v_cmp_gt_i64_e64 s[4:5], s[14:15], v[12:13]
	s_and_b64 exec, exec, s[4:5]
	s_cbranch_execz .LBB85_18
; %bb.14:
	s_lshl_b64 s[4:5], s[50:51], 7
	v_mov_b32_e32 v12, s5
	v_add_co_u32_e64 v13, s[4:5], s4, v14
	v_addc_co_u32_e64 v12, s[4:5], v15, v12, s[4:5]
	v_add_co_u32_e64 v10, s[4:5], v13, v10
	v_addc_co_u32_e64 v11, s[4:5], v12, v11, s[4:5]
	s_and_saveexec_b64 s[4:5], vcc
	s_cbranch_execz .LBB85_16
; %bb.15:
	v_mul_f64 v[12:13], v[2:3], s[18:19]
	global_store_dwordx2 v[10:11], v[12:13], off
.LBB85_16:
	s_or_b64 exec, exec, s[4:5]
	s_and_b64 exec, exec, s[2:3]
	s_cbranch_execz .LBB85_18
; %bb.17:
	v_mul_f64 v[12:13], v[0:1], s[18:19]
	global_store_dwordx2 v[10:11], v[12:13], off offset:128
.LBB85_18:
	s_or_b64 exec, exec, s[6:7]
	s_cbranch_execz .LBB85_21
.LBB85_19:
	s_endpgm
.LBB85_20:
.LBB85_21:
	s_and_saveexec_b64 s[2:3], s[0:1]
	s_cbranch_execz .LBB85_19
; %bb.22:
	s_mul_i32 s0, s8, s47
	s_mul_hi_u32 s1, s8, s46
	s_add_i32 s1, s1, s0
	s_mul_i32 s0, s8, s46
	s_lshl_b64 s[0:1], s[0:1], 3
	s_add_u32 s2, s42, s0
	v_mov_b32_e32 v10, s11
	v_add_co_u32_e32 v12, vcc, s10, v20
	s_addc_u32 s3, s43, s1
	v_addc_co_u32_e32 v13, vcc, 0, v10, vcc
	v_mul_lo_u32 v14, v9, s44
	v_mul_lo_u32 v15, v8, s45
	v_mad_u64_u32 v[10:11], s[0:1], v8, s44, 0
	v_add3_u32 v11, v11, v15, v14
	v_mul_lo_u32 v14, v9, s50
	v_mul_lo_u32 v15, v8, s51
	v_mad_u64_u32 v[16:17], s[0:1], v8, s50, 0
	v_lshlrev_b64 v[10:11], 3, v[10:11]
	v_add3_u32 v17, v17, v15, v14
	v_mov_b32_e32 v15, s3
	v_add_co_u32_e64 v14, s[0:1], s2, v10
	v_addc_co_u32_e64 v15, s[0:1], v15, v11, s[0:1]
	v_lshlrev_b64 v[10:11], 3, v[16:17]
	v_mov_b32_e32 v17, s20
	v_add_co_u32_e64 v16, s[0:1], s9, v10
	v_cmp_gt_i64_e32 vcc, s[12:13], v[12:13]
	v_addc_co_u32_e64 v17, s[0:1], v17, v11, s[0:1]
	v_lshlrev_b64 v[10:11], 3, v[12:13]
	s_and_saveexec_b64 s[2:3], vcc
	s_cbranch_execz .LBB85_24
; %bb.23:
	v_add_co_u32_e64 v18, s[0:1], v14, v10
	v_addc_co_u32_e64 v19, s[0:1], v15, v11, s[0:1]
	global_load_dwordx2 v[18:19], v[18:19], off
	s_waitcnt vmcnt(0)
	v_mul_f64 v[18:19], v[18:19], s[40:41]
	v_fmac_f64_e32 v[18:19], s[18:19], v[6:7]
	v_add_co_u32_e64 v6, s[0:1], v16, v10
	v_addc_co_u32_e64 v7, s[0:1], v17, v11, s[0:1]
	global_store_dwordx2 v[6:7], v[18:19], off
.LBB85_24:
	s_or_b64 exec, exec, s[2:3]
	v_add_co_u32_e64 v6, s[0:1], 16, v12
	v_addc_co_u32_e64 v7, s[0:1], 0, v13, s[0:1]
	v_cmp_gt_i64_e64 s[0:1], s[12:13], v[6:7]
	s_and_saveexec_b64 s[4:5], s[0:1]
	s_cbranch_execz .LBB85_26
; %bb.25:
	v_add_co_u32_e64 v6, s[2:3], v14, v10
	v_addc_co_u32_e64 v7, s[2:3], v15, v11, s[2:3]
	global_load_dwordx2 v[6:7], v[6:7], off offset:128
	s_waitcnt vmcnt(0)
	v_mul_f64 v[6:7], v[6:7], s[40:41]
	v_fmac_f64_e32 v[6:7], s[18:19], v[4:5]
	v_add_co_u32_e64 v4, s[2:3], v16, v10
	v_addc_co_u32_e64 v5, s[2:3], v17, v11, s[2:3]
	global_store_dwordx2 v[4:5], v[6:7], off offset:128
.LBB85_26:
	s_or_b64 exec, exec, s[4:5]
	v_add_co_u32_e64 v4, s[2:3], 16, v8
	v_addc_co_u32_e64 v5, s[2:3], 0, v9, s[2:3]
	v_cmp_gt_i64_e64 s[2:3], s[14:15], v[4:5]
	s_and_b64 exec, exec, s[2:3]
	s_cbranch_execz .LBB85_19
; %bb.27:
	s_lshl_b64 s[2:3], s[44:45], 7
	v_mov_b32_e32 v4, s3
	v_add_co_u32_e64 v5, s[2:3], s2, v14
	v_addc_co_u32_e64 v6, s[2:3], v15, v4, s[2:3]
	s_lshl_b64 s[2:3], s[50:51], 7
	v_mov_b32_e32 v4, s3
	v_add_co_u32_e64 v7, s[2:3], s2, v16
	v_addc_co_u32_e64 v8, s[2:3], v17, v4, s[2:3]
	v_add_co_u32_e64 v4, s[2:3], v5, v10
	v_addc_co_u32_e64 v5, s[2:3], v6, v11, s[2:3]
	v_add_co_u32_e64 v6, s[2:3], v7, v10
	v_addc_co_u32_e64 v7, s[2:3], v8, v11, s[2:3]
	s_and_saveexec_b64 s[2:3], vcc
	s_cbranch_execz .LBB85_29
; %bb.28:
	global_load_dwordx2 v[8:9], v[4:5], off
	s_waitcnt vmcnt(0)
	v_mul_f64 v[8:9], v[8:9], s[40:41]
	v_fmac_f64_e32 v[8:9], s[18:19], v[2:3]
	global_store_dwordx2 v[6:7], v[8:9], off
.LBB85_29:
	s_or_b64 exec, exec, s[2:3]
	s_and_b64 exec, exec, s[0:1]
	s_cbranch_execz .LBB85_19
; %bb.30:
	global_load_dwordx2 v[2:3], v[4:5], off offset:128
	s_waitcnt vmcnt(0)
	v_mul_f64 v[2:3], v[2:3], s[40:41]
	v_fmac_f64_e32 v[2:3], s[18:19], v[0:1]
	global_store_dwordx2 v[6:7], v[2:3], off offset:128
	s_endpgm
	.section	.rodata,"a",@progbits
	.p2align	6, 0x0
	.amdhsa_kernel _ZN12_GLOBAL__N_135rocblas_gemm_batched_general_kernelIdLi16ELi16ELi32ELi32ELi8ELi32ELi8ELi8ELi32ELc78ELc67EKdS1_dEEvlllT_PT11_llS4_llS2_PT12_llPT13_lli
		.amdhsa_group_segment_fixed_size 4096
		.amdhsa_private_segment_fixed_size 0
		.amdhsa_kernarg_size 140
		.amdhsa_user_sgpr_count 6
		.amdhsa_user_sgpr_private_segment_buffer 1
		.amdhsa_user_sgpr_dispatch_ptr 0
		.amdhsa_user_sgpr_queue_ptr 0
		.amdhsa_user_sgpr_kernarg_segment_ptr 1
		.amdhsa_user_sgpr_dispatch_id 0
		.amdhsa_user_sgpr_flat_scratch_init 0
		.amdhsa_user_sgpr_kernarg_preload_length 0
		.amdhsa_user_sgpr_kernarg_preload_offset 0
		.amdhsa_user_sgpr_private_segment_size 0
		.amdhsa_uses_dynamic_stack 0
		.amdhsa_system_sgpr_private_segment_wavefront_offset 0
		.amdhsa_system_sgpr_workgroup_id_x 1
		.amdhsa_system_sgpr_workgroup_id_y 1
		.amdhsa_system_sgpr_workgroup_id_z 1
		.amdhsa_system_sgpr_workgroup_info 0
		.amdhsa_system_vgpr_workitem_id 1
		.amdhsa_next_free_vgpr 56
		.amdhsa_next_free_sgpr 54
		.amdhsa_accum_offset 56
		.amdhsa_reserve_vcc 1
		.amdhsa_reserve_flat_scratch 0
		.amdhsa_float_round_mode_32 0
		.amdhsa_float_round_mode_16_64 0
		.amdhsa_float_denorm_mode_32 3
		.amdhsa_float_denorm_mode_16_64 3
		.amdhsa_dx10_clamp 1
		.amdhsa_ieee_mode 1
		.amdhsa_fp16_overflow 0
		.amdhsa_tg_split 0
		.amdhsa_exception_fp_ieee_invalid_op 0
		.amdhsa_exception_fp_denorm_src 0
		.amdhsa_exception_fp_ieee_div_zero 0
		.amdhsa_exception_fp_ieee_overflow 0
		.amdhsa_exception_fp_ieee_underflow 0
		.amdhsa_exception_fp_ieee_inexact 0
		.amdhsa_exception_int_div_zero 0
	.end_amdhsa_kernel
	.section	.text._ZN12_GLOBAL__N_135rocblas_gemm_batched_general_kernelIdLi16ELi16ELi32ELi32ELi8ELi32ELi8ELi8ELi32ELc78ELc67EKdS1_dEEvlllT_PT11_llS4_llS2_PT12_llPT13_lli,"axG",@progbits,_ZN12_GLOBAL__N_135rocblas_gemm_batched_general_kernelIdLi16ELi16ELi32ELi32ELi8ELi32ELi8ELi8ELi32ELc78ELc67EKdS1_dEEvlllT_PT11_llS4_llS2_PT12_llPT13_lli,comdat
.Lfunc_end85:
	.size	_ZN12_GLOBAL__N_135rocblas_gemm_batched_general_kernelIdLi16ELi16ELi32ELi32ELi8ELi32ELi8ELi8ELi32ELc78ELc67EKdS1_dEEvlllT_PT11_llS4_llS2_PT12_llPT13_lli, .Lfunc_end85-_ZN12_GLOBAL__N_135rocblas_gemm_batched_general_kernelIdLi16ELi16ELi32ELi32ELi8ELi32ELi8ELi8ELi32ELc78ELc67EKdS1_dEEvlllT_PT11_llS4_llS2_PT12_llPT13_lli
                                        ; -- End function
	.section	.AMDGPU.csdata,"",@progbits
; Kernel info:
; codeLenInByte = 1924
; NumSgprs: 58
; NumVgprs: 56
; NumAgprs: 0
; TotalNumVgprs: 56
; ScratchSize: 0
; MemoryBound: 0
; FloatMode: 240
; IeeeMode: 1
; LDSByteSize: 4096 bytes/workgroup (compile time only)
; SGPRBlocks: 7
; VGPRBlocks: 6
; NumSGPRsForWavesPerEU: 58
; NumVGPRsForWavesPerEU: 56
; AccumOffset: 56
; Occupancy: 8
; WaveLimiterHint : 0
; COMPUTE_PGM_RSRC2:SCRATCH_EN: 0
; COMPUTE_PGM_RSRC2:USER_SGPR: 6
; COMPUTE_PGM_RSRC2:TRAP_HANDLER: 0
; COMPUTE_PGM_RSRC2:TGID_X_EN: 1
; COMPUTE_PGM_RSRC2:TGID_Y_EN: 1
; COMPUTE_PGM_RSRC2:TGID_Z_EN: 1
; COMPUTE_PGM_RSRC2:TIDIG_COMP_CNT: 1
; COMPUTE_PGM_RSRC3_GFX90A:ACCUM_OFFSET: 13
; COMPUTE_PGM_RSRC3_GFX90A:TG_SPLIT: 0
	.section	.text._ZN12_GLOBAL__N_135rocblas_gemm_batched_general_kernelIdLi16ELi16ELi32ELi32ELi8ELi32ELi8ELi8ELi32ELc84ELc67EKdS1_dEEvlllT_PT11_llS4_llS2_PT12_llPT13_lli,"axG",@progbits,_ZN12_GLOBAL__N_135rocblas_gemm_batched_general_kernelIdLi16ELi16ELi32ELi32ELi8ELi32ELi8ELi8ELi32ELc84ELc67EKdS1_dEEvlllT_PT11_llS4_llS2_PT12_llPT13_lli,comdat
	.globl	_ZN12_GLOBAL__N_135rocblas_gemm_batched_general_kernelIdLi16ELi16ELi32ELi32ELi8ELi32ELi8ELi8ELi32ELc84ELc67EKdS1_dEEvlllT_PT11_llS4_llS2_PT12_llPT13_lli ; -- Begin function _ZN12_GLOBAL__N_135rocblas_gemm_batched_general_kernelIdLi16ELi16ELi32ELi32ELi8ELi32ELi8ELi8ELi32ELc84ELc67EKdS1_dEEvlllT_PT11_llS4_llS2_PT12_llPT13_lli
	.p2align	8
	.type	_ZN12_GLOBAL__N_135rocblas_gemm_batched_general_kernelIdLi16ELi16ELi32ELi32ELi8ELi32ELi8ELi8ELi32ELc84ELc67EKdS1_dEEvlllT_PT11_llS4_llS2_PT12_llPT13_lli,@function
_ZN12_GLOBAL__N_135rocblas_gemm_batched_general_kernelIdLi16ELi16ELi32ELi32ELi8ELi32ELi8ELi8ELi32ELc84ELc67EKdS1_dEEvlllT_PT11_llS4_llS2_PT12_llPT13_lli: ; @_ZN12_GLOBAL__N_135rocblas_gemm_batched_general_kernelIdLi16ELi16ELi32ELi32ELi8ELi32ELi8ELi8ELi32ELc84ELc67EKdS1_dEEvlllT_PT11_llS4_llS2_PT12_llPT13_lli
; %bb.0:
	s_load_dwordx16 s[12:27], s[4:5], 0x0
	s_load_dwordx16 s[36:51], s[4:5], 0x40
	s_mov_b32 s30, s7
	s_ashr_i32 s7, s6, 31
	s_ashr_i32 s31, s30, 31
	s_waitcnt lgkmcnt(0)
	v_cmp_lt_i64_e64 s[0:1], s[16:17], 1
	v_pk_mov_b32 v[6:7], 0, 0
	v_and_b32_e32 v20, 0x3ff, v0
	v_bfe_u32 v9, v0, 10, 10
	s_lshl_b64 s[6:7], s[6:7], 5
	s_lshl_b64 s[10:11], s[30:31], 5
	s_mov_b64 s[28:29], 0
	s_and_b64 vcc, exec, s[0:1]
	v_pk_mov_b32 v[4:5], v[6:7], v[6:7] op_sel:[0,1]
	v_pk_mov_b32 v[2:3], v[6:7], v[6:7] op_sel:[0,1]
	v_pk_mov_b32 v[0:1], v[6:7], v[6:7] op_sel:[0,1]
	s_cbranch_vccnz .LBB86_7
; %bb.1:
	v_lshl_add_u32 v4, v9, 4, v20
	v_lshrrev_b32_e32 v5, 3, v4
	v_mov_b32_e32 v1, s11
	v_add_co_u32_e32 v0, vcc, s10, v5
	v_and_b32_e32 v10, 7, v20
	v_addc_co_u32_e32 v1, vcc, 0, v1, vcc
	v_cmp_gt_i64_e64 s[2:3], s[14:15], v[0:1]
	v_lshlrev_b32_e32 v0, 3, v10
	v_and_b32_e32 v6, 31, v4
	v_lshl_or_b32 v0, v5, 6, v0
	v_mov_b32_e32 v3, s7
	v_or_b32_e32 v2, s6, v6
	v_add_u32_e32 v21, 0x800, v0
	v_mov_b32_e32 v0, 0x800
	v_lshrrev_b32_e32 v8, 5, v4
	v_cmp_gt_i64_e64 s[0:1], s[12:13], v[2:3]
	v_lshlrev_b32_e32 v2, 3, v6
	v_lshl_add_u32 v23, v9, 6, v0
	s_mul_i32 s9, s39, s8
	s_mul_hi_u32 s33, s38, s8
	s_mul_i32 s34, s38, s8
	v_mad_u64_u32 v[0:1], s[38:39], s36, v10, 0
	v_lshl_or_b32 v11, v8, 8, v2
	s_add_i32 s35, s33, s9
	v_mov_b32_e32 v2, v1
	s_lshl_b64 s[34:35], s[34:35], 3
	v_mad_u64_u32 v[2:3], s[38:39], s37, v10, v[2:3]
	s_lshl_b64 s[30:31], s[30:31], 8
	v_mov_b32_e32 v1, v2
	s_add_u32 s9, s30, s34
	v_lshlrev_b64 v[0:1], 3, v[0:1]
	s_addc_u32 s30, s31, s35
	v_mov_b32_e32 v2, s30
	v_add_co_u32_e32 v0, vcc, s9, v0
	v_addc_co_u32_e32 v1, vcc, v2, v1, vcc
	v_and_b32_e32 v2, 0x7ff8, v4
	v_add_co_u32_e32 v0, vcc, v0, v2
	v_addc_co_u32_e32 v1, vcc, 0, v1, vcc
	v_mov_b32_e32 v2, s27
	v_add_co_u32_e32 v12, vcc, s26, v0
	v_addc_co_u32_e32 v13, vcc, v2, v1, vcc
	v_mov_b32_e32 v0, s7
	v_add_co_u32_e32 v1, vcc, s6, v6
	v_addc_co_u32_e32 v0, vcc, 0, v0, vcc
	v_mul_lo_u32 v2, s23, v1
	v_mul_lo_u32 v3, s22, v0
	v_mad_u64_u32 v[0:1], s[22:23], s22, v1, 0
	s_mul_i32 s9, s25, s8
	s_mul_hi_u32 s22, s24, s8
	v_add3_u32 v1, v1, v3, v2
	s_add_i32 s23, s22, s9
	s_mul_i32 s22, s24, s8
	v_lshlrev_b64 v[0:1], 3, v[0:1]
	s_lshl_b64 s[22:23], s[22:23], 3
	v_mov_b32_e32 v2, s23
	v_add_co_u32_e32 v0, vcc, s22, v0
	v_addc_co_u32_e32 v1, vcc, v1, v2, vcc
	v_lshlrev_b32_e32 v2, 3, v8
	v_add_co_u32_e32 v0, vcc, v0, v2
	v_addc_co_u32_e32 v1, vcc, 0, v1, vcc
	s_lshl_b64 s[26:27], s[36:37], 6
	v_mov_b32_e32 v2, s21
	v_add_co_u32_e32 v14, vcc, s20, v0
	v_pk_mov_b32 v[16:17], 0, 0
	v_lshlrev_b32_e32 v22, 3, v20
	v_addc_co_u32_e32 v15, vcc, v2, v1, vcc
	v_mov_b32_e32 v24, s27
	v_pk_mov_b32 v[0:1], v[16:17], v[16:17] op_sel:[0,1]
	v_pk_mov_b32 v[2:3], v[16:17], v[16:17] op_sel:[0,1]
	;; [unrolled: 1-line block ×4, first 2 shown]
	s_branch .LBB86_3
.LBB86_2:                               ;   in Loop: Header=BB86_3 Depth=1
	s_or_b64 exec, exec, s[20:21]
	s_waitcnt vmcnt(0)
	ds_write_b64 v21, v[18:19]
	s_waitcnt lgkmcnt(0)
	s_barrier
	ds_read2_b64 v[26:29], v22 offset1:16
	ds_read_b128 v[30:33], v23
	ds_read_b128 v[34:37], v23 offset:16
	ds_read_b128 v[38:41], v23 offset:32
	;; [unrolled: 1-line block ×4, first 2 shown]
	ds_read2_b64 v[50:53], v22 offset0:32 offset1:48
	s_waitcnt lgkmcnt(5)
	v_fmac_f64_e32 v[6:7], v[26:27], v[30:31]
	v_fmac_f64_e32 v[4:5], v[28:29], v[30:31]
	ds_read_b128 v[54:57], v23 offset:1040
	s_waitcnt lgkmcnt(2)
	v_fmac_f64_e32 v[2:3], v[26:27], v[46:47]
	v_fmac_f64_e32 v[0:1], v[28:29], v[46:47]
	ds_read2_b64 v[26:29], v22 offset0:64 offset1:80
	s_waitcnt lgkmcnt(2)
	v_fmac_f64_e32 v[6:7], v[50:51], v[32:33]
	v_fmac_f64_e32 v[4:5], v[52:53], v[32:33]
	ds_read2_b64 v[30:33], v22 offset0:96 offset1:112
	v_fmac_f64_e32 v[2:3], v[50:51], v[48:49]
	v_fmac_f64_e32 v[0:1], v[52:53], v[48:49]
	ds_read_b128 v[46:49], v23 offset:1072
	s_waitcnt lgkmcnt(2)
	v_fmac_f64_e32 v[6:7], v[26:27], v[34:35]
	v_fmac_f64_e32 v[4:5], v[28:29], v[34:35]
	;; [unrolled: 1-line block ×4, first 2 shown]
	s_waitcnt lgkmcnt(1)
	v_fmac_f64_e32 v[6:7], v[30:31], v[36:37]
	ds_read2_b64 v[26:29], v22 offset0:128 offset1:144
	v_fmac_f64_e32 v[4:5], v[32:33], v[36:37]
	v_fmac_f64_e32 v[2:3], v[30:31], v[56:57]
	;; [unrolled: 1-line block ×3, first 2 shown]
	ds_read_b128 v[30:33], v23 offset:1056
	ds_read2_b64 v[34:37], v22 offset0:160 offset1:176
	s_waitcnt lgkmcnt(2)
	v_fmac_f64_e32 v[6:7], v[26:27], v[38:39]
	v_fmac_f64_e32 v[4:5], v[28:29], v[38:39]
	v_add_co_u32_e32 v12, vcc, s26, v12
	s_waitcnt lgkmcnt(1)
	v_fmac_f64_e32 v[2:3], v[26:27], v[30:31]
	v_fmac_f64_e32 v[0:1], v[28:29], v[30:31]
	ds_read2_b64 v[26:29], v22 offset0:192 offset1:208
	s_waitcnt lgkmcnt(1)
	v_fmac_f64_e32 v[2:3], v[34:35], v[32:33]
	v_fmac_f64_e32 v[0:1], v[36:37], v[32:33]
	ds_read2_b64 v[30:33], v22 offset0:224 offset1:240
	v_addc_co_u32_e32 v13, vcc, v13, v24, vcc
	s_add_u32 s28, s28, 8
	v_add_co_u32_e32 v14, vcc, 64, v14
	v_fmac_f64_e32 v[6:7], v[34:35], v[40:41]
	v_fmac_f64_e32 v[4:5], v[36:37], v[40:41]
	s_addc_u32 s29, s29, 0
	v_addc_co_u32_e32 v15, vcc, 0, v15, vcc
	v_pk_mov_b32 v[18:19], s[16:17], s[16:17] op_sel:[0,1]
	s_waitcnt lgkmcnt(1)
	v_fmac_f64_e32 v[6:7], v[26:27], v[42:43]
	v_fmac_f64_e32 v[4:5], v[28:29], v[42:43]
	;; [unrolled: 1-line block ×4, first 2 shown]
	v_cmp_lt_i64_e32 vcc, s[28:29], v[18:19]
	s_waitcnt lgkmcnt(0)
	v_fmac_f64_e32 v[6:7], v[30:31], v[44:45]
	v_fmac_f64_e32 v[4:5], v[32:33], v[44:45]
	;; [unrolled: 1-line block ×4, first 2 shown]
	s_barrier
	s_cbranch_vccz .LBB86_7
.LBB86_3:                               ; =>This Inner Loop Header: Depth=1
	v_mov_b32_e32 v19, s29
	v_add_co_u32_e32 v18, vcc, s28, v8
	v_addc_co_u32_e32 v19, vcc, 0, v19, vcc
	v_cmp_gt_i64_e32 vcc, s[16:17], v[18:19]
	s_and_b64 s[22:23], s[0:1], vcc
	v_pk_mov_b32 v[18:19], v[16:17], v[16:17] op_sel:[0,1]
	s_and_saveexec_b64 s[20:21], s[22:23]
	s_cbranch_execz .LBB86_5
; %bb.4:                                ;   in Loop: Header=BB86_3 Depth=1
	global_load_dwordx2 v[18:19], v[14:15], off
.LBB86_5:                               ;   in Loop: Header=BB86_3 Depth=1
	s_or_b64 exec, exec, s[20:21]
	s_waitcnt vmcnt(0)
	ds_write_b64 v11, v[18:19]
	v_mov_b32_e32 v19, s29
	v_add_co_u32_e32 v18, vcc, s28, v10
	v_addc_co_u32_e32 v19, vcc, 0, v19, vcc
	v_cmp_gt_i64_e32 vcc, s[16:17], v[18:19]
	s_and_b64 s[22:23], vcc, s[2:3]
	v_pk_mov_b32 v[18:19], v[16:17], v[16:17] op_sel:[0,1]
	s_and_saveexec_b64 s[20:21], s[22:23]
	s_cbranch_execz .LBB86_2
; %bb.6:                                ;   in Loop: Header=BB86_3 Depth=1
	global_load_dwordx2 v[18:19], v[12:13], off
	s_branch .LBB86_2
.LBB86_7:
	s_load_dwordx2 s[0:1], s[4:5], 0x80
	v_mov_b32_e32 v10, s11
	v_add_co_u32_e32 v8, vcc, s10, v9
	v_addc_co_u32_e32 v9, vcc, 0, v10, vcc
	s_waitcnt lgkmcnt(0)
	s_mul_i32 s1, s8, s1
	s_mul_hi_u32 s2, s8, s0
	s_mul_i32 s0, s8, s0
	s_add_i32 s1, s2, s1
	s_lshl_b64 s[0:1], s[0:1], 3
	s_add_u32 s9, s48, s0
	v_cmp_neq_f64_e64 s[2:3], s[40:41], 0
	s_addc_u32 s20, s49, s1
	v_cmp_gt_i64_e64 s[0:1], s[14:15], v[8:9]
	s_and_b64 vcc, exec, s[2:3]
	s_cbranch_vccnz .LBB86_20
; %bb.8:
	s_and_saveexec_b64 s[10:11], s[0:1]
	s_cbranch_execz .LBB86_18
; %bb.9:
	v_mov_b32_e32 v10, s7
	v_add_co_u32_e32 v12, vcc, s6, v20
	v_addc_co_u32_e32 v13, vcc, 0, v10, vcc
	v_mul_lo_u32 v14, v9, s50
	v_mul_lo_u32 v15, v8, s51
	v_mad_u64_u32 v[10:11], s[2:3], v8, s50, 0
	v_add3_u32 v11, v11, v15, v14
	v_lshlrev_b64 v[10:11], 3, v[10:11]
	v_mov_b32_e32 v15, s20
	v_add_co_u32_e64 v14, s[2:3], s9, v10
	v_cmp_gt_i64_e32 vcc, s[12:13], v[12:13]
	v_addc_co_u32_e64 v15, s[2:3], v15, v11, s[2:3]
	v_lshlrev_b64 v[10:11], 3, v[12:13]
	s_and_saveexec_b64 s[4:5], vcc
	s_cbranch_execz .LBB86_11
; %bb.10:
	v_add_co_u32_e64 v16, s[2:3], v14, v10
	v_addc_co_u32_e64 v17, s[2:3], v15, v11, s[2:3]
	v_mul_f64 v[18:19], v[6:7], s[18:19]
	global_store_dwordx2 v[16:17], v[18:19], off
.LBB86_11:
	s_or_b64 exec, exec, s[4:5]
	v_add_co_u32_e64 v12, s[2:3], 16, v12
	v_addc_co_u32_e64 v13, s[2:3], 0, v13, s[2:3]
	v_cmp_gt_i64_e64 s[2:3], s[12:13], v[12:13]
	s_and_saveexec_b64 s[16:17], s[2:3]
	s_cbranch_execz .LBB86_13
; %bb.12:
	v_add_co_u32_e64 v12, s[4:5], v14, v10
	v_addc_co_u32_e64 v13, s[4:5], v15, v11, s[4:5]
	v_mul_f64 v[16:17], v[4:5], s[18:19]
	global_store_dwordx2 v[12:13], v[16:17], off offset:128
.LBB86_13:
	s_or_b64 exec, exec, s[16:17]
	v_add_co_u32_e64 v12, s[4:5], 16, v8
	v_addc_co_u32_e64 v13, s[4:5], 0, v9, s[4:5]
	v_cmp_gt_i64_e64 s[4:5], s[14:15], v[12:13]
	s_and_b64 exec, exec, s[4:5]
	s_cbranch_execz .LBB86_18
; %bb.14:
	s_lshl_b64 s[4:5], s[50:51], 7
	v_mov_b32_e32 v12, s5
	v_add_co_u32_e64 v13, s[4:5], s4, v14
	v_addc_co_u32_e64 v12, s[4:5], v15, v12, s[4:5]
	v_add_co_u32_e64 v10, s[4:5], v13, v10
	v_addc_co_u32_e64 v11, s[4:5], v12, v11, s[4:5]
	s_and_saveexec_b64 s[4:5], vcc
	s_cbranch_execz .LBB86_16
; %bb.15:
	v_mul_f64 v[12:13], v[2:3], s[18:19]
	global_store_dwordx2 v[10:11], v[12:13], off
.LBB86_16:
	s_or_b64 exec, exec, s[4:5]
	s_and_b64 exec, exec, s[2:3]
	s_cbranch_execz .LBB86_18
; %bb.17:
	v_mul_f64 v[12:13], v[0:1], s[18:19]
	global_store_dwordx2 v[10:11], v[12:13], off offset:128
.LBB86_18:
	s_or_b64 exec, exec, s[10:11]
	s_cbranch_execz .LBB86_21
.LBB86_19:
	s_endpgm
.LBB86_20:
.LBB86_21:
	s_and_saveexec_b64 s[2:3], s[0:1]
	s_cbranch_execz .LBB86_19
; %bb.22:
	s_mul_i32 s0, s8, s47
	s_mul_hi_u32 s1, s8, s46
	s_add_i32 s1, s1, s0
	s_mul_i32 s0, s8, s46
	s_lshl_b64 s[0:1], s[0:1], 3
	s_add_u32 s2, s42, s0
	v_mov_b32_e32 v10, s7
	v_add_co_u32_e32 v12, vcc, s6, v20
	s_addc_u32 s3, s43, s1
	v_addc_co_u32_e32 v13, vcc, 0, v10, vcc
	v_mul_lo_u32 v14, v9, s44
	v_mul_lo_u32 v15, v8, s45
	v_mad_u64_u32 v[10:11], s[0:1], v8, s44, 0
	v_add3_u32 v11, v11, v15, v14
	v_mul_lo_u32 v14, v9, s50
	v_mul_lo_u32 v15, v8, s51
	v_mad_u64_u32 v[16:17], s[0:1], v8, s50, 0
	v_lshlrev_b64 v[10:11], 3, v[10:11]
	v_add3_u32 v17, v17, v15, v14
	v_mov_b32_e32 v15, s3
	v_add_co_u32_e64 v14, s[0:1], s2, v10
	v_addc_co_u32_e64 v15, s[0:1], v15, v11, s[0:1]
	v_lshlrev_b64 v[10:11], 3, v[16:17]
	v_mov_b32_e32 v17, s20
	v_add_co_u32_e64 v16, s[0:1], s9, v10
	v_cmp_gt_i64_e32 vcc, s[12:13], v[12:13]
	v_addc_co_u32_e64 v17, s[0:1], v17, v11, s[0:1]
	v_lshlrev_b64 v[10:11], 3, v[12:13]
	s_and_saveexec_b64 s[2:3], vcc
	s_cbranch_execz .LBB86_24
; %bb.23:
	v_add_co_u32_e64 v18, s[0:1], v14, v10
	v_addc_co_u32_e64 v19, s[0:1], v15, v11, s[0:1]
	global_load_dwordx2 v[18:19], v[18:19], off
	s_waitcnt vmcnt(0)
	v_mul_f64 v[18:19], v[18:19], s[40:41]
	v_fmac_f64_e32 v[18:19], s[18:19], v[6:7]
	v_add_co_u32_e64 v6, s[0:1], v16, v10
	v_addc_co_u32_e64 v7, s[0:1], v17, v11, s[0:1]
	global_store_dwordx2 v[6:7], v[18:19], off
.LBB86_24:
	s_or_b64 exec, exec, s[2:3]
	v_add_co_u32_e64 v6, s[0:1], 16, v12
	v_addc_co_u32_e64 v7, s[0:1], 0, v13, s[0:1]
	v_cmp_gt_i64_e64 s[0:1], s[12:13], v[6:7]
	s_and_saveexec_b64 s[4:5], s[0:1]
	s_cbranch_execz .LBB86_26
; %bb.25:
	v_add_co_u32_e64 v6, s[2:3], v14, v10
	v_addc_co_u32_e64 v7, s[2:3], v15, v11, s[2:3]
	global_load_dwordx2 v[6:7], v[6:7], off offset:128
	s_waitcnt vmcnt(0)
	v_mul_f64 v[6:7], v[6:7], s[40:41]
	v_fmac_f64_e32 v[6:7], s[18:19], v[4:5]
	v_add_co_u32_e64 v4, s[2:3], v16, v10
	v_addc_co_u32_e64 v5, s[2:3], v17, v11, s[2:3]
	global_store_dwordx2 v[4:5], v[6:7], off offset:128
.LBB86_26:
	s_or_b64 exec, exec, s[4:5]
	v_add_co_u32_e64 v4, s[2:3], 16, v8
	v_addc_co_u32_e64 v5, s[2:3], 0, v9, s[2:3]
	v_cmp_gt_i64_e64 s[2:3], s[14:15], v[4:5]
	s_and_b64 exec, exec, s[2:3]
	s_cbranch_execz .LBB86_19
; %bb.27:
	s_lshl_b64 s[2:3], s[44:45], 7
	v_mov_b32_e32 v4, s3
	v_add_co_u32_e64 v5, s[2:3], s2, v14
	v_addc_co_u32_e64 v6, s[2:3], v15, v4, s[2:3]
	s_lshl_b64 s[2:3], s[50:51], 7
	v_mov_b32_e32 v4, s3
	v_add_co_u32_e64 v7, s[2:3], s2, v16
	v_addc_co_u32_e64 v8, s[2:3], v17, v4, s[2:3]
	v_add_co_u32_e64 v4, s[2:3], v5, v10
	v_addc_co_u32_e64 v5, s[2:3], v6, v11, s[2:3]
	;; [unrolled: 2-line block ×3, first 2 shown]
	s_and_saveexec_b64 s[2:3], vcc
	s_cbranch_execz .LBB86_29
; %bb.28:
	global_load_dwordx2 v[8:9], v[4:5], off
	s_waitcnt vmcnt(0)
	v_mul_f64 v[8:9], v[8:9], s[40:41]
	v_fmac_f64_e32 v[8:9], s[18:19], v[2:3]
	global_store_dwordx2 v[6:7], v[8:9], off
.LBB86_29:
	s_or_b64 exec, exec, s[2:3]
	s_and_b64 exec, exec, s[0:1]
	s_cbranch_execz .LBB86_19
; %bb.30:
	global_load_dwordx2 v[2:3], v[4:5], off offset:128
	s_waitcnt vmcnt(0)
	v_mul_f64 v[2:3], v[2:3], s[40:41]
	v_fmac_f64_e32 v[2:3], s[18:19], v[0:1]
	global_store_dwordx2 v[6:7], v[2:3], off offset:128
	s_endpgm
	.section	.rodata,"a",@progbits
	.p2align	6, 0x0
	.amdhsa_kernel _ZN12_GLOBAL__N_135rocblas_gemm_batched_general_kernelIdLi16ELi16ELi32ELi32ELi8ELi32ELi8ELi8ELi32ELc84ELc67EKdS1_dEEvlllT_PT11_llS4_llS2_PT12_llPT13_lli
		.amdhsa_group_segment_fixed_size 4096
		.amdhsa_private_segment_fixed_size 0
		.amdhsa_kernarg_size 140
		.amdhsa_user_sgpr_count 6
		.amdhsa_user_sgpr_private_segment_buffer 1
		.amdhsa_user_sgpr_dispatch_ptr 0
		.amdhsa_user_sgpr_queue_ptr 0
		.amdhsa_user_sgpr_kernarg_segment_ptr 1
		.amdhsa_user_sgpr_dispatch_id 0
		.amdhsa_user_sgpr_flat_scratch_init 0
		.amdhsa_user_sgpr_kernarg_preload_length 0
		.amdhsa_user_sgpr_kernarg_preload_offset 0
		.amdhsa_user_sgpr_private_segment_size 0
		.amdhsa_uses_dynamic_stack 0
		.amdhsa_system_sgpr_private_segment_wavefront_offset 0
		.amdhsa_system_sgpr_workgroup_id_x 1
		.amdhsa_system_sgpr_workgroup_id_y 1
		.amdhsa_system_sgpr_workgroup_id_z 1
		.amdhsa_system_sgpr_workgroup_info 0
		.amdhsa_system_vgpr_workitem_id 1
		.amdhsa_next_free_vgpr 58
		.amdhsa_next_free_sgpr 52
		.amdhsa_accum_offset 60
		.amdhsa_reserve_vcc 1
		.amdhsa_reserve_flat_scratch 0
		.amdhsa_float_round_mode_32 0
		.amdhsa_float_round_mode_16_64 0
		.amdhsa_float_denorm_mode_32 3
		.amdhsa_float_denorm_mode_16_64 3
		.amdhsa_dx10_clamp 1
		.amdhsa_ieee_mode 1
		.amdhsa_fp16_overflow 0
		.amdhsa_tg_split 0
		.amdhsa_exception_fp_ieee_invalid_op 0
		.amdhsa_exception_fp_denorm_src 0
		.amdhsa_exception_fp_ieee_div_zero 0
		.amdhsa_exception_fp_ieee_overflow 0
		.amdhsa_exception_fp_ieee_underflow 0
		.amdhsa_exception_fp_ieee_inexact 0
		.amdhsa_exception_int_div_zero 0
	.end_amdhsa_kernel
	.section	.text._ZN12_GLOBAL__N_135rocblas_gemm_batched_general_kernelIdLi16ELi16ELi32ELi32ELi8ELi32ELi8ELi8ELi32ELc84ELc67EKdS1_dEEvlllT_PT11_llS4_llS2_PT12_llPT13_lli,"axG",@progbits,_ZN12_GLOBAL__N_135rocblas_gemm_batched_general_kernelIdLi16ELi16ELi32ELi32ELi8ELi32ELi8ELi8ELi32ELc84ELc67EKdS1_dEEvlllT_PT11_llS4_llS2_PT12_llPT13_lli,comdat
.Lfunc_end86:
	.size	_ZN12_GLOBAL__N_135rocblas_gemm_batched_general_kernelIdLi16ELi16ELi32ELi32ELi8ELi32ELi8ELi8ELi32ELc84ELc67EKdS1_dEEvlllT_PT11_llS4_llS2_PT12_llPT13_lli, .Lfunc_end86-_ZN12_GLOBAL__N_135rocblas_gemm_batched_general_kernelIdLi16ELi16ELi32ELi32ELi8ELi32ELi8ELi8ELi32ELc84ELc67EKdS1_dEEvlllT_PT11_llS4_llS2_PT12_llPT13_lli
                                        ; -- End function
	.section	.AMDGPU.csdata,"",@progbits
; Kernel info:
; codeLenInByte = 1928
; NumSgprs: 56
; NumVgprs: 58
; NumAgprs: 0
; TotalNumVgprs: 58
; ScratchSize: 0
; MemoryBound: 0
; FloatMode: 240
; IeeeMode: 1
; LDSByteSize: 4096 bytes/workgroup (compile time only)
; SGPRBlocks: 6
; VGPRBlocks: 7
; NumSGPRsForWavesPerEU: 56
; NumVGPRsForWavesPerEU: 58
; AccumOffset: 60
; Occupancy: 8
; WaveLimiterHint : 0
; COMPUTE_PGM_RSRC2:SCRATCH_EN: 0
; COMPUTE_PGM_RSRC2:USER_SGPR: 6
; COMPUTE_PGM_RSRC2:TRAP_HANDLER: 0
; COMPUTE_PGM_RSRC2:TGID_X_EN: 1
; COMPUTE_PGM_RSRC2:TGID_Y_EN: 1
; COMPUTE_PGM_RSRC2:TGID_Z_EN: 1
; COMPUTE_PGM_RSRC2:TIDIG_COMP_CNT: 1
; COMPUTE_PGM_RSRC3_GFX90A:ACCUM_OFFSET: 14
; COMPUTE_PGM_RSRC3_GFX90A:TG_SPLIT: 0
	.section	.text._ZN12_GLOBAL__N_125rocblas_gemm_scale_kernelILi32ELi32E19rocblas_complex_numIfEPS2_EEviiT1_T2_llli,"axG",@progbits,_ZN12_GLOBAL__N_125rocblas_gemm_scale_kernelILi32ELi32E19rocblas_complex_numIfEPS2_EEviiT1_T2_llli,comdat
	.globl	_ZN12_GLOBAL__N_125rocblas_gemm_scale_kernelILi32ELi32E19rocblas_complex_numIfEPS2_EEviiT1_T2_llli ; -- Begin function _ZN12_GLOBAL__N_125rocblas_gemm_scale_kernelILi32ELi32E19rocblas_complex_numIfEPS2_EEviiT1_T2_llli
	.p2align	8
	.type	_ZN12_GLOBAL__N_125rocblas_gemm_scale_kernelILi32ELi32E19rocblas_complex_numIfEPS2_EEviiT1_T2_llli,@function
_ZN12_GLOBAL__N_125rocblas_gemm_scale_kernelILi32ELi32E19rocblas_complex_numIfEPS2_EEviiT1_T2_llli: ; @_ZN12_GLOBAL__N_125rocblas_gemm_scale_kernelILi32ELi32E19rocblas_complex_numIfEPS2_EEviiT1_T2_llli
; %bb.0:
	s_load_dwordx4 s[0:3], s[4:5], 0x0
	v_and_b32_e32 v1, 0x3ff, v0
	v_bfe_u32 v0, v0, 10, 10
	v_lshl_add_u32 v2, s6, 5, v1
	v_lshl_add_u32 v0, s7, 5, v0
	s_waitcnt lgkmcnt(0)
	v_cmp_gt_u32_e32 vcc, s0, v2
	v_cmp_gt_u32_e64 s[0:1], s1, v0
	s_and_b64 s[0:1], vcc, s[0:1]
	s_and_saveexec_b64 s[6:7], s[0:1]
	s_cbranch_execz .LBB87_4
; %bb.1:
	s_load_dwordx8 s[12:19], s[4:5], 0x10
	v_mov_b32_e32 v3, 0
	s_waitcnt lgkmcnt(0)
	s_mul_i32 s1, s8, s19
	s_mul_hi_u32 s4, s8, s18
	s_mul_i32 s0, s8, s18
	s_add_i32 s1, s4, s1
	s_lshl_b64 s[0:1], s[0:1], 3
	s_add_u32 s4, s12, s0
	s_addc_u32 s5, s13, s1
	s_lshl_b64 s[0:1], s[14:15], 3
	s_add_u32 s0, s4, s0
	s_addc_u32 s1, s5, s1
	s_or_b32 s4, s2, s3
	s_and_b32 s6, s4, 0x7fffffff
	v_mad_u64_u32 v[4:5], s[4:5], v0, s16, 0
	v_mov_b32_e32 v6, v5
	v_mad_u64_u32 v[0:1], s[4:5], v0, s17, v[6:7]
	v_mov_b32_e32 v5, v0
	s_cmp_eq_u32 s6, 0
	v_lshlrev_b64 v[4:5], 3, v[4:5]
	v_lshlrev_b64 v[0:1], 3, v[2:3]
	v_mov_b32_e32 v7, v3
	s_cbranch_scc1 .LBB87_3
; %bb.2:
	v_mov_b32_e32 v2, s1
	v_add_co_u32_e32 v3, vcc, s0, v4
	v_addc_co_u32_e32 v6, vcc, v2, v5, vcc
	v_add_co_u32_e32 v2, vcc, v3, v0
	v_addc_co_u32_e32 v3, vcc, v6, v1, vcc
	global_load_dwordx2 v[2:3], v[2:3], off
	s_mov_b32 s4, s3
	s_waitcnt vmcnt(0)
	v_pk_mul_f32 v[6:7], v[2:3], s[4:5] op_sel_hi:[1,0]
	v_pk_fma_f32 v[8:9], v[2:3], s[2:3], v[6:7] op_sel:[0,0,1] op_sel_hi:[1,1,0] neg_lo:[0,0,1] neg_hi:[0,0,1]
	v_pk_fma_f32 v[6:7], v[2:3], s[2:3], v[6:7] op_sel:[0,0,1] op_sel_hi:[1,0,0]
	v_mov_b32_e32 v3, v8
.LBB87_3:
	v_mov_b32_e32 v6, v3
	v_mov_b32_e32 v2, s1
	v_add_co_u32_e32 v3, vcc, s0, v4
	v_addc_co_u32_e32 v2, vcc, v2, v5, vcc
	v_add_co_u32_e32 v0, vcc, v3, v0
	v_addc_co_u32_e32 v1, vcc, v2, v1, vcc
	global_store_dwordx2 v[0:1], v[6:7], off
.LBB87_4:
	s_endpgm
	.section	.rodata,"a",@progbits
	.p2align	6, 0x0
	.amdhsa_kernel _ZN12_GLOBAL__N_125rocblas_gemm_scale_kernelILi32ELi32E19rocblas_complex_numIfEPS2_EEviiT1_T2_llli
		.amdhsa_group_segment_fixed_size 0
		.amdhsa_private_segment_fixed_size 0
		.amdhsa_kernarg_size 52
		.amdhsa_user_sgpr_count 6
		.amdhsa_user_sgpr_private_segment_buffer 1
		.amdhsa_user_sgpr_dispatch_ptr 0
		.amdhsa_user_sgpr_queue_ptr 0
		.amdhsa_user_sgpr_kernarg_segment_ptr 1
		.amdhsa_user_sgpr_dispatch_id 0
		.amdhsa_user_sgpr_flat_scratch_init 0
		.amdhsa_user_sgpr_kernarg_preload_length 0
		.amdhsa_user_sgpr_kernarg_preload_offset 0
		.amdhsa_user_sgpr_private_segment_size 0
		.amdhsa_uses_dynamic_stack 0
		.amdhsa_system_sgpr_private_segment_wavefront_offset 0
		.amdhsa_system_sgpr_workgroup_id_x 1
		.amdhsa_system_sgpr_workgroup_id_y 1
		.amdhsa_system_sgpr_workgroup_id_z 1
		.amdhsa_system_sgpr_workgroup_info 0
		.amdhsa_system_vgpr_workitem_id 1
		.amdhsa_next_free_vgpr 10
		.amdhsa_next_free_sgpr 20
		.amdhsa_accum_offset 12
		.amdhsa_reserve_vcc 1
		.amdhsa_reserve_flat_scratch 0
		.amdhsa_float_round_mode_32 0
		.amdhsa_float_round_mode_16_64 0
		.amdhsa_float_denorm_mode_32 3
		.amdhsa_float_denorm_mode_16_64 3
		.amdhsa_dx10_clamp 1
		.amdhsa_ieee_mode 1
		.amdhsa_fp16_overflow 0
		.amdhsa_tg_split 0
		.amdhsa_exception_fp_ieee_invalid_op 0
		.amdhsa_exception_fp_denorm_src 0
		.amdhsa_exception_fp_ieee_div_zero 0
		.amdhsa_exception_fp_ieee_overflow 0
		.amdhsa_exception_fp_ieee_underflow 0
		.amdhsa_exception_fp_ieee_inexact 0
		.amdhsa_exception_int_div_zero 0
	.end_amdhsa_kernel
	.section	.text._ZN12_GLOBAL__N_125rocblas_gemm_scale_kernelILi32ELi32E19rocblas_complex_numIfEPS2_EEviiT1_T2_llli,"axG",@progbits,_ZN12_GLOBAL__N_125rocblas_gemm_scale_kernelILi32ELi32E19rocblas_complex_numIfEPS2_EEviiT1_T2_llli,comdat
.Lfunc_end87:
	.size	_ZN12_GLOBAL__N_125rocblas_gemm_scale_kernelILi32ELi32E19rocblas_complex_numIfEPS2_EEviiT1_T2_llli, .Lfunc_end87-_ZN12_GLOBAL__N_125rocblas_gemm_scale_kernelILi32ELi32E19rocblas_complex_numIfEPS2_EEviiT1_T2_llli
                                        ; -- End function
	.section	.AMDGPU.csdata,"",@progbits
; Kernel info:
; codeLenInByte = 288
; NumSgprs: 24
; NumVgprs: 10
; NumAgprs: 0
; TotalNumVgprs: 10
; ScratchSize: 0
; MemoryBound: 0
; FloatMode: 240
; IeeeMode: 1
; LDSByteSize: 0 bytes/workgroup (compile time only)
; SGPRBlocks: 2
; VGPRBlocks: 1
; NumSGPRsForWavesPerEU: 24
; NumVGPRsForWavesPerEU: 10
; AccumOffset: 12
; Occupancy: 8
; WaveLimiterHint : 0
; COMPUTE_PGM_RSRC2:SCRATCH_EN: 0
; COMPUTE_PGM_RSRC2:USER_SGPR: 6
; COMPUTE_PGM_RSRC2:TRAP_HANDLER: 0
; COMPUTE_PGM_RSRC2:TGID_X_EN: 1
; COMPUTE_PGM_RSRC2:TGID_Y_EN: 1
; COMPUTE_PGM_RSRC2:TGID_Z_EN: 1
; COMPUTE_PGM_RSRC2:TIDIG_COMP_CNT: 1
; COMPUTE_PGM_RSRC3_GFX90A:ACCUM_OFFSET: 2
; COMPUTE_PGM_RSRC3_GFX90A:TG_SPLIT: 0
	.section	.text._ZN12_GLOBAL__N_120gemm_ex_scale_kernelILi32ELi32E19rocblas_complex_numIfEPKS2_PS2_EEviiT1_T2_lllT3_llli,"axG",@progbits,_ZN12_GLOBAL__N_120gemm_ex_scale_kernelILi32ELi32E19rocblas_complex_numIfEPKS2_PS2_EEviiT1_T2_lllT3_llli,comdat
	.globl	_ZN12_GLOBAL__N_120gemm_ex_scale_kernelILi32ELi32E19rocblas_complex_numIfEPKS2_PS2_EEviiT1_T2_lllT3_llli ; -- Begin function _ZN12_GLOBAL__N_120gemm_ex_scale_kernelILi32ELi32E19rocblas_complex_numIfEPKS2_PS2_EEviiT1_T2_lllT3_llli
	.p2align	8
	.type	_ZN12_GLOBAL__N_120gemm_ex_scale_kernelILi32ELi32E19rocblas_complex_numIfEPKS2_PS2_EEviiT1_T2_lllT3_llli,@function
_ZN12_GLOBAL__N_120gemm_ex_scale_kernelILi32ELi32E19rocblas_complex_numIfEPKS2_PS2_EEviiT1_T2_lllT3_llli: ; @_ZN12_GLOBAL__N_120gemm_ex_scale_kernelILi32ELi32E19rocblas_complex_numIfEPKS2_PS2_EEviiT1_T2_lllT3_llli
; %bb.0:
	s_load_dwordx4 s[0:3], s[4:5], 0x0
	v_and_b32_e32 v1, 0x3ff, v0
	v_bfe_u32 v0, v0, 10, 10
	v_lshl_add_u32 v2, s6, 5, v1
	v_lshl_add_u32 v4, s7, 5, v0
	s_waitcnt lgkmcnt(0)
	v_cmp_gt_u32_e32 vcc, s0, v2
	v_cmp_gt_u32_e64 s[0:1], s1, v4
	s_and_b64 s[0:1], vcc, s[0:1]
	s_and_saveexec_b64 s[6:7], s[0:1]
	s_cbranch_execz .LBB88_7
; %bb.1:
	s_or_b32 s0, s2, s3
	s_bitset0_b32 s0, 31
	s_cmp_lg_u32 s0, 0
	s_mov_b32 s6, 0
	s_cbranch_scc1 .LBB88_3
; %bb.2:
	v_mov_b32_e32 v3, 0
	s_mov_b64 s[0:1], 0
	s_branch .LBB88_4
.LBB88_3:
	s_mov_b64 s[0:1], -1
                                        ; implicit-def: $sgpr6
.LBB88_4:
	s_load_dwordx16 s[12:27], s[4:5], 0x10
	s_andn2_b64 vcc, exec, s[0:1]
	v_mov_b32_e32 v0, s6
	v_mov_b32_e32 v1, s6
	s_cbranch_vccnz .LBB88_6
; %bb.5:
	s_waitcnt lgkmcnt(0)
	s_mul_i32 s0, s8, s19
	s_mul_hi_u32 s1, s8, s18
	s_add_i32 s1, s1, s0
	s_mul_i32 s0, s8, s18
	s_lshl_b64 s[0:1], s[0:1], 3
	s_add_u32 s4, s12, s0
	s_addc_u32 s5, s13, s1
	s_lshl_b64 s[0:1], s[14:15], 3
	s_add_u32 s4, s4, s0
	s_addc_u32 s5, s5, s1
	v_mad_u64_u32 v[0:1], s[0:1], v4, s16, 0
	v_mov_b32_e32 v6, v1
	v_mad_u64_u32 v[6:7], s[0:1], v4, s17, v[6:7]
	v_mov_b32_e32 v1, v6
	v_lshlrev_b64 v[0:1], 3, v[0:1]
	v_mov_b32_e32 v3, 0
	v_mov_b32_e32 v5, s5
	v_add_co_u32_e32 v6, vcc, s4, v0
	v_addc_co_u32_e32 v5, vcc, v5, v1, vcc
	v_lshlrev_b64 v[0:1], 3, v[2:3]
	v_add_co_u32_e32 v0, vcc, v6, v0
	v_addc_co_u32_e32 v1, vcc, v5, v1, vcc
	global_load_dwordx2 v[6:7], v[0:1], off
	s_mov_b32 s0, s3
	s_waitcnt vmcnt(0)
	v_pk_mul_f32 v[8:9], v[6:7], s[0:1] op_sel_hi:[1,0]
	v_pk_fma_f32 v[0:1], v[6:7], s[2:3], v[8:9] op_sel:[0,0,1] op_sel_hi:[1,1,0] neg_lo:[0,0,1] neg_hi:[0,0,1]
	v_pk_fma_f32 v[6:7], v[6:7], s[2:3], v[8:9] op_sel:[0,0,1] op_sel_hi:[1,0,0]
	v_mov_b32_e32 v1, v7
.LBB88_6:
	s_waitcnt lgkmcnt(0)
	s_mul_i32 s0, s8, s27
	s_mul_hi_u32 s1, s8, s26
	s_add_i32 s1, s1, s0
	s_mul_i32 s0, s8, s26
	s_lshl_b64 s[0:1], s[0:1], 3
	s_add_u32 s2, s20, s0
	s_addc_u32 s3, s21, s1
	s_lshl_b64 s[0:1], s[22:23], 3
	s_add_u32 s2, s2, s0
	s_addc_u32 s3, s3, s1
	v_mad_u64_u32 v[6:7], s[0:1], v4, s24, 0
	v_mov_b32_e32 v8, v7
	v_mad_u64_u32 v[4:5], s[0:1], v4, s25, v[8:9]
	v_mov_b32_e32 v7, v4
	v_lshlrev_b64 v[4:5], 3, v[6:7]
	v_mov_b32_e32 v6, s3
	v_add_co_u32_e32 v4, vcc, s2, v4
	v_addc_co_u32_e32 v5, vcc, v6, v5, vcc
	v_lshlrev_b64 v[2:3], 3, v[2:3]
	v_add_co_u32_e32 v2, vcc, v4, v2
	v_addc_co_u32_e32 v3, vcc, v5, v3, vcc
	global_store_dwordx2 v[2:3], v[0:1], off
.LBB88_7:
	s_endpgm
	.section	.rodata,"a",@progbits
	.p2align	6, 0x0
	.amdhsa_kernel _ZN12_GLOBAL__N_120gemm_ex_scale_kernelILi32ELi32E19rocblas_complex_numIfEPKS2_PS2_EEviiT1_T2_lllT3_llli
		.amdhsa_group_segment_fixed_size 0
		.amdhsa_private_segment_fixed_size 0
		.amdhsa_kernarg_size 84
		.amdhsa_user_sgpr_count 6
		.amdhsa_user_sgpr_private_segment_buffer 1
		.amdhsa_user_sgpr_dispatch_ptr 0
		.amdhsa_user_sgpr_queue_ptr 0
		.amdhsa_user_sgpr_kernarg_segment_ptr 1
		.amdhsa_user_sgpr_dispatch_id 0
		.amdhsa_user_sgpr_flat_scratch_init 0
		.amdhsa_user_sgpr_kernarg_preload_length 0
		.amdhsa_user_sgpr_kernarg_preload_offset 0
		.amdhsa_user_sgpr_private_segment_size 0
		.amdhsa_uses_dynamic_stack 0
		.amdhsa_system_sgpr_private_segment_wavefront_offset 0
		.amdhsa_system_sgpr_workgroup_id_x 1
		.amdhsa_system_sgpr_workgroup_id_y 1
		.amdhsa_system_sgpr_workgroup_id_z 1
		.amdhsa_system_sgpr_workgroup_info 0
		.amdhsa_system_vgpr_workitem_id 1
		.amdhsa_next_free_vgpr 10
		.amdhsa_next_free_sgpr 28
		.amdhsa_accum_offset 12
		.amdhsa_reserve_vcc 1
		.amdhsa_reserve_flat_scratch 0
		.amdhsa_float_round_mode_32 0
		.amdhsa_float_round_mode_16_64 0
		.amdhsa_float_denorm_mode_32 3
		.amdhsa_float_denorm_mode_16_64 3
		.amdhsa_dx10_clamp 1
		.amdhsa_ieee_mode 1
		.amdhsa_fp16_overflow 0
		.amdhsa_tg_split 0
		.amdhsa_exception_fp_ieee_invalid_op 0
		.amdhsa_exception_fp_denorm_src 0
		.amdhsa_exception_fp_ieee_div_zero 0
		.amdhsa_exception_fp_ieee_overflow 0
		.amdhsa_exception_fp_ieee_underflow 0
		.amdhsa_exception_fp_ieee_inexact 0
		.amdhsa_exception_int_div_zero 0
	.end_amdhsa_kernel
	.section	.text._ZN12_GLOBAL__N_120gemm_ex_scale_kernelILi32ELi32E19rocblas_complex_numIfEPKS2_PS2_EEviiT1_T2_lllT3_llli,"axG",@progbits,_ZN12_GLOBAL__N_120gemm_ex_scale_kernelILi32ELi32E19rocblas_complex_numIfEPKS2_PS2_EEviiT1_T2_lllT3_llli,comdat
.Lfunc_end88:
	.size	_ZN12_GLOBAL__N_120gemm_ex_scale_kernelILi32ELi32E19rocblas_complex_numIfEPKS2_PS2_EEviiT1_T2_lllT3_llli, .Lfunc_end88-_ZN12_GLOBAL__N_120gemm_ex_scale_kernelILi32ELi32E19rocblas_complex_numIfEPKS2_PS2_EEviiT1_T2_lllT3_llli
                                        ; -- End function
	.section	.AMDGPU.csdata,"",@progbits
; Kernel info:
; codeLenInByte = 396
; NumSgprs: 32
; NumVgprs: 10
; NumAgprs: 0
; TotalNumVgprs: 10
; ScratchSize: 0
; MemoryBound: 0
; FloatMode: 240
; IeeeMode: 1
; LDSByteSize: 0 bytes/workgroup (compile time only)
; SGPRBlocks: 3
; VGPRBlocks: 1
; NumSGPRsForWavesPerEU: 32
; NumVGPRsForWavesPerEU: 10
; AccumOffset: 12
; Occupancy: 8
; WaveLimiterHint : 0
; COMPUTE_PGM_RSRC2:SCRATCH_EN: 0
; COMPUTE_PGM_RSRC2:USER_SGPR: 6
; COMPUTE_PGM_RSRC2:TRAP_HANDLER: 0
; COMPUTE_PGM_RSRC2:TGID_X_EN: 1
; COMPUTE_PGM_RSRC2:TGID_Y_EN: 1
; COMPUTE_PGM_RSRC2:TGID_Z_EN: 1
; COMPUTE_PGM_RSRC2:TIDIG_COMP_CNT: 1
; COMPUTE_PGM_RSRC3_GFX90A:ACCUM_OFFSET: 2
; COMPUTE_PGM_RSRC3_GFX90A:TG_SPLIT: 0
	.section	.text._ZN12_GLOBAL__N_127rocblas_gemm_batched_kernelI19rocblas_complex_numIfELi16ELi16ELi64ELi64ELi4ELi64ELi4ELi4ELi64ELc78ELc78EKS2_S3_S2_EEvlllT_PT11_llS6_llS4_PT12_llPT13_lli,"axG",@progbits,_ZN12_GLOBAL__N_127rocblas_gemm_batched_kernelI19rocblas_complex_numIfELi16ELi16ELi64ELi64ELi4ELi64ELi4ELi4ELi64ELc78ELc78EKS2_S3_S2_EEvlllT_PT11_llS6_llS4_PT12_llPT13_lli,comdat
	.globl	_ZN12_GLOBAL__N_127rocblas_gemm_batched_kernelI19rocblas_complex_numIfELi16ELi16ELi64ELi64ELi4ELi64ELi4ELi4ELi64ELc78ELc78EKS2_S3_S2_EEvlllT_PT11_llS6_llS4_PT12_llPT13_lli ; -- Begin function _ZN12_GLOBAL__N_127rocblas_gemm_batched_kernelI19rocblas_complex_numIfELi16ELi16ELi64ELi64ELi4ELi64ELi4ELi4ELi64ELc78ELc78EKS2_S3_S2_EEvlllT_PT11_llS6_llS4_PT12_llPT13_lli
	.p2align	8
	.type	_ZN12_GLOBAL__N_127rocblas_gemm_batched_kernelI19rocblas_complex_numIfELi16ELi16ELi64ELi64ELi4ELi64ELi4ELi4ELi64ELc78ELc78EKS2_S3_S2_EEvlllT_PT11_llS6_llS4_PT12_llPT13_lli,@function
_ZN12_GLOBAL__N_127rocblas_gemm_batched_kernelI19rocblas_complex_numIfELi16ELi16ELi64ELi64ELi4ELi64ELi4ELi4ELi64ELc78ELc78EKS2_S3_S2_EEvlllT_PT11_llS6_llS4_PT12_llPT13_lli: ; @_ZN12_GLOBAL__N_127rocblas_gemm_batched_kernelI19rocblas_complex_numIfELi16ELi16ELi64ELi64ELi4ELi64ELi4ELi4ELi64ELc78ELc78EKS2_S3_S2_EEvlllT_PT11_llS6_llS4_PT12_llPT13_lli
; %bb.0:
	s_load_dwordx16 s[12:27], s[4:5], 0x10
	s_load_dwordx2 s[10:11], s[4:5], 0x50
	s_mov_b32 s0, s7
	s_ashr_i32 s1, s0, 31
	s_ashr_i32 s7, s6, 31
	s_lshl_b64 s[28:29], s[0:1], 6
	s_waitcnt lgkmcnt(0)
	v_cmp_lt_i64_e64 s[0:1], s[12:13], 1
	v_bfe_u32 v45, v0, 10, 10
	v_and_b32_e32 v44, 0x3ff, v0
	s_lshl_b64 s[6:7], s[6:7], 6
	s_and_b64 vcc, exec, s[0:1]
	s_cbranch_vccnz .LBB89_3
; %bb.1:
	v_lshl_add_u32 v0, v45, 4, v44
	v_lshrrev_b32_e32 v1, 2, v0
	v_mov_b32_e32 v2, s29
	v_add_co_u32_e32 v4, vcc, s28, v1
	v_addc_co_u32_e32 v5, vcc, 0, v2, vcc
	v_and_b32_e32 v2, 3, v44
	v_and_b32_e32 v6, 63, v0
	v_lshrrev_b32_e32 v3, 6, v0
	v_lshlrev_b32_e32 v0, 3, v6
	v_lshlrev_b32_e32 v7, 3, v2
	v_lshl_or_b32 v52, v3, 9, v0
	v_lshl_or_b32 v0, v1, 5, v7
	v_add_u32_e32 v53, 0x800, v0
	v_mov_b32_e32 v0, 0x800
	v_lshl_add_u32 v55, v45, 5, v0
	v_pk_mov_b32 v[0:1], s[6:7], s[6:7] op_sel:[0,1]
	v_mad_u64_u32 v[0:1], s[2:3], v3, s18, v[0:1]
	s_mul_i32 s0, s21, s8
	s_mul_hi_u32 s1, s20, s8
	v_mov_b32_e32 v2, v1
	s_add_i32 s1, s1, s0
	s_mul_i32 s0, s20, s8
	v_mad_u64_u32 v[2:3], s[2:3], v3, s19, v[2:3]
	s_lshl_b64 s[0:1], s[0:1], 3
	v_mov_b32_e32 v1, v2
	v_add_co_u32_e32 v0, vcc, v0, v6
	v_addc_co_u32_e32 v1, vcc, 0, v1, vcc
	s_add_u32 s0, s16, s0
	v_lshlrev_b64 v[0:1], 3, v[0:1]
	s_addc_u32 s1, s17, s1
	v_mov_b32_e32 v2, s1
	v_add_co_u32_e32 v38, vcc, s0, v0
	v_addc_co_u32_e32 v39, vcc, v2, v1, vcc
	v_mad_u64_u32 v[0:1], s[2:3], s24, v4, 0
	v_mul_lo_u32 v2, s25, v4
	v_mul_lo_u32 v3, s24, v5
	s_mul_i32 s2, s27, s8
	s_mul_hi_u32 s3, s26, s8
	v_add3_u32 v1, v1, v3, v2
	s_add_i32 s3, s3, s2
	s_mul_i32 s2, s26, s8
	v_lshlrev_b64 v[0:1], 3, v[0:1]
	s_lshl_b64 s[2:3], s[2:3], 3
	v_mov_b32_e32 v2, s3
	v_add_co_u32_e32 v0, vcc, s2, v0
	v_addc_co_u32_e32 v1, vcc, v1, v2, vcc
	v_add_co_u32_e32 v0, vcc, v0, v7
	v_addc_co_u32_e32 v1, vcc, 0, v1, vcc
	s_lshl_b64 s[0:1], s[18:19], 5
	v_mov_b32_e32 v2, s23
	v_add_co_u32_e32 v40, vcc, s22, v0
	v_mov_b32_e32 v46, 0
	v_lshlrev_b32_e32 v54, 3, v44
	v_addc_co_u32_e32 v41, vcc, v2, v1, vcc
	s_mov_b64 s[2:3], 0
	v_mov_b32_e32 v56, s1
	v_pk_mov_b32 v[42:43], s[12:13], s[12:13] op_sel:[0,1]
	v_mov_b32_e32 v47, 0
	v_mov_b32_e32 v49, 0
	;; [unrolled: 1-line block ×31, first 2 shown]
.LBB89_2:                               ; =>This Inner Loop Header: Depth=1
	global_load_dwordx2 v[0:1], v[38:39], off
	v_add_co_u32_e32 v38, vcc, s0, v38
	v_addc_co_u32_e32 v39, vcc, v39, v56, vcc
	s_add_u32 s2, s2, 4
	s_addc_u32 s3, s3, 0
	s_waitcnt vmcnt(0)
	ds_write_b64 v52, v[0:1]
	global_load_dwordx2 v[0:1], v[40:41], off
	v_add_co_u32_e32 v40, vcc, 32, v40
	v_addc_co_u32_e32 v41, vcc, 0, v41, vcc
	v_cmp_lt_i64_e32 vcc, s[2:3], v[42:43]
	s_and_b64 vcc, exec, vcc
	s_waitcnt vmcnt(0)
	ds_write_b64 v53, v[0:1]
	s_waitcnt lgkmcnt(0)
	s_barrier
	ds_read_b128 v[0:3], v55
	ds_read_b128 v[32:35], v55 offset:16
	ds_read2_b64 v[8:11], v54 offset1:16
	ds_read2_b64 v[12:15], v54 offset0:32 offset1:48
	s_waitcnt lgkmcnt(1)
	v_mul_f32_e32 v4, v1, v9
	v_fma_f32 v4, v0, v8, -v4
	v_mul_f32_e32 v5, v0, v9
	v_add_f32_e32 v20, v79, v4
	v_mul_f32_e32 v4, v1, v11
	v_fmac_f32_e32 v5, v1, v8
	v_fma_f32 v4, v0, v10, -v4
	v_add_f32_e32 v21, v80, v5
	v_mul_f32_e32 v5, v0, v11
	v_add_f32_e32 v22, v77, v4
	s_waitcnt lgkmcnt(0)
	v_mul_f32_e32 v4, v1, v13
	v_fmac_f32_e32 v5, v1, v10
	v_fma_f32 v4, v0, v12, -v4
	v_add_f32_e32 v23, v78, v5
	v_mul_f32_e32 v5, v0, v13
	v_add_f32_e32 v75, v75, v4
	v_mul_f32_e32 v4, v1, v15
	v_fmac_f32_e32 v5, v1, v12
	v_fma_f32 v4, v0, v14, -v4
	v_mul_f32_e32 v0, v0, v15
	v_add_f32_e32 v76, v76, v5
	v_fmac_f32_e32 v0, v1, v14
	v_add_f32_e32 v1, v73, v4
	ds_read_b128 v[4:7], v55 offset:512
	ds_read_b128 v[80:83], v55 offset:1040
	v_add_f32_e32 v0, v74, v0
	s_waitcnt lgkmcnt(1)
	v_mul_f32_e32 v16, v5, v9
	v_fma_f32 v16, v4, v8, -v16
	v_mul_f32_e32 v17, v4, v9
	v_add_f32_e32 v71, v71, v16
	v_mul_f32_e32 v16, v5, v11
	v_fmac_f32_e32 v17, v5, v8
	v_fma_f32 v16, v4, v10, -v16
	v_add_f32_e32 v72, v72, v17
	v_mul_f32_e32 v17, v4, v11
	v_add_f32_e32 v69, v69, v16
	v_mul_f32_e32 v16, v5, v13
	v_fmac_f32_e32 v17, v5, v10
	v_fma_f32 v16, v4, v12, -v16
	v_add_f32_e32 v70, v70, v17
	v_mul_f32_e32 v17, v4, v13
	v_add_f32_e32 v67, v67, v16
	v_mul_f32_e32 v16, v5, v15
	v_fmac_f32_e32 v17, v5, v12
	v_fma_f32 v16, v4, v14, -v16
	v_mul_f32_e32 v4, v4, v15
	v_add_f32_e32 v68, v68, v17
	v_fmac_f32_e32 v4, v5, v14
	v_add_f32_e32 v5, v65, v16
	ds_read_b128 v[16:19], v55 offset:1024
	v_add_f32_e32 v4, v66, v4
	s_waitcnt lgkmcnt(0)
	v_mul_f32_e32 v24, v17, v9
	v_fma_f32 v24, v16, v8, -v24
	v_mul_f32_e32 v25, v16, v9
	v_add_f32_e32 v63, v63, v24
	v_mul_f32_e32 v24, v17, v11
	v_fmac_f32_e32 v25, v17, v8
	v_fma_f32 v24, v16, v10, -v24
	v_add_f32_e32 v64, v64, v25
	v_mul_f32_e32 v25, v16, v11
	v_add_f32_e32 v61, v61, v24
	v_mul_f32_e32 v24, v17, v13
	v_fmac_f32_e32 v25, v17, v10
	v_fma_f32 v24, v16, v12, -v24
	v_add_f32_e32 v62, v62, v25
	v_mul_f32_e32 v25, v16, v13
	v_add_f32_e32 v59, v59, v24
	v_mul_f32_e32 v24, v17, v15
	v_fmac_f32_e32 v25, v17, v12
	v_fma_f32 v24, v16, v14, -v24
	v_mul_f32_e32 v16, v16, v15
	v_add_f32_e32 v60, v60, v25
	v_fmac_f32_e32 v16, v17, v14
	v_add_f32_e32 v17, v57, v24
	ds_read2_b64 v[24:27], v54 offset0:64 offset1:80
	v_add_f32_e32 v16, v58, v16
	s_waitcnt lgkmcnt(0)
	v_mul_f32_e32 v28, v3, v25
	v_mul_f32_e32 v29, v2, v25
	v_fma_f32 v28, v2, v24, -v28
	v_fmac_f32_e32 v29, v3, v24
	v_add_f32_e32 v20, v20, v28
	v_add_f32_e32 v21, v21, v29
	v_mul_f32_e32 v28, v3, v27
	v_mul_f32_e32 v29, v2, v27
	v_fma_f32 v28, v2, v26, -v28
	v_fmac_f32_e32 v29, v3, v26
	v_add_f32_e32 v22, v22, v28
	v_add_f32_e32 v23, v23, v29
	ds_read2_b64 v[28:31], v54 offset0:96 offset1:112
	s_waitcnt lgkmcnt(0)
	v_mul_f32_e32 v57, v3, v29
	v_mul_f32_e32 v65, v3, v31
	v_fma_f32 v57, v2, v28, -v57
	v_mul_f32_e32 v58, v2, v29
	v_fma_f32 v65, v2, v30, -v65
	v_mul_f32_e32 v2, v2, v31
	v_fmac_f32_e32 v2, v3, v30
	v_add_f32_e32 v65, v1, v65
	v_add_f32_e32 v66, v0, v2
	v_mul_f32_e32 v0, v7, v25
	v_mul_f32_e32 v1, v6, v25
	v_fma_f32 v0, v6, v24, -v0
	v_fmac_f32_e32 v1, v7, v24
	v_add_f32_e32 v71, v71, v0
	v_add_f32_e32 v72, v72, v1
	v_mul_f32_e32 v0, v7, v27
	v_mul_f32_e32 v1, v6, v27
	v_fma_f32 v0, v6, v26, -v0
	v_fmac_f32_e32 v1, v7, v26
	v_add_f32_e32 v69, v69, v0
	v_add_f32_e32 v70, v70, v1
	v_mul_f32_e32 v0, v7, v29
	v_mul_f32_e32 v1, v6, v29
	v_fma_f32 v0, v6, v28, -v0
	v_fmac_f32_e32 v1, v7, v28
	v_add_f32_e32 v67, v67, v0
	v_add_f32_e32 v68, v68, v1
	v_mul_f32_e32 v0, v7, v31
	v_mul_f32_e32 v1, v6, v31
	v_fma_f32 v0, v6, v30, -v0
	v_fmac_f32_e32 v1, v7, v30
	v_add_f32_e32 v73, v5, v0
	v_add_f32_e32 v74, v4, v1
	v_mul_f32_e32 v0, v19, v25
	v_mul_f32_e32 v1, v18, v25
	v_fma_f32 v0, v18, v24, -v0
	v_fmac_f32_e32 v1, v19, v24
	v_add_f32_e32 v63, v63, v0
	v_add_f32_e32 v64, v64, v1
	v_mul_f32_e32 v0, v19, v27
	v_mul_f32_e32 v1, v18, v27
	v_fma_f32 v0, v18, v26, -v0
	v_fmac_f32_e32 v1, v19, v26
	ds_read2_b64 v[4:7], v54 offset0:128 offset1:144
	v_add_f32_e32 v57, v75, v57
	v_add_f32_e32 v75, v61, v0
	;; [unrolled: 1-line block ×3, first 2 shown]
	v_mul_f32_e32 v0, v19, v29
	v_mul_f32_e32 v1, v18, v29
	v_fmac_f32_e32 v58, v3, v28
	v_fma_f32 v0, v18, v28, -v0
	v_fmac_f32_e32 v1, v19, v28
	v_add_f32_e32 v58, v76, v58
	v_add_f32_e32 v76, v59, v0
	;; [unrolled: 1-line block ×3, first 2 shown]
	v_mul_f32_e32 v0, v19, v31
	v_mul_f32_e32 v1, v18, v31
	v_fma_f32 v0, v18, v30, -v0
	v_fmac_f32_e32 v1, v19, v30
	v_add_f32_e32 v17, v17, v0
	v_add_f32_e32 v16, v16, v1
	s_waitcnt lgkmcnt(0)
	v_mul_f32_e32 v0, v33, v5
	v_mul_f32_e32 v1, v32, v5
	v_fma_f32 v0, v32, v4, -v0
	v_fmac_f32_e32 v1, v33, v4
	v_add_f32_e32 v18, v20, v0
	v_add_f32_e32 v19, v21, v1
	v_mul_f32_e32 v0, v33, v7
	v_mul_f32_e32 v1, v32, v7
	v_fma_f32 v0, v32, v6, -v0
	v_fmac_f32_e32 v1, v33, v6
	v_add_f32_e32 v78, v22, v0
	v_add_f32_e32 v84, v23, v1
	ds_read2_b64 v[0:3], v54 offset0:160 offset1:176
	s_waitcnt lgkmcnt(0)
	v_mul_f32_e32 v21, v32, v1
	v_fmac_f32_e32 v21, v33, v0
	v_add_f32_e32 v85, v58, v21
	ds_read_b128 v[58:61], v55 offset:528
	v_mul_f32_e32 v20, v33, v1
	v_fma_f32 v20, v32, v0, -v20
	v_add_f32_e32 v57, v57, v20
	v_mul_f32_e32 v20, v33, v3
	v_mul_f32_e32 v21, v32, v3
	v_fma_f32 v20, v32, v2, -v20
	v_fmac_f32_e32 v21, v33, v2
	v_add_f32_e32 v32, v65, v20
	v_add_f32_e32 v33, v66, v21
	s_waitcnt lgkmcnt(0)
	v_mul_f32_e32 v20, v59, v5
	v_mul_f32_e32 v21, v58, v5
	v_fma_f32 v20, v58, v4, -v20
	v_fmac_f32_e32 v21, v59, v4
	v_add_f32_e32 v65, v71, v20
	v_add_f32_e32 v66, v72, v21
	v_mul_f32_e32 v20, v59, v7
	v_mul_f32_e32 v21, v58, v7
	v_fma_f32 v20, v58, v6, -v20
	v_fmac_f32_e32 v21, v59, v6
	v_add_f32_e32 v69, v69, v20
	v_add_f32_e32 v70, v70, v21
	v_mul_f32_e32 v20, v59, v1
	v_mul_f32_e32 v21, v58, v1
	v_fma_f32 v20, v58, v0, -v20
	v_fmac_f32_e32 v21, v59, v0
	v_add_f32_e32 v67, v67, v20
	v_add_f32_e32 v68, v68, v21
	v_mul_f32_e32 v20, v59, v3
	v_mul_f32_e32 v21, v58, v3
	v_fma_f32 v20, v58, v2, -v20
	v_fmac_f32_e32 v21, v59, v2
	v_add_f32_e32 v58, v73, v20
	v_add_f32_e32 v59, v74, v21
	v_mul_f32_e32 v20, v81, v5
	v_mul_f32_e32 v21, v80, v5
	v_fma_f32 v20, v80, v4, -v20
	v_fmac_f32_e32 v21, v81, v4
	v_add_f32_e32 v63, v63, v20
	v_add_f32_e32 v64, v64, v21
	v_mul_f32_e32 v20, v81, v7
	v_mul_f32_e32 v21, v80, v7
	v_fma_f32 v20, v80, v6, -v20
	v_fmac_f32_e32 v21, v81, v6
	v_add_f32_e32 v86, v75, v20
	v_add_f32_e32 v62, v62, v21
	v_mul_f32_e32 v20, v81, v1
	v_mul_f32_e32 v21, v80, v1
	v_fma_f32 v20, v80, v0, -v20
	v_fmac_f32_e32 v21, v81, v0
	v_add_f32_e32 v87, v76, v20
	v_add_f32_e32 v88, v77, v21
	v_mul_f32_e32 v20, v81, v3
	v_mul_f32_e32 v21, v80, v3
	v_fma_f32 v20, v80, v2, -v20
	v_fmac_f32_e32 v21, v81, v2
	v_add_f32_e32 v81, v17, v20
	v_add_f32_e32 v89, v16, v21
	ds_read2_b64 v[20:23], v54 offset0:192 offset1:208
	s_waitcnt lgkmcnt(0)
	v_mul_f32_e32 v16, v35, v21
	v_mul_f32_e32 v17, v34, v21
	v_fma_f32 v16, v34, v20, -v16
	v_fmac_f32_e32 v17, v35, v20
	v_add_f32_e32 v79, v18, v16
	v_add_f32_e32 v80, v19, v17
	v_mul_f32_e32 v16, v35, v23
	v_mul_f32_e32 v17, v34, v23
	v_fma_f32 v16, v34, v22, -v16
	v_fmac_f32_e32 v17, v35, v22
	v_add_f32_e32 v77, v78, v16
	v_add_f32_e32 v78, v84, v17
	ds_read2_b64 v[16:19], v54 offset0:224 offset1:240
	s_waitcnt lgkmcnt(0)
	v_mul_f32_e32 v71, v35, v17
	v_fma_f32 v71, v34, v16, -v71
	v_add_f32_e32 v75, v57, v71
	v_mul_f32_e32 v57, v35, v19
	v_mul_f32_e32 v72, v34, v17
	v_fma_f32 v57, v34, v18, -v57
	v_mul_f32_e32 v34, v34, v19
	v_fmac_f32_e32 v34, v35, v18
	v_add_f32_e32 v73, v32, v57
	v_add_f32_e32 v74, v33, v34
	v_mul_f32_e32 v32, v61, v21
	v_mul_f32_e32 v33, v60, v21
	v_fmac_f32_e32 v72, v35, v16
	v_fma_f32 v32, v60, v20, -v32
	v_fmac_f32_e32 v33, v61, v20
	v_add_f32_e32 v76, v85, v72
	v_add_f32_e32 v71, v65, v32
	;; [unrolled: 1-line block ×3, first 2 shown]
	v_mul_f32_e32 v32, v61, v23
	v_mul_f32_e32 v33, v60, v23
	v_fma_f32 v32, v60, v22, -v32
	v_fmac_f32_e32 v33, v61, v22
	v_add_f32_e32 v69, v69, v32
	v_add_f32_e32 v70, v70, v33
	v_mul_f32_e32 v32, v61, v17
	v_mul_f32_e32 v33, v60, v17
	v_fma_f32 v32, v60, v16, -v32
	v_fmac_f32_e32 v33, v61, v16
	v_add_f32_e32 v67, v67, v32
	v_add_f32_e32 v68, v68, v33
	;; [unrolled: 6-line block ×7, first 2 shown]
	ds_read_b128 v[32:35], v55 offset:1536
	s_waitcnt lgkmcnt(0)
	v_mul_f32_e32 v81, v33, v9
	v_mul_f32_e32 v9, v32, v9
	v_fmac_f32_e32 v9, v33, v8
	v_fma_f32 v81, v32, v8, -v81
	v_add_f32_e32 v51, v51, v9
	v_mul_f32_e32 v8, v33, v11
	v_mul_f32_e32 v9, v32, v11
	v_fma_f32 v8, v32, v10, -v8
	v_fmac_f32_e32 v9, v33, v10
	v_add_f32_e32 v48, v48, v8
	v_add_f32_e32 v49, v49, v9
	v_mul_f32_e32 v8, v33, v13
	v_mul_f32_e32 v9, v32, v13
	v_fma_f32 v8, v32, v12, -v8
	v_fmac_f32_e32 v9, v33, v12
	v_add_f32_e32 v12, v47, v8
	v_add_f32_e32 v13, v46, v9
	v_pk_mul_f32 v[8:9], v[32:33], v[14:15] op_sel:[0,1]
	v_pk_fma_f32 v[10:11], v[32:33], v[14:15], v[8:9] op_sel:[0,0,1] op_sel_hi:[1,1,0] neg_lo:[0,0,1] neg_hi:[0,0,1]
	v_pk_fma_f32 v[8:9], v[32:33], v[14:15], v[8:9] op_sel:[0,0,1] op_sel_hi:[1,0,0]
	v_mov_b32_e32 v11, v9
	v_pk_add_f32 v[8:9], v[36:37], v[10:11]
	v_mul_f32_e32 v10, v35, v25
	v_mul_f32_e32 v11, v34, v25
	v_add_f32_e32 v50, v50, v81
	v_fma_f32 v10, v34, v24, -v10
	v_fmac_f32_e32 v11, v35, v24
	v_add_f32_e32 v32, v50, v10
	v_add_f32_e32 v33, v51, v11
	v_mul_f32_e32 v10, v35, v27
	v_mul_f32_e32 v11, v34, v27
	v_fma_f32 v10, v34, v26, -v10
	v_fmac_f32_e32 v11, v35, v26
	v_add_f32_e32 v24, v48, v10
	v_add_f32_e32 v25, v49, v11
	v_mul_f32_e32 v10, v35, v29
	v_mul_f32_e32 v11, v34, v29
	v_fma_f32 v10, v34, v28, -v10
	v_fmac_f32_e32 v11, v35, v28
	v_add_f32_e32 v14, v12, v10
	v_add_f32_e32 v15, v13, v11
	v_pk_mul_f32 v[10:11], v[34:35], v[30:31] op_sel:[0,1]
	v_pk_fma_f32 v[12:13], v[34:35], v[30:31], v[10:11] op_sel:[0,0,1] op_sel_hi:[1,1,0] neg_lo:[0,0,1] neg_hi:[0,0,1]
	v_pk_fma_f32 v[10:11], v[34:35], v[30:31], v[10:11] op_sel:[0,0,1] op_sel_hi:[1,0,0]
	v_mov_b32_e32 v13, v11
	v_pk_add_f32 v[12:13], v[8:9], v[12:13]
	ds_read_b128 v[8:11], v55 offset:1552
	s_waitcnt lgkmcnt(0)
	s_barrier
	v_mul_f32_e32 v26, v9, v5
	v_mul_f32_e32 v5, v8, v5
	v_fma_f32 v26, v8, v4, -v26
	v_fmac_f32_e32 v5, v9, v4
	v_mul_f32_e32 v4, v9, v7
	v_add_f32_e32 v27, v33, v5
	v_fma_f32 v4, v8, v6, -v4
	v_mul_f32_e32 v5, v8, v7
	v_fmac_f32_e32 v5, v9, v6
	v_add_f32_e32 v6, v24, v4
	v_mul_f32_e32 v4, v9, v1
	v_mul_f32_e32 v1, v8, v1
	v_fmac_f32_e32 v1, v9, v0
	v_fma_f32 v4, v8, v0, -v4
	v_add_f32_e32 v15, v15, v1
	v_pk_mul_f32 v[0:1], v[8:9], v[2:3] op_sel:[0,1]
	v_add_f32_e32 v7, v25, v5
	v_add_f32_e32 v14, v14, v4
	v_pk_fma_f32 v[4:5], v[8:9], v[2:3], v[0:1] op_sel:[0,0,1] op_sel_hi:[1,1,0] neg_lo:[0,0,1] neg_hi:[0,0,1]
	v_pk_fma_f32 v[0:1], v[8:9], v[2:3], v[0:1] op_sel:[0,0,1] op_sel_hi:[1,0,0]
	v_mul_f32_e32 v2, v11, v21
	v_mul_f32_e32 v3, v10, v21
	v_add_f32_e32 v26, v32, v26
	v_fma_f32 v2, v10, v20, -v2
	v_fmac_f32_e32 v3, v11, v20
	v_add_f32_e32 v50, v26, v2
	v_add_f32_e32 v51, v27, v3
	v_mul_f32_e32 v2, v11, v23
	v_mul_f32_e32 v3, v10, v23
	v_fma_f32 v2, v10, v22, -v2
	v_fmac_f32_e32 v3, v11, v22
	v_add_f32_e32 v48, v6, v2
	v_add_f32_e32 v49, v7, v3
	v_mul_f32_e32 v2, v11, v17
	v_mul_f32_e32 v3, v10, v17
	v_fma_f32 v2, v10, v16, -v2
	v_fmac_f32_e32 v3, v11, v16
	v_mov_b32_e32 v5, v1
	v_add_f32_e32 v47, v14, v2
	v_add_f32_e32 v46, v15, v3
	v_pk_mul_f32 v[2:3], v[10:11], v[18:19] op_sel:[0,1]
	v_pk_add_f32 v[0:1], v[12:13], v[4:5]
	v_pk_fma_f32 v[4:5], v[10:11], v[18:19], v[2:3] op_sel:[0,0,1] op_sel_hi:[1,1,0] neg_lo:[0,0,1] neg_hi:[0,0,1]
	v_pk_fma_f32 v[2:3], v[10:11], v[18:19], v[2:3] op_sel:[0,0,1] op_sel_hi:[1,0,0]
	v_mov_b32_e32 v5, v3
	v_pk_add_f32 v[36:37], v[0:1], v[4:5]
	s_cbranch_vccnz .LBB89_2
	s_branch .LBB89_4
.LBB89_3:
	v_mov_b32_e32 v37, 0
	v_mov_b32_e32 v36, v37
	v_mov_b32_e32 v79, v37
	v_mov_b32_e32 v80, v37
	v_mov_b32_e32 v77, v37
	v_mov_b32_e32 v78, v37
	v_mov_b32_e32 v75, v37
	v_mov_b32_e32 v76, v37
	v_mov_b32_e32 v73, v37
	v_mov_b32_e32 v74, v37
	v_mov_b32_e32 v71, v37
	v_mov_b32_e32 v72, v37
	v_mov_b32_e32 v69, v37
	v_mov_b32_e32 v70, v37
	v_mov_b32_e32 v67, v37
	v_mov_b32_e32 v68, v37
	v_mov_b32_e32 v65, v37
	v_mov_b32_e32 v66, v37
	v_mov_b32_e32 v63, v37
	v_mov_b32_e32 v64, v37
	v_mov_b32_e32 v61, v37
	v_mov_b32_e32 v62, v37
	v_mov_b32_e32 v59, v37
	v_mov_b32_e32 v60, v37
	v_mov_b32_e32 v57, v37
	v_mov_b32_e32 v58, v37
	v_mov_b32_e32 v50, v37
	v_mov_b32_e32 v51, v37
	v_mov_b32_e32 v48, v37
	v_mov_b32_e32 v49, v37
	v_mov_b32_e32 v47, v37
	v_mov_b32_e32 v46, v37
.LBB89_4:
	s_load_dwordx4 s[0:3], s[4:5], 0x78
	s_load_dwordx8 s[16:23], s[4:5], 0x58
	v_mov_b32_e32 v0, s29
	v_add_co_u32_e32 v4, vcc, s28, v45
	s_waitcnt lgkmcnt(0)
	s_mul_i32 s3, s8, s3
	s_mul_hi_u32 s4, s8, s2
	s_mul_i32 s2, s8, s2
	s_add_i32 s3, s4, s3
	s_lshl_b64 s[2:3], s[2:3], 3
	s_add_u32 s9, s22, s2
	s_addc_u32 s12, s23, s3
	v_addc_co_u32_e32 v5, vcc, 0, v0, vcc
	s_or_b32 s2, s10, s11
	s_bitset0_b32 s2, 31
	v_mov_b32_e32 v1, s7
	v_add_co_u32_e32 v0, vcc, s6, v44
	s_cmp_lg_u32 s2, 0
	v_addc_co_u32_e32 v1, vcc, 0, v1, vcc
	s_mov_b32 s2, s15
	s_mov_b32 s3, s14
	s_cbranch_scc1 .LBB89_6
; %bb.5:
	v_mul_lo_u32 v6, v5, s0
	v_mul_lo_u32 v7, v4, s1
	v_mad_u64_u32 v[2:3], s[4:5], v4, s0, 0
	v_add3_u32 v3, v3, v7, v6
	v_lshlrev_b64 v[2:3], 3, v[2:3]
	v_mov_b32_e32 v6, s12
	v_add_co_u32_e32 v8, vcc, s9, v2
	v_addc_co_u32_e32 v9, vcc, v6, v3, vcc
	v_lshlrev_b64 v[6:7], 3, v[0:1]
	v_mul_f32_e32 v2, s15, v80
	v_mul_f32_e32 v3, s14, v80
	v_add_co_u32_e32 v6, vcc, v8, v6
	v_fma_f32 v2, v79, s14, -v2
	v_fmac_f32_e32 v3, s15, v79
	v_addc_co_u32_e32 v7, vcc, v9, v7, vcc
	global_store_dwordx2 v[6:7], v[2:3], off
	v_mul_f32_e32 v2, s15, v78
	v_mul_f32_e32 v3, s14, v78
	v_fma_f32 v2, v77, s14, -v2
	v_fmac_f32_e32 v3, s15, v77
	global_store_dwordx2 v[6:7], v[2:3], off offset:128
	v_mul_f32_e32 v2, s15, v76
	v_mul_f32_e32 v3, s14, v76
	v_fma_f32 v2, v75, s14, -v2
	v_fmac_f32_e32 v3, s15, v75
	global_store_dwordx2 v[6:7], v[2:3], off offset:256
	v_mul_f32_e32 v2, s15, v74
	v_mul_f32_e32 v3, s14, v74
	v_fma_f32 v2, v73, s14, -v2
	v_fmac_f32_e32 v3, s15, v73
	s_lshl_b64 s[4:5], s[0:1], 7
	global_store_dwordx2 v[6:7], v[2:3], off offset:384
	v_mul_f32_e32 v2, s15, v72
	v_mul_f32_e32 v3, s14, v72
	v_mov_b32_e32 v9, s5
	v_add_co_u32_e32 v6, vcc, s4, v6
	v_fma_f32 v2, v71, s14, -v2
	v_fmac_f32_e32 v3, s15, v71
	v_addc_co_u32_e32 v7, vcc, v7, v9, vcc
	global_store_dwordx2 v[6:7], v[2:3], off
	v_mul_f32_e32 v2, s15, v70
	v_mul_f32_e32 v3, s14, v70
	v_fma_f32 v2, v69, s14, -v2
	v_fmac_f32_e32 v3, s15, v69
	global_store_dwordx2 v[6:7], v[2:3], off offset:128
	v_mul_f32_e32 v2, s15, v68
	v_mul_f32_e32 v3, s14, v68
	v_fma_f32 v2, v67, s14, -v2
	v_fmac_f32_e32 v3, s15, v67
	global_store_dwordx2 v[6:7], v[2:3], off offset:256
	;; [unrolled: 5-line block ×3, first 2 shown]
	v_mul_f32_e32 v2, s15, v64
	v_mul_f32_e32 v3, s14, v64
	v_add_co_u32_e32 v6, vcc, s4, v6
	v_fma_f32 v2, v63, s14, -v2
	v_fmac_f32_e32 v3, s15, v63
	v_addc_co_u32_e32 v7, vcc, v7, v9, vcc
	global_store_dwordx2 v[6:7], v[2:3], off
	v_mul_f32_e32 v2, s15, v62
	v_mul_f32_e32 v3, s14, v62
	v_fma_f32 v2, v61, s14, -v2
	v_fmac_f32_e32 v3, s15, v61
	global_store_dwordx2 v[6:7], v[2:3], off offset:128
	v_mul_f32_e32 v2, s15, v60
	v_mul_f32_e32 v3, s14, v60
	v_fma_f32 v2, v59, s14, -v2
	v_fmac_f32_e32 v3, s15, v59
	global_store_dwordx2 v[6:7], v[2:3], off offset:256
	;; [unrolled: 5-line block ×3, first 2 shown]
	v_mul_f32_e32 v2, s15, v51
	v_mul_f32_e32 v3, s14, v51
	v_add_co_u32_e32 v8, vcc, s4, v6
	v_fma_f32 v2, v50, s14, -v2
	v_fmac_f32_e32 v3, s15, v50
	v_addc_co_u32_e32 v9, vcc, v7, v9, vcc
	global_store_dwordx2 v[8:9], v[2:3], off
	v_mul_f32_e32 v2, s15, v49
	v_mul_f32_e32 v3, s14, v49
	v_fma_f32 v2, v48, s14, -v2
	v_fmac_f32_e32 v3, s15, v48
	global_store_dwordx2 v[8:9], v[2:3], off offset:128
	v_mul_f32_e32 v2, s15, v46
	v_mul_f32_e32 v3, s14, v46
	v_fma_f32 v2, v47, s14, -v2
	v_fmac_f32_e32 v3, s15, v47
	global_store_dwordx2 v[8:9], v[2:3], off offset:256
	v_mul_f32_e32 v2, s3, v36
	v_fma_f32 v7, -v37, s2, v2
	v_pk_mul_f32 v[2:3], v[36:37], s[2:3]
	v_add_f32_e32 v6, v2, v3
	v_add_co_u32_e32 v2, vcc, 0x180, v8
	v_addc_co_u32_e32 v3, vcc, 0, v9, vcc
	global_store_dword v[8:9], v7, off offset:384
	s_cbranch_execz .LBB89_7
	s_branch .LBB89_8
.LBB89_6:
                                        ; implicit-def: $vgpr6
                                        ; implicit-def: $vgpr2_vgpr3
.LBB89_7:
	s_mul_i32 s4, s8, s21
	s_mul_hi_u32 s5, s8, s20
	s_add_i32 s5, s5, s4
	s_mul_i32 s4, s8, s20
	s_lshl_b64 s[4:5], s[4:5], 3
	s_add_u32 s6, s16, s4
	s_addc_u32 s7, s17, s5
	v_mul_lo_u32 v6, v5, s18
	v_mul_lo_u32 v7, v4, s19
	v_mad_u64_u32 v[2:3], s[4:5], v4, s18, 0
	v_add3_u32 v3, v3, v7, v6
	v_lshlrev_b64 v[2:3], 3, v[2:3]
	v_mov_b32_e32 v6, s7
	v_add_co_u32_e32 v2, vcc, s6, v2
	v_addc_co_u32_e32 v3, vcc, v6, v3, vcc
	v_lshlrev_b64 v[0:1], 3, v[0:1]
	v_add_co_u32_e32 v2, vcc, v2, v0
	v_addc_co_u32_e32 v3, vcc, v3, v1, vcc
	global_load_dwordx2 v[6:7], v[2:3], off
	v_mul_lo_u32 v8, v5, s0
	v_mul_lo_u32 v9, v4, s1
	v_mad_u64_u32 v[4:5], s[4:5], v4, s0, 0
	v_add3_u32 v5, v5, v9, v8
	v_lshlrev_b64 v[4:5], 3, v[4:5]
	v_mov_b32_e32 v10, s12
	v_add_co_u32_e32 v4, vcc, s9, v4
	v_addc_co_u32_e32 v5, vcc, v10, v5, vcc
	v_add_co_u32_e32 v0, vcc, v4, v0
	v_mul_f32_e32 v11, s15, v80
	v_mul_f32_e32 v12, s14, v80
	v_addc_co_u32_e32 v1, vcc, v5, v1, vcc
	v_fma_f32 v8, v79, s14, -v11
	v_fmac_f32_e32 v12, s15, v79
	s_lshl_b64 s[4:5], s[18:19], 7
	s_lshl_b64 s[0:1], s[0:1], 7
	s_waitcnt vmcnt(0)
	v_mul_f32_e32 v4, s11, v7
	v_mul_f32_e32 v5, s10, v7
	v_fma_f32 v4, v6, s10, -v4
	v_fmac_f32_e32 v5, s11, v6
	v_add_f32_e32 v4, v8, v4
	v_add_f32_e32 v5, v12, v5
	global_store_dwordx2 v[0:1], v[4:5], off
	global_load_dwordx2 v[4:5], v[2:3], off offset:128
	v_mul_f32_e32 v6, s15, v78
	v_mul_f32_e32 v7, s14, v78
	v_fma_f32 v6, v77, s14, -v6
	v_fmac_f32_e32 v7, s15, v77
	s_waitcnt vmcnt(0)
	v_mul_f32_e32 v8, s11, v5
	v_mul_f32_e32 v5, s10, v5
	v_fma_f32 v8, v4, s10, -v8
	v_fmac_f32_e32 v5, s11, v4
	v_add_f32_e32 v4, v6, v8
	v_add_f32_e32 v5, v7, v5
	global_store_dwordx2 v[0:1], v[4:5], off offset:128
	global_load_dwordx2 v[4:5], v[2:3], off offset:256
	v_mul_f32_e32 v6, s15, v76
	v_mul_f32_e32 v7, s14, v76
	v_fma_f32 v6, v75, s14, -v6
	v_fmac_f32_e32 v7, s15, v75
	s_waitcnt vmcnt(0)
	v_mul_f32_e32 v8, s11, v5
	v_mul_f32_e32 v5, s10, v5
	v_fma_f32 v8, v4, s10, -v8
	v_fmac_f32_e32 v5, s11, v4
	v_add_f32_e32 v4, v6, v8
	v_add_f32_e32 v5, v7, v5
	global_store_dwordx2 v[0:1], v[4:5], off offset:256
	global_load_dwordx2 v[4:5], v[2:3], off offset:384
	v_mul_f32_e32 v6, s15, v74
	v_mul_f32_e32 v7, s14, v74
	v_fma_f32 v6, v73, s14, -v6
	v_fmac_f32_e32 v7, s15, v73
	v_mov_b32_e32 v8, s5
	v_add_co_u32_e32 v2, vcc, s4, v2
	v_addc_co_u32_e32 v3, vcc, v3, v8, vcc
	s_waitcnt vmcnt(0)
	v_mul_f32_e32 v9, s11, v5
	v_mul_f32_e32 v5, s10, v5
	v_fma_f32 v9, v4, s10, -v9
	v_fmac_f32_e32 v5, s11, v4
	v_add_f32_e32 v4, v6, v9
	v_add_f32_e32 v5, v7, v5
	global_store_dwordx2 v[0:1], v[4:5], off offset:384
	global_load_dwordx2 v[4:5], v[2:3], off
	v_mul_f32_e32 v6, s15, v72
	v_mul_f32_e32 v7, s14, v72
	v_fma_f32 v6, v71, s14, -v6
	v_fmac_f32_e32 v7, s15, v71
	v_mov_b32_e32 v9, s1
	v_add_co_u32_e32 v0, vcc, s0, v0
	v_addc_co_u32_e32 v1, vcc, v1, v9, vcc
	s_waitcnt vmcnt(0)
	v_mul_f32_e32 v10, s11, v5
	v_mul_f32_e32 v5, s10, v5
	v_fma_f32 v10, v4, s10, -v10
	v_fmac_f32_e32 v5, s11, v4
	v_add_f32_e32 v4, v6, v10
	v_add_f32_e32 v5, v7, v5
	global_store_dwordx2 v[0:1], v[4:5], off
	global_load_dwordx2 v[4:5], v[2:3], off offset:128
	v_mul_f32_e32 v6, s15, v70
	v_mul_f32_e32 v7, s14, v70
	v_fma_f32 v6, v69, s14, -v6
	v_fmac_f32_e32 v7, s15, v69
	s_waitcnt vmcnt(0)
	v_mul_f32_e32 v10, s11, v5
	v_mul_f32_e32 v5, s10, v5
	v_fma_f32 v10, v4, s10, -v10
	v_fmac_f32_e32 v5, s11, v4
	v_add_f32_e32 v4, v6, v10
	v_add_f32_e32 v5, v7, v5
	global_store_dwordx2 v[0:1], v[4:5], off offset:128
	global_load_dwordx2 v[4:5], v[2:3], off offset:256
	v_mul_f32_e32 v6, s15, v68
	v_mul_f32_e32 v7, s14, v68
	v_fma_f32 v6, v67, s14, -v6
	v_fmac_f32_e32 v7, s15, v67
	s_waitcnt vmcnt(0)
	v_mul_f32_e32 v10, s11, v5
	v_mul_f32_e32 v5, s10, v5
	v_fma_f32 v10, v4, s10, -v10
	v_fmac_f32_e32 v5, s11, v4
	v_add_f32_e32 v4, v6, v10
	v_add_f32_e32 v5, v7, v5
	global_store_dwordx2 v[0:1], v[4:5], off offset:256
	global_load_dwordx2 v[4:5], v[2:3], off offset:384
	v_mul_f32_e32 v6, s15, v66
	v_mul_f32_e32 v7, s14, v66
	v_fma_f32 v6, v65, s14, -v6
	v_fmac_f32_e32 v7, s15, v65
	v_add_co_u32_e32 v2, vcc, s4, v2
	v_addc_co_u32_e32 v3, vcc, v3, v8, vcc
	s_waitcnt vmcnt(0)
	v_mul_f32_e32 v10, s11, v5
	v_mul_f32_e32 v5, s10, v5
	v_fma_f32 v10, v4, s10, -v10
	v_fmac_f32_e32 v5, s11, v4
	v_add_f32_e32 v4, v6, v10
	v_add_f32_e32 v5, v7, v5
	global_store_dwordx2 v[0:1], v[4:5], off offset:384
	global_load_dwordx2 v[4:5], v[2:3], off
	v_mul_f32_e32 v6, s15, v64
	v_mul_f32_e32 v7, s14, v64
	v_fma_f32 v6, v63, s14, -v6
	v_fmac_f32_e32 v7, s15, v63
	v_add_co_u32_e32 v0, vcc, s0, v0
	v_addc_co_u32_e32 v1, vcc, v1, v9, vcc
	s_waitcnt vmcnt(0)
	v_mul_f32_e32 v10, s11, v5
	v_mul_f32_e32 v5, s10, v5
	v_fma_f32 v10, v4, s10, -v10
	v_fmac_f32_e32 v5, s11, v4
	v_add_f32_e32 v4, v6, v10
	v_add_f32_e32 v5, v7, v5
	global_store_dwordx2 v[0:1], v[4:5], off
	global_load_dwordx2 v[4:5], v[2:3], off offset:128
	v_mul_f32_e32 v6, s15, v62
	v_mul_f32_e32 v7, s14, v62
	v_fma_f32 v6, v61, s14, -v6
	v_fmac_f32_e32 v7, s15, v61
	s_waitcnt vmcnt(0)
	v_mul_f32_e32 v10, s11, v5
	v_mul_f32_e32 v5, s10, v5
	v_fma_f32 v10, v4, s10, -v10
	v_fmac_f32_e32 v5, s11, v4
	v_add_f32_e32 v4, v6, v10
	v_add_f32_e32 v5, v7, v5
	global_store_dwordx2 v[0:1], v[4:5], off offset:128
	global_load_dwordx2 v[4:5], v[2:3], off offset:256
	v_mul_f32_e32 v6, s15, v60
	v_mul_f32_e32 v7, s14, v60
	v_fma_f32 v6, v59, s14, -v6
	v_fmac_f32_e32 v7, s15, v59
	s_waitcnt vmcnt(0)
	v_mul_f32_e32 v10, s11, v5
	v_mul_f32_e32 v5, s10, v5
	v_fma_f32 v10, v4, s10, -v10
	v_fmac_f32_e32 v5, s11, v4
	v_add_f32_e32 v4, v6, v10
	v_add_f32_e32 v5, v7, v5
	global_store_dwordx2 v[0:1], v[4:5], off offset:256
	global_load_dwordx2 v[4:5], v[2:3], off offset:384
	v_add_co_u32_e32 v2, vcc, s4, v2
	v_mul_f32_e32 v6, s15, v58
	v_mul_f32_e32 v7, s14, v58
	v_addc_co_u32_e32 v3, vcc, v3, v8, vcc
	v_fma_f32 v6, v57, s14, -v6
	v_fmac_f32_e32 v7, s15, v57
	s_waitcnt vmcnt(0)
	v_mul_f32_e32 v8, s11, v5
	v_mul_f32_e32 v5, s10, v5
	v_fma_f32 v8, v4, s10, -v8
	v_fmac_f32_e32 v5, s11, v4
	v_add_f32_e32 v4, v6, v8
	v_add_f32_e32 v5, v7, v5
	global_store_dwordx2 v[0:1], v[4:5], off offset:384
	global_load_dwordx2 v[4:5], v[2:3], off
	v_mul_f32_e32 v6, s15, v51
	v_mul_f32_e32 v7, s14, v51
	v_fma_f32 v6, v50, s14, -v6
	v_fmac_f32_e32 v7, s15, v50
	v_add_co_u32_e32 v0, vcc, s0, v0
	v_addc_co_u32_e32 v1, vcc, v1, v9, vcc
	s_waitcnt vmcnt(0)
	v_mul_f32_e32 v8, s11, v5
	v_mul_f32_e32 v5, s10, v5
	v_fma_f32 v8, v4, s10, -v8
	v_fmac_f32_e32 v5, s11, v4
	v_add_f32_e32 v4, v6, v8
	v_add_f32_e32 v5, v7, v5
	global_store_dwordx2 v[0:1], v[4:5], off
	global_load_dwordx2 v[4:5], v[2:3], off offset:128
	v_mul_f32_e32 v6, s15, v49
	v_mul_f32_e32 v7, s14, v49
	v_fma_f32 v6, v48, s14, -v6
	v_fmac_f32_e32 v7, s15, v48
	s_waitcnt vmcnt(0)
	v_mul_f32_e32 v8, s11, v5
	v_mul_f32_e32 v5, s10, v5
	v_fma_f32 v8, v4, s10, -v8
	v_fmac_f32_e32 v5, s11, v4
	v_add_f32_e32 v4, v6, v8
	v_add_f32_e32 v5, v7, v5
	global_store_dwordx2 v[0:1], v[4:5], off offset:128
	global_load_dwordx2 v[4:5], v[2:3], off offset:256
	v_mul_f32_e32 v6, s15, v46
	v_mul_f32_e32 v7, s14, v46
	v_fma_f32 v6, v47, s14, -v6
	v_fmac_f32_e32 v7, s15, v47
	s_waitcnt vmcnt(0)
	v_mul_f32_e32 v8, s11, v5
	v_mul_f32_e32 v5, s10, v5
	v_fma_f32 v8, v4, s10, -v8
	v_fmac_f32_e32 v5, s11, v4
	v_add_f32_e32 v4, v6, v8
	v_add_f32_e32 v5, v7, v5
	global_store_dwordx2 v[0:1], v[4:5], off offset:256
	global_load_dwordx2 v[4:5], v[2:3], off offset:384
	v_mul_f32_e32 v6, s3, v36
	v_pk_mul_f32 v[2:3], v[36:37], s[2:3]
	v_fma_f32 v8, -v37, s2, v6
	v_add_f32_e32 v3, v2, v3
	v_add_co_u32_e32 v2, vcc, 0x180, v0
	s_waitcnt vmcnt(0)
	v_pk_mul_f32 v[6:7], v[4:5], s[10:11] op_sel:[0,1] op_sel_hi:[1,0]
	v_mul_f32_e32 v4, s10, v4
	v_fma_f32 v4, -v5, s11, v4
	v_add_f32_e32 v5, v6, v7
	v_add_f32_e32 v4, v8, v4
	;; [unrolled: 1-line block ×3, first 2 shown]
	v_addc_co_u32_e32 v3, vcc, 0, v1, vcc
	global_store_dword v[0:1], v4, off offset:384
.LBB89_8:
	global_store_dword v[2:3], v6, off offset:4
	s_endpgm
	.section	.rodata,"a",@progbits
	.p2align	6, 0x0
	.amdhsa_kernel _ZN12_GLOBAL__N_127rocblas_gemm_batched_kernelI19rocblas_complex_numIfELi16ELi16ELi64ELi64ELi4ELi64ELi4ELi4ELi64ELc78ELc78EKS2_S3_S2_EEvlllT_PT11_llS6_llS4_PT12_llPT13_lli
		.amdhsa_group_segment_fixed_size 4096
		.amdhsa_private_segment_fixed_size 0
		.amdhsa_kernarg_size 140
		.amdhsa_user_sgpr_count 6
		.amdhsa_user_sgpr_private_segment_buffer 1
		.amdhsa_user_sgpr_dispatch_ptr 0
		.amdhsa_user_sgpr_queue_ptr 0
		.amdhsa_user_sgpr_kernarg_segment_ptr 1
		.amdhsa_user_sgpr_dispatch_id 0
		.amdhsa_user_sgpr_flat_scratch_init 0
		.amdhsa_user_sgpr_kernarg_preload_length 0
		.amdhsa_user_sgpr_kernarg_preload_offset 0
		.amdhsa_user_sgpr_private_segment_size 0
		.amdhsa_uses_dynamic_stack 0
		.amdhsa_system_sgpr_private_segment_wavefront_offset 0
		.amdhsa_system_sgpr_workgroup_id_x 1
		.amdhsa_system_sgpr_workgroup_id_y 1
		.amdhsa_system_sgpr_workgroup_id_z 1
		.amdhsa_system_sgpr_workgroup_info 0
		.amdhsa_system_vgpr_workitem_id 1
		.amdhsa_next_free_vgpr 90
		.amdhsa_next_free_sgpr 30
		.amdhsa_accum_offset 92
		.amdhsa_reserve_vcc 1
		.amdhsa_reserve_flat_scratch 0
		.amdhsa_float_round_mode_32 0
		.amdhsa_float_round_mode_16_64 0
		.amdhsa_float_denorm_mode_32 3
		.amdhsa_float_denorm_mode_16_64 3
		.amdhsa_dx10_clamp 1
		.amdhsa_ieee_mode 1
		.amdhsa_fp16_overflow 0
		.amdhsa_tg_split 0
		.amdhsa_exception_fp_ieee_invalid_op 0
		.amdhsa_exception_fp_denorm_src 0
		.amdhsa_exception_fp_ieee_div_zero 0
		.amdhsa_exception_fp_ieee_overflow 0
		.amdhsa_exception_fp_ieee_underflow 0
		.amdhsa_exception_fp_ieee_inexact 0
		.amdhsa_exception_int_div_zero 0
	.end_amdhsa_kernel
	.section	.text._ZN12_GLOBAL__N_127rocblas_gemm_batched_kernelI19rocblas_complex_numIfELi16ELi16ELi64ELi64ELi4ELi64ELi4ELi4ELi64ELc78ELc78EKS2_S3_S2_EEvlllT_PT11_llS6_llS4_PT12_llPT13_lli,"axG",@progbits,_ZN12_GLOBAL__N_127rocblas_gemm_batched_kernelI19rocblas_complex_numIfELi16ELi16ELi64ELi64ELi4ELi64ELi4ELi4ELi64ELc78ELc78EKS2_S3_S2_EEvlllT_PT11_llS6_llS4_PT12_llPT13_lli,comdat
.Lfunc_end89:
	.size	_ZN12_GLOBAL__N_127rocblas_gemm_batched_kernelI19rocblas_complex_numIfELi16ELi16ELi64ELi64ELi4ELi64ELi4ELi4ELi64ELc78ELc78EKS2_S3_S2_EEvlllT_PT11_llS6_llS4_PT12_llPT13_lli, .Lfunc_end89-_ZN12_GLOBAL__N_127rocblas_gemm_batched_kernelI19rocblas_complex_numIfELi16ELi16ELi64ELi64ELi4ELi64ELi4ELi4ELi64ELc78ELc78EKS2_S3_S2_EEvlllT_PT11_llS6_llS4_PT12_llPT13_lli
                                        ; -- End function
	.section	.AMDGPU.csdata,"",@progbits
; Kernel info:
; codeLenInByte = 4720
; NumSgprs: 34
; NumVgprs: 90
; NumAgprs: 0
; TotalNumVgprs: 90
; ScratchSize: 0
; MemoryBound: 0
; FloatMode: 240
; IeeeMode: 1
; LDSByteSize: 4096 bytes/workgroup (compile time only)
; SGPRBlocks: 4
; VGPRBlocks: 11
; NumSGPRsForWavesPerEU: 34
; NumVGPRsForWavesPerEU: 90
; AccumOffset: 92
; Occupancy: 5
; WaveLimiterHint : 1
; COMPUTE_PGM_RSRC2:SCRATCH_EN: 0
; COMPUTE_PGM_RSRC2:USER_SGPR: 6
; COMPUTE_PGM_RSRC2:TRAP_HANDLER: 0
; COMPUTE_PGM_RSRC2:TGID_X_EN: 1
; COMPUTE_PGM_RSRC2:TGID_Y_EN: 1
; COMPUTE_PGM_RSRC2:TGID_Z_EN: 1
; COMPUTE_PGM_RSRC2:TIDIG_COMP_CNT: 1
; COMPUTE_PGM_RSRC3_GFX90A:ACCUM_OFFSET: 22
; COMPUTE_PGM_RSRC3_GFX90A:TG_SPLIT: 0
	.section	.text._ZN12_GLOBAL__N_127rocblas_gemm_batched_kernelI19rocblas_complex_numIfELi16ELi16ELi64ELi64ELi4ELi64ELi4ELi4ELi64ELc84ELc78EKS2_S3_S2_EEvlllT_PT11_llS6_llS4_PT12_llPT13_lli,"axG",@progbits,_ZN12_GLOBAL__N_127rocblas_gemm_batched_kernelI19rocblas_complex_numIfELi16ELi16ELi64ELi64ELi4ELi64ELi4ELi4ELi64ELc84ELc78EKS2_S3_S2_EEvlllT_PT11_llS6_llS4_PT12_llPT13_lli,comdat
	.globl	_ZN12_GLOBAL__N_127rocblas_gemm_batched_kernelI19rocblas_complex_numIfELi16ELi16ELi64ELi64ELi4ELi64ELi4ELi4ELi64ELc84ELc78EKS2_S3_S2_EEvlllT_PT11_llS6_llS4_PT12_llPT13_lli ; -- Begin function _ZN12_GLOBAL__N_127rocblas_gemm_batched_kernelI19rocblas_complex_numIfELi16ELi16ELi64ELi64ELi4ELi64ELi4ELi4ELi64ELc84ELc78EKS2_S3_S2_EEvlllT_PT11_llS6_llS4_PT12_llPT13_lli
	.p2align	8
	.type	_ZN12_GLOBAL__N_127rocblas_gemm_batched_kernelI19rocblas_complex_numIfELi16ELi16ELi64ELi64ELi4ELi64ELi4ELi4ELi64ELc84ELc78EKS2_S3_S2_EEvlllT_PT11_llS6_llS4_PT12_llPT13_lli,@function
_ZN12_GLOBAL__N_127rocblas_gemm_batched_kernelI19rocblas_complex_numIfELi16ELi16ELi64ELi64ELi4ELi64ELi4ELi4ELi64ELc84ELc78EKS2_S3_S2_EEvlllT_PT11_llS6_llS4_PT12_llPT13_lli: ; @_ZN12_GLOBAL__N_127rocblas_gemm_batched_kernelI19rocblas_complex_numIfELi16ELi16ELi64ELi64ELi4ELi64ELi4ELi4ELi64ELc84ELc78EKS2_S3_S2_EEvlllT_PT11_llS6_llS4_PT12_llPT13_lli
; %bb.0:
	s_load_dwordx16 s[12:27], s[4:5], 0x10
	s_load_dwordx2 s[10:11], s[4:5], 0x50
	s_mov_b32 s0, s7
	s_ashr_i32 s1, s0, 31
	s_ashr_i32 s7, s6, 31
	s_lshl_b64 s[28:29], s[0:1], 6
	s_waitcnt lgkmcnt(0)
	v_cmp_lt_i64_e64 s[0:1], s[12:13], 1
	v_bfe_u32 v45, v0, 10, 10
	v_and_b32_e32 v44, 0x3ff, v0
	s_lshl_b64 s[6:7], s[6:7], 6
	s_and_b64 vcc, exec, s[0:1]
	s_cbranch_vccnz .LBB90_3
; %bb.1:
	v_lshl_add_u32 v0, v45, 4, v44
	v_and_b32_e32 v4, 3, v44
	v_and_b32_e32 v5, 63, v0
	v_lshrrev_b32_e32 v1, 2, v0
	v_lshrrev_b32_e32 v6, 6, v0
	v_lshlrev_b32_e32 v0, 3, v5
	v_lshlrev_b32_e32 v4, 3, v4
	v_mov_b32_e32 v2, s29
	v_add_co_u32_e32 v3, vcc, s28, v1
	v_lshl_or_b32 v52, v6, 9, v0
	v_lshl_or_b32 v0, v1, 5, v4
	v_addc_co_u32_e32 v2, vcc, 0, v2, vcc
	v_add_u32_e32 v53, 0x800, v0
	v_mov_b32_e32 v0, 0x800
	v_lshl_add_u32 v55, v45, 5, v0
	v_mov_b32_e32 v0, s7
	v_add_co_u32_e32 v1, vcc, s6, v5
	v_addc_co_u32_e32 v0, vcc, 0, v0, vcc
	v_mul_lo_u32 v5, s19, v1
	v_mul_lo_u32 v7, s18, v0
	v_mad_u64_u32 v[0:1], s[0:1], s18, v1, 0
	s_mul_i32 s0, s21, s8
	s_mul_hi_u32 s1, s20, s8
	v_add3_u32 v1, v1, v7, v5
	s_add_i32 s1, s1, s0
	s_mul_i32 s0, s20, s8
	v_lshlrev_b64 v[0:1], 3, v[0:1]
	s_lshl_b64 s[0:1], s[0:1], 3
	v_mov_b32_e32 v5, s1
	v_add_co_u32_e32 v0, vcc, s0, v0
	v_addc_co_u32_e32 v1, vcc, v1, v5, vcc
	v_lshlrev_b32_e32 v5, 3, v6
	v_add_co_u32_e32 v0, vcc, v0, v5
	v_addc_co_u32_e32 v1, vcc, 0, v1, vcc
	v_mov_b32_e32 v5, s17
	v_add_co_u32_e32 v38, vcc, s16, v0
	v_addc_co_u32_e32 v39, vcc, v5, v1, vcc
	v_mad_u64_u32 v[0:1], s[0:1], s24, v3, 0
	v_mul_lo_u32 v5, s25, v3
	v_mul_lo_u32 v2, s24, v2
	s_mul_i32 s0, s27, s8
	s_mul_hi_u32 s1, s26, s8
	v_add3_u32 v1, v1, v2, v5
	s_add_i32 s1, s1, s0
	s_mul_i32 s0, s26, s8
	v_lshlrev_b64 v[0:1], 3, v[0:1]
	s_lshl_b64 s[0:1], s[0:1], 3
	v_mov_b32_e32 v2, s1
	v_add_co_u32_e32 v0, vcc, s0, v0
	v_addc_co_u32_e32 v1, vcc, v1, v2, vcc
	v_add_co_u32_e32 v0, vcc, v0, v4
	v_addc_co_u32_e32 v1, vcc, 0, v1, vcc
	v_mov_b32_e32 v2, s23
	v_add_co_u32_e32 v40, vcc, s22, v0
	v_mov_b32_e32 v46, 0
	v_lshlrev_b32_e32 v54, 3, v44
	v_addc_co_u32_e32 v41, vcc, v2, v1, vcc
	s_mov_b64 s[0:1], 0
	v_pk_mov_b32 v[42:43], s[12:13], s[12:13] op_sel:[0,1]
	v_mov_b32_e32 v47, 0
	v_mov_b32_e32 v49, 0
	;; [unrolled: 1-line block ×31, first 2 shown]
.LBB90_2:                               ; =>This Inner Loop Header: Depth=1
	global_load_dwordx2 v[0:1], v[38:39], off
	v_add_co_u32_e32 v38, vcc, 32, v38
	v_addc_co_u32_e32 v39, vcc, 0, v39, vcc
	s_add_u32 s0, s0, 4
	s_addc_u32 s1, s1, 0
	s_waitcnt vmcnt(0)
	ds_write_b64 v52, v[0:1]
	global_load_dwordx2 v[0:1], v[40:41], off
	v_add_co_u32_e32 v40, vcc, 32, v40
	v_addc_co_u32_e32 v41, vcc, 0, v41, vcc
	v_cmp_lt_i64_e32 vcc, s[0:1], v[42:43]
	s_and_b64 vcc, exec, vcc
	s_waitcnt vmcnt(0)
	ds_write_b64 v53, v[0:1]
	s_waitcnt lgkmcnt(0)
	s_barrier
	ds_read_b128 v[0:3], v55
	ds_read_b128 v[32:35], v55 offset:16
	ds_read2_b64 v[8:11], v54 offset1:16
	ds_read2_b64 v[12:15], v54 offset0:32 offset1:48
	s_waitcnt lgkmcnt(1)
	v_mul_f32_e32 v4, v1, v9
	v_fma_f32 v4, v0, v8, -v4
	v_mul_f32_e32 v5, v0, v9
	v_add_f32_e32 v20, v78, v4
	v_mul_f32_e32 v4, v1, v11
	v_fmac_f32_e32 v5, v1, v8
	v_fma_f32 v4, v0, v10, -v4
	v_add_f32_e32 v21, v79, v5
	v_mul_f32_e32 v5, v0, v11
	v_add_f32_e32 v22, v76, v4
	s_waitcnt lgkmcnt(0)
	v_mul_f32_e32 v4, v1, v13
	v_fmac_f32_e32 v5, v1, v10
	v_fma_f32 v4, v0, v12, -v4
	v_add_f32_e32 v23, v77, v5
	v_mul_f32_e32 v5, v0, v13
	v_add_f32_e32 v74, v74, v4
	v_mul_f32_e32 v4, v1, v15
	v_fmac_f32_e32 v5, v1, v12
	v_fma_f32 v4, v0, v14, -v4
	v_mul_f32_e32 v0, v0, v15
	v_add_f32_e32 v75, v75, v5
	v_fmac_f32_e32 v0, v1, v14
	v_add_f32_e32 v1, v72, v4
	ds_read_b128 v[4:7], v55 offset:512
	ds_read_b128 v[78:81], v55 offset:1040
	v_add_f32_e32 v0, v73, v0
	s_waitcnt lgkmcnt(1)
	v_mul_f32_e32 v16, v5, v9
	v_fma_f32 v16, v4, v8, -v16
	v_mul_f32_e32 v17, v4, v9
	v_add_f32_e32 v70, v70, v16
	v_mul_f32_e32 v16, v5, v11
	v_fmac_f32_e32 v17, v5, v8
	v_fma_f32 v16, v4, v10, -v16
	v_add_f32_e32 v71, v71, v17
	v_mul_f32_e32 v17, v4, v11
	v_add_f32_e32 v68, v68, v16
	v_mul_f32_e32 v16, v5, v13
	v_fmac_f32_e32 v17, v5, v10
	v_fma_f32 v16, v4, v12, -v16
	v_add_f32_e32 v69, v69, v17
	v_mul_f32_e32 v17, v4, v13
	v_add_f32_e32 v66, v66, v16
	v_mul_f32_e32 v16, v5, v15
	v_fmac_f32_e32 v17, v5, v12
	v_fma_f32 v16, v4, v14, -v16
	v_mul_f32_e32 v4, v4, v15
	v_add_f32_e32 v67, v67, v17
	v_fmac_f32_e32 v4, v5, v14
	v_add_f32_e32 v5, v64, v16
	ds_read_b128 v[16:19], v55 offset:1024
	v_add_f32_e32 v4, v65, v4
	s_waitcnt lgkmcnt(0)
	v_mul_f32_e32 v24, v17, v9
	v_fma_f32 v24, v16, v8, -v24
	v_mul_f32_e32 v25, v16, v9
	v_add_f32_e32 v62, v62, v24
	v_mul_f32_e32 v24, v17, v11
	v_fmac_f32_e32 v25, v17, v8
	v_fma_f32 v24, v16, v10, -v24
	v_add_f32_e32 v63, v63, v25
	v_mul_f32_e32 v25, v16, v11
	v_add_f32_e32 v60, v60, v24
	v_mul_f32_e32 v24, v17, v13
	v_fmac_f32_e32 v25, v17, v10
	v_fma_f32 v24, v16, v12, -v24
	v_add_f32_e32 v61, v61, v25
	v_mul_f32_e32 v25, v16, v13
	v_add_f32_e32 v58, v58, v24
	v_mul_f32_e32 v24, v17, v15
	v_fmac_f32_e32 v25, v17, v12
	v_fma_f32 v24, v16, v14, -v24
	v_mul_f32_e32 v16, v16, v15
	v_add_f32_e32 v59, v59, v25
	v_fmac_f32_e32 v16, v17, v14
	v_add_f32_e32 v17, v56, v24
	ds_read2_b64 v[24:27], v54 offset0:64 offset1:80
	v_add_f32_e32 v16, v57, v16
	s_waitcnt lgkmcnt(0)
	v_mul_f32_e32 v28, v3, v25
	v_mul_f32_e32 v29, v2, v25
	v_fma_f32 v28, v2, v24, -v28
	v_fmac_f32_e32 v29, v3, v24
	v_add_f32_e32 v20, v20, v28
	v_add_f32_e32 v21, v21, v29
	v_mul_f32_e32 v28, v3, v27
	v_mul_f32_e32 v29, v2, v27
	v_fma_f32 v28, v2, v26, -v28
	v_fmac_f32_e32 v29, v3, v26
	v_add_f32_e32 v22, v22, v28
	v_add_f32_e32 v23, v23, v29
	ds_read2_b64 v[28:31], v54 offset0:96 offset1:112
	s_waitcnt lgkmcnt(0)
	v_mul_f32_e32 v56, v3, v29
	v_mul_f32_e32 v64, v3, v31
	v_fma_f32 v56, v2, v28, -v56
	v_mul_f32_e32 v57, v2, v29
	v_fma_f32 v64, v2, v30, -v64
	v_mul_f32_e32 v2, v2, v31
	v_fmac_f32_e32 v2, v3, v30
	v_add_f32_e32 v64, v1, v64
	v_add_f32_e32 v65, v0, v2
	v_mul_f32_e32 v0, v7, v25
	v_mul_f32_e32 v1, v6, v25
	v_fma_f32 v0, v6, v24, -v0
	v_fmac_f32_e32 v1, v7, v24
	v_add_f32_e32 v70, v70, v0
	v_add_f32_e32 v71, v71, v1
	v_mul_f32_e32 v0, v7, v27
	v_mul_f32_e32 v1, v6, v27
	v_fma_f32 v0, v6, v26, -v0
	;; [unrolled: 6-line block ×6, first 2 shown]
	v_fmac_f32_e32 v1, v19, v26
	ds_read2_b64 v[4:7], v54 offset0:128 offset1:144
	v_add_f32_e32 v60, v60, v0
	v_add_f32_e32 v61, v61, v1
	v_mul_f32_e32 v0, v19, v29
	v_mul_f32_e32 v1, v18, v29
	v_fmac_f32_e32 v57, v3, v28
	v_fma_f32 v0, v18, v28, -v0
	v_fmac_f32_e32 v1, v19, v28
	v_add_f32_e32 v56, v74, v56
	v_add_f32_e32 v57, v75, v57
	;; [unrolled: 1-line block ×4, first 2 shown]
	v_mul_f32_e32 v0, v19, v31
	v_mul_f32_e32 v1, v18, v31
	v_fma_f32 v0, v18, v30, -v0
	v_fmac_f32_e32 v1, v19, v30
	v_add_f32_e32 v17, v17, v0
	v_add_f32_e32 v16, v16, v1
	s_waitcnt lgkmcnt(0)
	v_mul_f32_e32 v0, v33, v5
	v_mul_f32_e32 v1, v32, v5
	v_fma_f32 v0, v32, v4, -v0
	v_fmac_f32_e32 v1, v33, v4
	v_add_f32_e32 v18, v20, v0
	v_add_f32_e32 v19, v21, v1
	v_mul_f32_e32 v0, v33, v7
	v_mul_f32_e32 v1, v32, v7
	v_fma_f32 v0, v32, v6, -v0
	v_fmac_f32_e32 v1, v33, v6
	v_add_f32_e32 v76, v22, v0
	v_add_f32_e32 v77, v23, v1
	ds_read2_b64 v[0:3], v54 offset0:160 offset1:176
	s_waitcnt lgkmcnt(0)
	v_mul_f32_e32 v20, v33, v1
	v_mul_f32_e32 v21, v32, v1
	v_fma_f32 v20, v32, v0, -v20
	v_fmac_f32_e32 v21, v33, v0
	v_add_f32_e32 v82, v56, v20
	v_add_f32_e32 v83, v57, v21
	ds_read_b128 v[56:59], v55 offset:528
	v_mul_f32_e32 v20, v33, v3
	v_mul_f32_e32 v21, v32, v3
	v_fma_f32 v20, v32, v2, -v20
	v_fmac_f32_e32 v21, v33, v2
	v_add_f32_e32 v32, v64, v20
	v_add_f32_e32 v33, v65, v21
	s_waitcnt lgkmcnt(0)
	v_mul_f32_e32 v20, v57, v5
	v_mul_f32_e32 v21, v56, v5
	v_fma_f32 v20, v56, v4, -v20
	v_fmac_f32_e32 v21, v57, v4
	v_add_f32_e32 v64, v70, v20
	v_add_f32_e32 v65, v71, v21
	v_mul_f32_e32 v20, v57, v7
	v_mul_f32_e32 v21, v56, v7
	v_fma_f32 v20, v56, v6, -v20
	v_fmac_f32_e32 v21, v57, v6
	v_add_f32_e32 v68, v68, v20
	v_add_f32_e32 v69, v69, v21
	;; [unrolled: 6-line block ×8, first 2 shown]
	ds_read2_b64 v[20:23], v54 offset0:192 offset1:208
	s_waitcnt lgkmcnt(0)
	v_mul_f32_e32 v16, v35, v21
	v_mul_f32_e32 v17, v34, v21
	v_fma_f32 v16, v34, v20, -v16
	v_fmac_f32_e32 v17, v35, v20
	v_add_f32_e32 v78, v18, v16
	v_add_f32_e32 v79, v19, v17
	v_mul_f32_e32 v16, v35, v23
	v_mul_f32_e32 v17, v34, v23
	v_fma_f32 v16, v34, v22, -v16
	v_fmac_f32_e32 v17, v35, v22
	v_add_f32_e32 v76, v76, v16
	v_add_f32_e32 v77, v77, v17
	ds_read2_b64 v[16:19], v54 offset0:224 offset1:240
	s_waitcnt lgkmcnt(0)
	v_mul_f32_e32 v70, v35, v17
	v_fma_f32 v70, v34, v16, -v70
	v_add_f32_e32 v74, v82, v70
	v_mul_f32_e32 v70, v35, v19
	v_mul_f32_e32 v71, v34, v17
	v_fma_f32 v70, v34, v18, -v70
	v_mul_f32_e32 v34, v34, v19
	v_fmac_f32_e32 v34, v35, v18
	v_add_f32_e32 v72, v32, v70
	v_add_f32_e32 v73, v33, v34
	v_mul_f32_e32 v32, v59, v21
	v_mul_f32_e32 v33, v58, v21
	v_fmac_f32_e32 v71, v35, v16
	v_fma_f32 v32, v58, v20, -v32
	v_fmac_f32_e32 v33, v59, v20
	v_add_f32_e32 v75, v83, v71
	v_add_f32_e32 v70, v64, v32
	;; [unrolled: 1-line block ×3, first 2 shown]
	v_mul_f32_e32 v32, v59, v23
	v_mul_f32_e32 v33, v58, v23
	v_fma_f32 v32, v58, v22, -v32
	v_fmac_f32_e32 v33, v59, v22
	v_add_f32_e32 v68, v68, v32
	v_add_f32_e32 v69, v69, v33
	v_mul_f32_e32 v32, v59, v17
	v_mul_f32_e32 v33, v58, v17
	v_fma_f32 v32, v58, v16, -v32
	v_fmac_f32_e32 v33, v59, v16
	v_add_f32_e32 v66, v66, v32
	v_add_f32_e32 v67, v67, v33
	;; [unrolled: 6-line block ×7, first 2 shown]
	ds_read_b128 v[32:35], v55 offset:1536
	s_waitcnt lgkmcnt(0)
	v_mul_f32_e32 v80, v33, v9
	v_mul_f32_e32 v9, v32, v9
	v_fmac_f32_e32 v9, v33, v8
	v_fma_f32 v80, v32, v8, -v80
	v_add_f32_e32 v51, v51, v9
	v_mul_f32_e32 v8, v33, v11
	v_mul_f32_e32 v9, v32, v11
	v_fma_f32 v8, v32, v10, -v8
	v_fmac_f32_e32 v9, v33, v10
	v_add_f32_e32 v48, v48, v8
	v_add_f32_e32 v49, v49, v9
	v_mul_f32_e32 v8, v33, v13
	v_mul_f32_e32 v9, v32, v13
	v_fma_f32 v8, v32, v12, -v8
	v_fmac_f32_e32 v9, v33, v12
	v_add_f32_e32 v12, v47, v8
	v_add_f32_e32 v13, v46, v9
	v_pk_mul_f32 v[8:9], v[32:33], v[14:15] op_sel:[0,1]
	v_pk_fma_f32 v[10:11], v[32:33], v[14:15], v[8:9] op_sel:[0,0,1] op_sel_hi:[1,1,0] neg_lo:[0,0,1] neg_hi:[0,0,1]
	v_pk_fma_f32 v[8:9], v[32:33], v[14:15], v[8:9] op_sel:[0,0,1] op_sel_hi:[1,0,0]
	v_mov_b32_e32 v11, v9
	v_pk_add_f32 v[8:9], v[36:37], v[10:11]
	v_mul_f32_e32 v10, v35, v25
	v_mul_f32_e32 v11, v34, v25
	v_add_f32_e32 v50, v50, v80
	v_fma_f32 v10, v34, v24, -v10
	v_fmac_f32_e32 v11, v35, v24
	v_add_f32_e32 v32, v50, v10
	v_add_f32_e32 v33, v51, v11
	v_mul_f32_e32 v10, v35, v27
	v_mul_f32_e32 v11, v34, v27
	v_fma_f32 v10, v34, v26, -v10
	v_fmac_f32_e32 v11, v35, v26
	v_add_f32_e32 v24, v48, v10
	v_add_f32_e32 v25, v49, v11
	v_mul_f32_e32 v10, v35, v29
	v_mul_f32_e32 v11, v34, v29
	v_fma_f32 v10, v34, v28, -v10
	v_fmac_f32_e32 v11, v35, v28
	v_add_f32_e32 v14, v12, v10
	v_add_f32_e32 v15, v13, v11
	v_pk_mul_f32 v[10:11], v[34:35], v[30:31] op_sel:[0,1]
	v_pk_fma_f32 v[12:13], v[34:35], v[30:31], v[10:11] op_sel:[0,0,1] op_sel_hi:[1,1,0] neg_lo:[0,0,1] neg_hi:[0,0,1]
	v_pk_fma_f32 v[10:11], v[34:35], v[30:31], v[10:11] op_sel:[0,0,1] op_sel_hi:[1,0,0]
	v_mov_b32_e32 v13, v11
	v_pk_add_f32 v[12:13], v[8:9], v[12:13]
	ds_read_b128 v[8:11], v55 offset:1552
	s_waitcnt lgkmcnt(0)
	s_barrier
	v_mul_f32_e32 v26, v9, v5
	v_mul_f32_e32 v5, v8, v5
	v_fma_f32 v26, v8, v4, -v26
	v_fmac_f32_e32 v5, v9, v4
	v_mul_f32_e32 v4, v9, v7
	v_add_f32_e32 v27, v33, v5
	v_fma_f32 v4, v8, v6, -v4
	v_mul_f32_e32 v5, v8, v7
	v_fmac_f32_e32 v5, v9, v6
	v_add_f32_e32 v6, v24, v4
	v_mul_f32_e32 v4, v9, v1
	v_mul_f32_e32 v1, v8, v1
	v_fmac_f32_e32 v1, v9, v0
	v_fma_f32 v4, v8, v0, -v4
	v_add_f32_e32 v15, v15, v1
	v_pk_mul_f32 v[0:1], v[8:9], v[2:3] op_sel:[0,1]
	v_add_f32_e32 v7, v25, v5
	v_add_f32_e32 v14, v14, v4
	v_pk_fma_f32 v[4:5], v[8:9], v[2:3], v[0:1] op_sel:[0,0,1] op_sel_hi:[1,1,0] neg_lo:[0,0,1] neg_hi:[0,0,1]
	v_pk_fma_f32 v[0:1], v[8:9], v[2:3], v[0:1] op_sel:[0,0,1] op_sel_hi:[1,0,0]
	v_mul_f32_e32 v2, v11, v21
	v_mul_f32_e32 v3, v10, v21
	v_add_f32_e32 v26, v32, v26
	v_fma_f32 v2, v10, v20, -v2
	v_fmac_f32_e32 v3, v11, v20
	v_add_f32_e32 v50, v26, v2
	v_add_f32_e32 v51, v27, v3
	v_mul_f32_e32 v2, v11, v23
	v_mul_f32_e32 v3, v10, v23
	v_fma_f32 v2, v10, v22, -v2
	v_fmac_f32_e32 v3, v11, v22
	v_add_f32_e32 v48, v6, v2
	v_add_f32_e32 v49, v7, v3
	v_mul_f32_e32 v2, v11, v17
	v_mul_f32_e32 v3, v10, v17
	v_fma_f32 v2, v10, v16, -v2
	v_fmac_f32_e32 v3, v11, v16
	v_mov_b32_e32 v5, v1
	v_add_f32_e32 v47, v14, v2
	v_add_f32_e32 v46, v15, v3
	v_pk_mul_f32 v[2:3], v[10:11], v[18:19] op_sel:[0,1]
	v_pk_add_f32 v[0:1], v[12:13], v[4:5]
	v_pk_fma_f32 v[4:5], v[10:11], v[18:19], v[2:3] op_sel:[0,0,1] op_sel_hi:[1,1,0] neg_lo:[0,0,1] neg_hi:[0,0,1]
	v_pk_fma_f32 v[2:3], v[10:11], v[18:19], v[2:3] op_sel:[0,0,1] op_sel_hi:[1,0,0]
	v_mov_b32_e32 v5, v3
	v_pk_add_f32 v[36:37], v[0:1], v[4:5]
	s_cbranch_vccnz .LBB90_2
	s_branch .LBB90_4
.LBB90_3:
	v_mov_b32_e32 v37, 0
	v_mov_b32_e32 v36, v37
	;; [unrolled: 1-line block ×32, first 2 shown]
.LBB90_4:
	s_load_dwordx4 s[0:3], s[4:5], 0x78
	s_load_dwordx8 s[16:23], s[4:5], 0x58
	v_mov_b32_e32 v0, s29
	v_add_co_u32_e32 v4, vcc, s28, v45
	s_waitcnt lgkmcnt(0)
	s_mul_i32 s3, s8, s3
	s_mul_hi_u32 s4, s8, s2
	s_mul_i32 s2, s8, s2
	s_add_i32 s3, s4, s3
	s_lshl_b64 s[2:3], s[2:3], 3
	s_add_u32 s9, s22, s2
	s_addc_u32 s12, s23, s3
	v_addc_co_u32_e32 v5, vcc, 0, v0, vcc
	s_or_b32 s2, s10, s11
	s_bitset0_b32 s2, 31
	v_mov_b32_e32 v1, s7
	v_add_co_u32_e32 v0, vcc, s6, v44
	s_cmp_lg_u32 s2, 0
	v_addc_co_u32_e32 v1, vcc, 0, v1, vcc
	s_mov_b32 s2, s15
	s_mov_b32 s3, s14
	s_cbranch_scc1 .LBB90_6
; %bb.5:
	v_mul_lo_u32 v6, v5, s0
	v_mul_lo_u32 v7, v4, s1
	v_mad_u64_u32 v[2:3], s[4:5], v4, s0, 0
	v_add3_u32 v3, v3, v7, v6
	v_lshlrev_b64 v[2:3], 3, v[2:3]
	v_mov_b32_e32 v6, s12
	v_add_co_u32_e32 v8, vcc, s9, v2
	v_addc_co_u32_e32 v9, vcc, v6, v3, vcc
	v_lshlrev_b64 v[6:7], 3, v[0:1]
	v_mul_f32_e32 v2, s15, v79
	v_mul_f32_e32 v3, s14, v79
	v_add_co_u32_e32 v6, vcc, v8, v6
	v_fma_f32 v2, v78, s14, -v2
	v_fmac_f32_e32 v3, s15, v78
	v_addc_co_u32_e32 v7, vcc, v9, v7, vcc
	global_store_dwordx2 v[6:7], v[2:3], off
	v_mul_f32_e32 v2, s15, v77
	v_mul_f32_e32 v3, s14, v77
	v_fma_f32 v2, v76, s14, -v2
	v_fmac_f32_e32 v3, s15, v76
	global_store_dwordx2 v[6:7], v[2:3], off offset:128
	v_mul_f32_e32 v2, s15, v75
	v_mul_f32_e32 v3, s14, v75
	v_fma_f32 v2, v74, s14, -v2
	v_fmac_f32_e32 v3, s15, v74
	global_store_dwordx2 v[6:7], v[2:3], off offset:256
	v_mul_f32_e32 v2, s15, v73
	v_mul_f32_e32 v3, s14, v73
	v_fma_f32 v2, v72, s14, -v2
	v_fmac_f32_e32 v3, s15, v72
	s_lshl_b64 s[4:5], s[0:1], 7
	global_store_dwordx2 v[6:7], v[2:3], off offset:384
	v_mul_f32_e32 v2, s15, v71
	v_mul_f32_e32 v3, s14, v71
	v_mov_b32_e32 v9, s5
	v_add_co_u32_e32 v6, vcc, s4, v6
	v_fma_f32 v2, v70, s14, -v2
	v_fmac_f32_e32 v3, s15, v70
	v_addc_co_u32_e32 v7, vcc, v7, v9, vcc
	global_store_dwordx2 v[6:7], v[2:3], off
	v_mul_f32_e32 v2, s15, v69
	v_mul_f32_e32 v3, s14, v69
	v_fma_f32 v2, v68, s14, -v2
	v_fmac_f32_e32 v3, s15, v68
	global_store_dwordx2 v[6:7], v[2:3], off offset:128
	v_mul_f32_e32 v2, s15, v67
	v_mul_f32_e32 v3, s14, v67
	v_fma_f32 v2, v66, s14, -v2
	v_fmac_f32_e32 v3, s15, v66
	global_store_dwordx2 v[6:7], v[2:3], off offset:256
	v_mul_f32_e32 v2, s15, v65
	v_mul_f32_e32 v3, s14, v65
	v_fma_f32 v2, v64, s14, -v2
	v_fmac_f32_e32 v3, s15, v64
	global_store_dwordx2 v[6:7], v[2:3], off offset:384
	v_mul_f32_e32 v2, s15, v63
	v_mul_f32_e32 v3, s14, v63
	v_add_co_u32_e32 v6, vcc, s4, v6
	v_fma_f32 v2, v62, s14, -v2
	v_fmac_f32_e32 v3, s15, v62
	v_addc_co_u32_e32 v7, vcc, v7, v9, vcc
	global_store_dwordx2 v[6:7], v[2:3], off
	v_mul_f32_e32 v2, s15, v61
	v_mul_f32_e32 v3, s14, v61
	v_fma_f32 v2, v60, s14, -v2
	v_fmac_f32_e32 v3, s15, v60
	global_store_dwordx2 v[6:7], v[2:3], off offset:128
	v_mul_f32_e32 v2, s15, v59
	v_mul_f32_e32 v3, s14, v59
	v_fma_f32 v2, v58, s14, -v2
	v_fmac_f32_e32 v3, s15, v58
	global_store_dwordx2 v[6:7], v[2:3], off offset:256
	;; [unrolled: 5-line block ×3, first 2 shown]
	v_mul_f32_e32 v2, s15, v51
	v_mul_f32_e32 v3, s14, v51
	v_add_co_u32_e32 v8, vcc, s4, v6
	v_fma_f32 v2, v50, s14, -v2
	v_fmac_f32_e32 v3, s15, v50
	v_addc_co_u32_e32 v9, vcc, v7, v9, vcc
	global_store_dwordx2 v[8:9], v[2:3], off
	v_mul_f32_e32 v2, s15, v49
	v_mul_f32_e32 v3, s14, v49
	v_fma_f32 v2, v48, s14, -v2
	v_fmac_f32_e32 v3, s15, v48
	global_store_dwordx2 v[8:9], v[2:3], off offset:128
	v_mul_f32_e32 v2, s15, v46
	v_mul_f32_e32 v3, s14, v46
	v_fma_f32 v2, v47, s14, -v2
	v_fmac_f32_e32 v3, s15, v47
	global_store_dwordx2 v[8:9], v[2:3], off offset:256
	v_mul_f32_e32 v2, s3, v36
	v_fma_f32 v7, -v37, s2, v2
	v_pk_mul_f32 v[2:3], v[36:37], s[2:3]
	v_add_f32_e32 v6, v2, v3
	v_add_co_u32_e32 v2, vcc, 0x180, v8
	v_addc_co_u32_e32 v3, vcc, 0, v9, vcc
	global_store_dword v[8:9], v7, off offset:384
	s_cbranch_execz .LBB90_7
	s_branch .LBB90_8
.LBB90_6:
                                        ; implicit-def: $vgpr6
                                        ; implicit-def: $vgpr2_vgpr3
.LBB90_7:
	s_mul_i32 s4, s8, s21
	s_mul_hi_u32 s5, s8, s20
	s_add_i32 s5, s5, s4
	s_mul_i32 s4, s8, s20
	s_lshl_b64 s[4:5], s[4:5], 3
	s_add_u32 s6, s16, s4
	s_addc_u32 s7, s17, s5
	v_mul_lo_u32 v6, v5, s18
	v_mul_lo_u32 v7, v4, s19
	v_mad_u64_u32 v[2:3], s[4:5], v4, s18, 0
	v_add3_u32 v3, v3, v7, v6
	v_lshlrev_b64 v[2:3], 3, v[2:3]
	v_mov_b32_e32 v6, s7
	v_add_co_u32_e32 v2, vcc, s6, v2
	v_addc_co_u32_e32 v3, vcc, v6, v3, vcc
	v_lshlrev_b64 v[0:1], 3, v[0:1]
	v_add_co_u32_e32 v2, vcc, v2, v0
	v_addc_co_u32_e32 v3, vcc, v3, v1, vcc
	global_load_dwordx2 v[6:7], v[2:3], off
	v_mul_lo_u32 v8, v5, s0
	v_mul_lo_u32 v9, v4, s1
	v_mad_u64_u32 v[4:5], s[4:5], v4, s0, 0
	v_add3_u32 v5, v5, v9, v8
	v_lshlrev_b64 v[4:5], 3, v[4:5]
	v_mov_b32_e32 v10, s12
	v_add_co_u32_e32 v4, vcc, s9, v4
	v_addc_co_u32_e32 v5, vcc, v10, v5, vcc
	v_add_co_u32_e32 v0, vcc, v4, v0
	v_mul_f32_e32 v11, s15, v79
	v_mul_f32_e32 v12, s14, v79
	v_addc_co_u32_e32 v1, vcc, v5, v1, vcc
	v_fma_f32 v8, v78, s14, -v11
	v_fmac_f32_e32 v12, s15, v78
	s_lshl_b64 s[4:5], s[18:19], 7
	s_lshl_b64 s[0:1], s[0:1], 7
	s_waitcnt vmcnt(0)
	v_mul_f32_e32 v4, s11, v7
	v_mul_f32_e32 v5, s10, v7
	v_fma_f32 v4, v6, s10, -v4
	v_fmac_f32_e32 v5, s11, v6
	v_add_f32_e32 v4, v8, v4
	v_add_f32_e32 v5, v12, v5
	global_store_dwordx2 v[0:1], v[4:5], off
	global_load_dwordx2 v[4:5], v[2:3], off offset:128
	v_mul_f32_e32 v6, s15, v77
	v_mul_f32_e32 v7, s14, v77
	v_fma_f32 v6, v76, s14, -v6
	v_fmac_f32_e32 v7, s15, v76
	s_waitcnt vmcnt(0)
	v_mul_f32_e32 v8, s11, v5
	v_mul_f32_e32 v5, s10, v5
	v_fma_f32 v8, v4, s10, -v8
	v_fmac_f32_e32 v5, s11, v4
	v_add_f32_e32 v4, v6, v8
	v_add_f32_e32 v5, v7, v5
	global_store_dwordx2 v[0:1], v[4:5], off offset:128
	global_load_dwordx2 v[4:5], v[2:3], off offset:256
	v_mul_f32_e32 v6, s15, v75
	v_mul_f32_e32 v7, s14, v75
	v_fma_f32 v6, v74, s14, -v6
	v_fmac_f32_e32 v7, s15, v74
	s_waitcnt vmcnt(0)
	v_mul_f32_e32 v8, s11, v5
	v_mul_f32_e32 v5, s10, v5
	v_fma_f32 v8, v4, s10, -v8
	v_fmac_f32_e32 v5, s11, v4
	v_add_f32_e32 v4, v6, v8
	v_add_f32_e32 v5, v7, v5
	global_store_dwordx2 v[0:1], v[4:5], off offset:256
	global_load_dwordx2 v[4:5], v[2:3], off offset:384
	v_mul_f32_e32 v6, s15, v73
	v_mul_f32_e32 v7, s14, v73
	v_fma_f32 v6, v72, s14, -v6
	v_fmac_f32_e32 v7, s15, v72
	v_mov_b32_e32 v8, s5
	v_add_co_u32_e32 v2, vcc, s4, v2
	v_addc_co_u32_e32 v3, vcc, v3, v8, vcc
	s_waitcnt vmcnt(0)
	v_mul_f32_e32 v9, s11, v5
	v_mul_f32_e32 v5, s10, v5
	v_fma_f32 v9, v4, s10, -v9
	v_fmac_f32_e32 v5, s11, v4
	v_add_f32_e32 v4, v6, v9
	v_add_f32_e32 v5, v7, v5
	global_store_dwordx2 v[0:1], v[4:5], off offset:384
	global_load_dwordx2 v[4:5], v[2:3], off
	v_mul_f32_e32 v6, s15, v71
	v_mul_f32_e32 v7, s14, v71
	v_fma_f32 v6, v70, s14, -v6
	v_fmac_f32_e32 v7, s15, v70
	v_mov_b32_e32 v9, s1
	v_add_co_u32_e32 v0, vcc, s0, v0
	v_addc_co_u32_e32 v1, vcc, v1, v9, vcc
	s_waitcnt vmcnt(0)
	v_mul_f32_e32 v10, s11, v5
	v_mul_f32_e32 v5, s10, v5
	v_fma_f32 v10, v4, s10, -v10
	v_fmac_f32_e32 v5, s11, v4
	v_add_f32_e32 v4, v6, v10
	v_add_f32_e32 v5, v7, v5
	global_store_dwordx2 v[0:1], v[4:5], off
	global_load_dwordx2 v[4:5], v[2:3], off offset:128
	v_mul_f32_e32 v6, s15, v69
	v_mul_f32_e32 v7, s14, v69
	v_fma_f32 v6, v68, s14, -v6
	v_fmac_f32_e32 v7, s15, v68
	s_waitcnt vmcnt(0)
	v_mul_f32_e32 v10, s11, v5
	v_mul_f32_e32 v5, s10, v5
	v_fma_f32 v10, v4, s10, -v10
	v_fmac_f32_e32 v5, s11, v4
	v_add_f32_e32 v4, v6, v10
	v_add_f32_e32 v5, v7, v5
	global_store_dwordx2 v[0:1], v[4:5], off offset:128
	global_load_dwordx2 v[4:5], v[2:3], off offset:256
	v_mul_f32_e32 v6, s15, v67
	v_mul_f32_e32 v7, s14, v67
	v_fma_f32 v6, v66, s14, -v6
	v_fmac_f32_e32 v7, s15, v66
	s_waitcnt vmcnt(0)
	v_mul_f32_e32 v10, s11, v5
	v_mul_f32_e32 v5, s10, v5
	v_fma_f32 v10, v4, s10, -v10
	v_fmac_f32_e32 v5, s11, v4
	v_add_f32_e32 v4, v6, v10
	v_add_f32_e32 v5, v7, v5
	global_store_dwordx2 v[0:1], v[4:5], off offset:256
	global_load_dwordx2 v[4:5], v[2:3], off offset:384
	v_mul_f32_e32 v6, s15, v65
	v_mul_f32_e32 v7, s14, v65
	v_fma_f32 v6, v64, s14, -v6
	v_fmac_f32_e32 v7, s15, v64
	v_add_co_u32_e32 v2, vcc, s4, v2
	v_addc_co_u32_e32 v3, vcc, v3, v8, vcc
	s_waitcnt vmcnt(0)
	v_mul_f32_e32 v10, s11, v5
	v_mul_f32_e32 v5, s10, v5
	v_fma_f32 v10, v4, s10, -v10
	v_fmac_f32_e32 v5, s11, v4
	v_add_f32_e32 v4, v6, v10
	v_add_f32_e32 v5, v7, v5
	global_store_dwordx2 v[0:1], v[4:5], off offset:384
	global_load_dwordx2 v[4:5], v[2:3], off
	v_mul_f32_e32 v6, s15, v63
	v_mul_f32_e32 v7, s14, v63
	v_fma_f32 v6, v62, s14, -v6
	v_fmac_f32_e32 v7, s15, v62
	v_add_co_u32_e32 v0, vcc, s0, v0
	v_addc_co_u32_e32 v1, vcc, v1, v9, vcc
	s_waitcnt vmcnt(0)
	v_mul_f32_e32 v10, s11, v5
	v_mul_f32_e32 v5, s10, v5
	v_fma_f32 v10, v4, s10, -v10
	v_fmac_f32_e32 v5, s11, v4
	v_add_f32_e32 v4, v6, v10
	v_add_f32_e32 v5, v7, v5
	global_store_dwordx2 v[0:1], v[4:5], off
	global_load_dwordx2 v[4:5], v[2:3], off offset:128
	v_mul_f32_e32 v6, s15, v61
	v_mul_f32_e32 v7, s14, v61
	v_fma_f32 v6, v60, s14, -v6
	v_fmac_f32_e32 v7, s15, v60
	s_waitcnt vmcnt(0)
	v_mul_f32_e32 v10, s11, v5
	v_mul_f32_e32 v5, s10, v5
	v_fma_f32 v10, v4, s10, -v10
	v_fmac_f32_e32 v5, s11, v4
	v_add_f32_e32 v4, v6, v10
	v_add_f32_e32 v5, v7, v5
	global_store_dwordx2 v[0:1], v[4:5], off offset:128
	global_load_dwordx2 v[4:5], v[2:3], off offset:256
	v_mul_f32_e32 v6, s15, v59
	v_mul_f32_e32 v7, s14, v59
	v_fma_f32 v6, v58, s14, -v6
	v_fmac_f32_e32 v7, s15, v58
	s_waitcnt vmcnt(0)
	v_mul_f32_e32 v10, s11, v5
	v_mul_f32_e32 v5, s10, v5
	v_fma_f32 v10, v4, s10, -v10
	v_fmac_f32_e32 v5, s11, v4
	v_add_f32_e32 v4, v6, v10
	v_add_f32_e32 v5, v7, v5
	global_store_dwordx2 v[0:1], v[4:5], off offset:256
	global_load_dwordx2 v[4:5], v[2:3], off offset:384
	v_add_co_u32_e32 v2, vcc, s4, v2
	v_mul_f32_e32 v6, s15, v57
	v_mul_f32_e32 v7, s14, v57
	v_addc_co_u32_e32 v3, vcc, v3, v8, vcc
	v_fma_f32 v6, v56, s14, -v6
	v_fmac_f32_e32 v7, s15, v56
	s_waitcnt vmcnt(0)
	v_mul_f32_e32 v8, s11, v5
	v_mul_f32_e32 v5, s10, v5
	v_fma_f32 v8, v4, s10, -v8
	v_fmac_f32_e32 v5, s11, v4
	v_add_f32_e32 v4, v6, v8
	v_add_f32_e32 v5, v7, v5
	global_store_dwordx2 v[0:1], v[4:5], off offset:384
	global_load_dwordx2 v[4:5], v[2:3], off
	v_mul_f32_e32 v6, s15, v51
	v_mul_f32_e32 v7, s14, v51
	v_fma_f32 v6, v50, s14, -v6
	v_fmac_f32_e32 v7, s15, v50
	v_add_co_u32_e32 v0, vcc, s0, v0
	v_addc_co_u32_e32 v1, vcc, v1, v9, vcc
	s_waitcnt vmcnt(0)
	v_mul_f32_e32 v8, s11, v5
	v_mul_f32_e32 v5, s10, v5
	v_fma_f32 v8, v4, s10, -v8
	v_fmac_f32_e32 v5, s11, v4
	v_add_f32_e32 v4, v6, v8
	v_add_f32_e32 v5, v7, v5
	global_store_dwordx2 v[0:1], v[4:5], off
	global_load_dwordx2 v[4:5], v[2:3], off offset:128
	v_mul_f32_e32 v6, s15, v49
	v_mul_f32_e32 v7, s14, v49
	v_fma_f32 v6, v48, s14, -v6
	v_fmac_f32_e32 v7, s15, v48
	s_waitcnt vmcnt(0)
	v_mul_f32_e32 v8, s11, v5
	v_mul_f32_e32 v5, s10, v5
	v_fma_f32 v8, v4, s10, -v8
	v_fmac_f32_e32 v5, s11, v4
	v_add_f32_e32 v4, v6, v8
	v_add_f32_e32 v5, v7, v5
	global_store_dwordx2 v[0:1], v[4:5], off offset:128
	global_load_dwordx2 v[4:5], v[2:3], off offset:256
	v_mul_f32_e32 v6, s15, v46
	v_mul_f32_e32 v7, s14, v46
	v_fma_f32 v6, v47, s14, -v6
	v_fmac_f32_e32 v7, s15, v47
	s_waitcnt vmcnt(0)
	v_mul_f32_e32 v8, s11, v5
	v_mul_f32_e32 v5, s10, v5
	v_fma_f32 v8, v4, s10, -v8
	v_fmac_f32_e32 v5, s11, v4
	v_add_f32_e32 v4, v6, v8
	v_add_f32_e32 v5, v7, v5
	global_store_dwordx2 v[0:1], v[4:5], off offset:256
	global_load_dwordx2 v[4:5], v[2:3], off offset:384
	v_mul_f32_e32 v6, s3, v36
	v_pk_mul_f32 v[2:3], v[36:37], s[2:3]
	v_fma_f32 v8, -v37, s2, v6
	v_add_f32_e32 v3, v2, v3
	v_add_co_u32_e32 v2, vcc, 0x180, v0
	s_waitcnt vmcnt(0)
	v_pk_mul_f32 v[6:7], v[4:5], s[10:11] op_sel:[0,1] op_sel_hi:[1,0]
	v_mul_f32_e32 v4, s10, v4
	v_fma_f32 v4, -v5, s11, v4
	v_add_f32_e32 v5, v6, v7
	v_add_f32_e32 v4, v8, v4
	;; [unrolled: 1-line block ×3, first 2 shown]
	v_addc_co_u32_e32 v3, vcc, 0, v1, vcc
	global_store_dword v[0:1], v4, off offset:384
.LBB90_8:
	global_store_dword v[2:3], v6, off offset:4
	s_endpgm
	.section	.rodata,"a",@progbits
	.p2align	6, 0x0
	.amdhsa_kernel _ZN12_GLOBAL__N_127rocblas_gemm_batched_kernelI19rocblas_complex_numIfELi16ELi16ELi64ELi64ELi4ELi64ELi4ELi4ELi64ELc84ELc78EKS2_S3_S2_EEvlllT_PT11_llS6_llS4_PT12_llPT13_lli
		.amdhsa_group_segment_fixed_size 4096
		.amdhsa_private_segment_fixed_size 0
		.amdhsa_kernarg_size 140
		.amdhsa_user_sgpr_count 6
		.amdhsa_user_sgpr_private_segment_buffer 1
		.amdhsa_user_sgpr_dispatch_ptr 0
		.amdhsa_user_sgpr_queue_ptr 0
		.amdhsa_user_sgpr_kernarg_segment_ptr 1
		.amdhsa_user_sgpr_dispatch_id 0
		.amdhsa_user_sgpr_flat_scratch_init 0
		.amdhsa_user_sgpr_kernarg_preload_length 0
		.amdhsa_user_sgpr_kernarg_preload_offset 0
		.amdhsa_user_sgpr_private_segment_size 0
		.amdhsa_uses_dynamic_stack 0
		.amdhsa_system_sgpr_private_segment_wavefront_offset 0
		.amdhsa_system_sgpr_workgroup_id_x 1
		.amdhsa_system_sgpr_workgroup_id_y 1
		.amdhsa_system_sgpr_workgroup_id_z 1
		.amdhsa_system_sgpr_workgroup_info 0
		.amdhsa_system_vgpr_workitem_id 1
		.amdhsa_next_free_vgpr 88
		.amdhsa_next_free_sgpr 30
		.amdhsa_accum_offset 88
		.amdhsa_reserve_vcc 1
		.amdhsa_reserve_flat_scratch 0
		.amdhsa_float_round_mode_32 0
		.amdhsa_float_round_mode_16_64 0
		.amdhsa_float_denorm_mode_32 3
		.amdhsa_float_denorm_mode_16_64 3
		.amdhsa_dx10_clamp 1
		.amdhsa_ieee_mode 1
		.amdhsa_fp16_overflow 0
		.amdhsa_tg_split 0
		.amdhsa_exception_fp_ieee_invalid_op 0
		.amdhsa_exception_fp_denorm_src 0
		.amdhsa_exception_fp_ieee_div_zero 0
		.amdhsa_exception_fp_ieee_overflow 0
		.amdhsa_exception_fp_ieee_underflow 0
		.amdhsa_exception_fp_ieee_inexact 0
		.amdhsa_exception_int_div_zero 0
	.end_amdhsa_kernel
	.section	.text._ZN12_GLOBAL__N_127rocblas_gemm_batched_kernelI19rocblas_complex_numIfELi16ELi16ELi64ELi64ELi4ELi64ELi4ELi4ELi64ELc84ELc78EKS2_S3_S2_EEvlllT_PT11_llS6_llS4_PT12_llPT13_lli,"axG",@progbits,_ZN12_GLOBAL__N_127rocblas_gemm_batched_kernelI19rocblas_complex_numIfELi16ELi16ELi64ELi64ELi4ELi64ELi4ELi4ELi64ELc84ELc78EKS2_S3_S2_EEvlllT_PT11_llS6_llS4_PT12_llPT13_lli,comdat
.Lfunc_end90:
	.size	_ZN12_GLOBAL__N_127rocblas_gemm_batched_kernelI19rocblas_complex_numIfELi16ELi16ELi64ELi64ELi4ELi64ELi4ELi4ELi64ELc84ELc78EKS2_S3_S2_EEvlllT_PT11_llS6_llS4_PT12_llPT13_lli, .Lfunc_end90-_ZN12_GLOBAL__N_127rocblas_gemm_batched_kernelI19rocblas_complex_numIfELi16ELi16ELi64ELi64ELi4ELi64ELi4ELi4ELi64ELc84ELc78EKS2_S3_S2_EEvlllT_PT11_llS6_llS4_PT12_llPT13_lli
                                        ; -- End function
	.section	.AMDGPU.csdata,"",@progbits
; Kernel info:
; codeLenInByte = 4732
; NumSgprs: 34
; NumVgprs: 88
; NumAgprs: 0
; TotalNumVgprs: 88
; ScratchSize: 0
; MemoryBound: 0
; FloatMode: 240
; IeeeMode: 1
; LDSByteSize: 4096 bytes/workgroup (compile time only)
; SGPRBlocks: 4
; VGPRBlocks: 10
; NumSGPRsForWavesPerEU: 34
; NumVGPRsForWavesPerEU: 88
; AccumOffset: 88
; Occupancy: 5
; WaveLimiterHint : 1
; COMPUTE_PGM_RSRC2:SCRATCH_EN: 0
; COMPUTE_PGM_RSRC2:USER_SGPR: 6
; COMPUTE_PGM_RSRC2:TRAP_HANDLER: 0
; COMPUTE_PGM_RSRC2:TGID_X_EN: 1
; COMPUTE_PGM_RSRC2:TGID_Y_EN: 1
; COMPUTE_PGM_RSRC2:TGID_Z_EN: 1
; COMPUTE_PGM_RSRC2:TIDIG_COMP_CNT: 1
; COMPUTE_PGM_RSRC3_GFX90A:ACCUM_OFFSET: 21
; COMPUTE_PGM_RSRC3_GFX90A:TG_SPLIT: 0
	.section	.text._ZN12_GLOBAL__N_127rocblas_gemm_batched_kernelI19rocblas_complex_numIfELi16ELi16ELi64ELi64ELi4ELi64ELi4ELi4ELi64ELc78ELc84EKS2_S3_S2_EEvlllT_PT11_llS6_llS4_PT12_llPT13_lli,"axG",@progbits,_ZN12_GLOBAL__N_127rocblas_gemm_batched_kernelI19rocblas_complex_numIfELi16ELi16ELi64ELi64ELi4ELi64ELi4ELi4ELi64ELc78ELc84EKS2_S3_S2_EEvlllT_PT11_llS6_llS4_PT12_llPT13_lli,comdat
	.globl	_ZN12_GLOBAL__N_127rocblas_gemm_batched_kernelI19rocblas_complex_numIfELi16ELi16ELi64ELi64ELi4ELi64ELi4ELi4ELi64ELc78ELc84EKS2_S3_S2_EEvlllT_PT11_llS6_llS4_PT12_llPT13_lli ; -- Begin function _ZN12_GLOBAL__N_127rocblas_gemm_batched_kernelI19rocblas_complex_numIfELi16ELi16ELi64ELi64ELi4ELi64ELi4ELi4ELi64ELc78ELc84EKS2_S3_S2_EEvlllT_PT11_llS6_llS4_PT12_llPT13_lli
	.p2align	8
	.type	_ZN12_GLOBAL__N_127rocblas_gemm_batched_kernelI19rocblas_complex_numIfELi16ELi16ELi64ELi64ELi4ELi64ELi4ELi4ELi64ELc78ELc84EKS2_S3_S2_EEvlllT_PT11_llS6_llS4_PT12_llPT13_lli,@function
_ZN12_GLOBAL__N_127rocblas_gemm_batched_kernelI19rocblas_complex_numIfELi16ELi16ELi64ELi64ELi4ELi64ELi4ELi4ELi64ELc78ELc84EKS2_S3_S2_EEvlllT_PT11_llS6_llS4_PT12_llPT13_lli: ; @_ZN12_GLOBAL__N_127rocblas_gemm_batched_kernelI19rocblas_complex_numIfELi16ELi16ELi64ELi64ELi4ELi64ELi4ELi4ELi64ELc78ELc84EKS2_S3_S2_EEvlllT_PT11_llS6_llS4_PT12_llPT13_lli
; %bb.0:
	s_load_dwordx16 s[12:27], s[4:5], 0x10
	s_load_dwordx2 s[10:11], s[4:5], 0x50
	s_mov_b32 s0, s7
	s_ashr_i32 s1, s0, 31
	s_ashr_i32 s7, s6, 31
	s_lshl_b64 s[28:29], s[0:1], 6
	s_waitcnt lgkmcnt(0)
	v_cmp_lt_i64_e64 s[0:1], s[12:13], 1
	v_bfe_u32 v45, v0, 10, 10
	v_and_b32_e32 v44, 0x3ff, v0
	s_lshl_b64 s[6:7], s[6:7], 6
	s_and_b64 vcc, exec, s[0:1]
	s_cbranch_vccnz .LBB91_3
; %bb.1:
	v_lshl_add_u32 v4, v45, 4, v44
	v_lshrrev_b32_e32 v5, 2, v4
	v_mov_b32_e32 v1, s29
	v_add_co_u32_e32 v0, vcc, s28, v5
	v_addc_co_u32_e32 v1, vcc, 0, v1, vcc
	v_and_b32_e32 v6, 3, v44
	v_mad_u64_u32 v[0:1], s[0:1], v6, s24, v[0:1]
	v_mov_b32_e32 v2, v1
	v_mad_u64_u32 v[2:3], s[0:1], v6, s25, v[2:3]
	v_and_b32_e32 v7, 63, v4
	v_mov_b32_e32 v1, v2
	v_lshrrev_b32_e32 v8, 6, v4
	v_lshlrev_b32_e32 v2, 3, v7
	v_lshl_or_b32 v52, v8, 9, v2
	v_lshlrev_b32_e32 v2, 3, v6
	v_lshl_or_b32 v2, v5, 5, v2
	v_add_u32_e32 v53, 0x800, v2
	v_mov_b32_e32 v2, 0x800
	v_lshl_add_u32 v55, v45, 5, v2
	v_pk_mov_b32 v[2:3], s[6:7], s[6:7] op_sel:[0,1]
	v_mad_u64_u32 v[2:3], s[2:3], v8, s18, v[2:3]
	s_mul_i32 s0, s21, s8
	s_mul_hi_u32 s1, s20, s8
	v_mov_b32_e32 v4, v3
	s_add_i32 s1, s1, s0
	s_mul_i32 s0, s20, s8
	v_mad_u64_u32 v[4:5], s[2:3], v8, s19, v[4:5]
	s_lshl_b64 s[0:1], s[0:1], 3
	v_mov_b32_e32 v3, v4
	v_add_co_u32_e32 v2, vcc, v2, v7
	v_addc_co_u32_e32 v3, vcc, 0, v3, vcc
	s_add_u32 s0, s16, s0
	s_mul_i32 s2, s27, s8
	s_mul_hi_u32 s3, s26, s8
	v_lshlrev_b64 v[2:3], 3, v[2:3]
	s_addc_u32 s1, s17, s1
	s_add_i32 s3, s3, s2
	s_mul_i32 s2, s26, s8
	v_mov_b32_e32 v4, s1
	v_add_co_u32_e32 v38, vcc, s0, v2
	s_lshl_b64 s[0:1], s[18:19], 5
	s_lshl_b64 s[2:3], s[2:3], 3
	s_add_u32 s2, s22, s2
	v_addc_co_u32_e32 v39, vcc, v4, v3, vcc
	v_lshlrev_b64 v[0:1], 3, v[0:1]
	s_addc_u32 s3, s23, s3
	v_mov_b32_e32 v2, s3
	v_add_co_u32_e32 v40, vcc, s2, v0
	s_lshl_b64 s[2:3], s[24:25], 5
	v_mov_b32_e32 v46, 0
	v_lshlrev_b32_e32 v54, 3, v44
	v_addc_co_u32_e32 v41, vcc, v2, v1, vcc
	s_mov_b64 s[16:17], 0
	v_mov_b32_e32 v56, s1
	v_mov_b32_e32 v57, s3
	v_pk_mov_b32 v[42:43], s[12:13], s[12:13] op_sel:[0,1]
	v_mov_b32_e32 v47, 0
	v_mov_b32_e32 v49, 0
	;; [unrolled: 1-line block ×31, first 2 shown]
.LBB91_2:                               ; =>This Inner Loop Header: Depth=1
	global_load_dwordx2 v[0:1], v[38:39], off
	v_add_co_u32_e32 v38, vcc, s0, v38
	v_addc_co_u32_e32 v39, vcc, v39, v56, vcc
	s_add_u32 s16, s16, 4
	s_addc_u32 s17, s17, 0
	s_waitcnt vmcnt(0)
	ds_write_b64 v52, v[0:1]
	global_load_dwordx2 v[0:1], v[40:41], off
	v_add_co_u32_e32 v40, vcc, s2, v40
	v_addc_co_u32_e32 v41, vcc, v41, v57, vcc
	v_cmp_lt_i64_e32 vcc, s[16:17], v[42:43]
	s_and_b64 vcc, exec, vcc
	s_waitcnt vmcnt(0)
	ds_write_b64 v53, v[0:1]
	s_waitcnt lgkmcnt(0)
	s_barrier
	ds_read_b128 v[0:3], v55
	ds_read_b128 v[32:35], v55 offset:16
	ds_read2_b64 v[8:11], v54 offset1:16
	ds_read2_b64 v[12:15], v54 offset0:32 offset1:48
	s_waitcnt lgkmcnt(1)
	v_mul_f32_e32 v4, v1, v9
	v_fma_f32 v4, v0, v8, -v4
	v_mul_f32_e32 v5, v0, v9
	v_add_f32_e32 v20, v80, v4
	v_mul_f32_e32 v4, v1, v11
	v_fmac_f32_e32 v5, v1, v8
	v_fma_f32 v4, v0, v10, -v4
	v_add_f32_e32 v21, v81, v5
	v_mul_f32_e32 v5, v0, v11
	v_add_f32_e32 v22, v78, v4
	s_waitcnt lgkmcnt(0)
	v_mul_f32_e32 v4, v1, v13
	v_fmac_f32_e32 v5, v1, v10
	v_fma_f32 v4, v0, v12, -v4
	v_add_f32_e32 v23, v79, v5
	v_mul_f32_e32 v5, v0, v13
	v_add_f32_e32 v76, v76, v4
	v_mul_f32_e32 v4, v1, v15
	v_fmac_f32_e32 v5, v1, v12
	v_fma_f32 v4, v0, v14, -v4
	v_mul_f32_e32 v0, v0, v15
	v_add_f32_e32 v77, v77, v5
	v_fmac_f32_e32 v0, v1, v14
	v_add_f32_e32 v1, v74, v4
	ds_read_b128 v[4:7], v55 offset:512
	ds_read_b128 v[80:83], v55 offset:1040
	v_add_f32_e32 v0, v75, v0
	s_waitcnt lgkmcnt(1)
	v_mul_f32_e32 v16, v5, v9
	v_fma_f32 v16, v4, v8, -v16
	v_mul_f32_e32 v17, v4, v9
	v_add_f32_e32 v72, v72, v16
	v_mul_f32_e32 v16, v5, v11
	v_fmac_f32_e32 v17, v5, v8
	v_fma_f32 v16, v4, v10, -v16
	v_add_f32_e32 v73, v73, v17
	v_mul_f32_e32 v17, v4, v11
	v_add_f32_e32 v70, v70, v16
	v_mul_f32_e32 v16, v5, v13
	v_fmac_f32_e32 v17, v5, v10
	v_fma_f32 v16, v4, v12, -v16
	v_add_f32_e32 v71, v71, v17
	v_mul_f32_e32 v17, v4, v13
	v_add_f32_e32 v68, v68, v16
	v_mul_f32_e32 v16, v5, v15
	v_fmac_f32_e32 v17, v5, v12
	v_fma_f32 v16, v4, v14, -v16
	v_mul_f32_e32 v4, v4, v15
	v_add_f32_e32 v69, v69, v17
	v_fmac_f32_e32 v4, v5, v14
	v_add_f32_e32 v5, v66, v16
	ds_read_b128 v[16:19], v55 offset:1024
	v_add_f32_e32 v4, v67, v4
	s_waitcnt lgkmcnt(0)
	v_mul_f32_e32 v24, v17, v9
	v_fma_f32 v24, v16, v8, -v24
	v_mul_f32_e32 v25, v16, v9
	v_add_f32_e32 v64, v64, v24
	v_mul_f32_e32 v24, v17, v11
	v_fmac_f32_e32 v25, v17, v8
	v_fma_f32 v24, v16, v10, -v24
	v_add_f32_e32 v65, v65, v25
	v_mul_f32_e32 v25, v16, v11
	v_add_f32_e32 v62, v62, v24
	v_mul_f32_e32 v24, v17, v13
	v_fmac_f32_e32 v25, v17, v10
	v_fma_f32 v24, v16, v12, -v24
	v_add_f32_e32 v63, v63, v25
	v_mul_f32_e32 v25, v16, v13
	v_add_f32_e32 v60, v60, v24
	v_mul_f32_e32 v24, v17, v15
	v_fmac_f32_e32 v25, v17, v12
	v_fma_f32 v24, v16, v14, -v24
	v_mul_f32_e32 v16, v16, v15
	v_add_f32_e32 v61, v61, v25
	v_fmac_f32_e32 v16, v17, v14
	v_add_f32_e32 v17, v58, v24
	ds_read2_b64 v[24:27], v54 offset0:64 offset1:80
	v_add_f32_e32 v16, v59, v16
	s_waitcnt lgkmcnt(0)
	v_mul_f32_e32 v28, v3, v25
	v_mul_f32_e32 v29, v2, v25
	v_fma_f32 v28, v2, v24, -v28
	v_fmac_f32_e32 v29, v3, v24
	v_add_f32_e32 v20, v20, v28
	v_add_f32_e32 v21, v21, v29
	v_mul_f32_e32 v28, v3, v27
	v_mul_f32_e32 v29, v2, v27
	v_fma_f32 v28, v2, v26, -v28
	v_fmac_f32_e32 v29, v3, v26
	v_add_f32_e32 v22, v22, v28
	v_add_f32_e32 v23, v23, v29
	ds_read2_b64 v[28:31], v54 offset0:96 offset1:112
	s_waitcnt lgkmcnt(0)
	v_mul_f32_e32 v58, v3, v29
	v_mul_f32_e32 v66, v3, v31
	v_fma_f32 v58, v2, v28, -v58
	v_mul_f32_e32 v59, v2, v29
	v_fma_f32 v66, v2, v30, -v66
	v_mul_f32_e32 v2, v2, v31
	v_fmac_f32_e32 v2, v3, v30
	v_add_f32_e32 v66, v1, v66
	v_add_f32_e32 v67, v0, v2
	v_mul_f32_e32 v0, v7, v25
	v_mul_f32_e32 v1, v6, v25
	v_fma_f32 v0, v6, v24, -v0
	v_fmac_f32_e32 v1, v7, v24
	v_add_f32_e32 v72, v72, v0
	v_add_f32_e32 v73, v73, v1
	v_mul_f32_e32 v0, v7, v27
	v_mul_f32_e32 v1, v6, v27
	v_fma_f32 v0, v6, v26, -v0
	v_fmac_f32_e32 v1, v7, v26
	v_add_f32_e32 v70, v70, v0
	v_add_f32_e32 v71, v71, v1
	v_mul_f32_e32 v0, v7, v29
	v_mul_f32_e32 v1, v6, v29
	v_fma_f32 v0, v6, v28, -v0
	v_fmac_f32_e32 v1, v7, v28
	v_add_f32_e32 v68, v68, v0
	v_add_f32_e32 v69, v69, v1
	v_mul_f32_e32 v0, v7, v31
	v_mul_f32_e32 v1, v6, v31
	v_fma_f32 v0, v6, v30, -v0
	v_fmac_f32_e32 v1, v7, v30
	v_add_f32_e32 v74, v5, v0
	v_add_f32_e32 v75, v4, v1
	v_mul_f32_e32 v0, v19, v25
	v_mul_f32_e32 v1, v18, v25
	v_fma_f32 v0, v18, v24, -v0
	v_fmac_f32_e32 v1, v19, v24
	v_add_f32_e32 v64, v64, v0
	v_add_f32_e32 v65, v65, v1
	v_mul_f32_e32 v0, v19, v27
	v_mul_f32_e32 v1, v18, v27
	v_fma_f32 v0, v18, v26, -v0
	v_fmac_f32_e32 v1, v19, v26
	ds_read2_b64 v[4:7], v54 offset0:128 offset1:144
	v_add_f32_e32 v62, v62, v0
	v_add_f32_e32 v63, v63, v1
	v_mul_f32_e32 v0, v19, v29
	v_mul_f32_e32 v1, v18, v29
	v_fmac_f32_e32 v59, v3, v28
	v_fma_f32 v0, v18, v28, -v0
	v_fmac_f32_e32 v1, v19, v28
	v_add_f32_e32 v58, v76, v58
	v_add_f32_e32 v59, v77, v59
	;; [unrolled: 1-line block ×4, first 2 shown]
	v_mul_f32_e32 v0, v19, v31
	v_mul_f32_e32 v1, v18, v31
	v_fma_f32 v0, v18, v30, -v0
	v_fmac_f32_e32 v1, v19, v30
	v_add_f32_e32 v17, v17, v0
	v_add_f32_e32 v16, v16, v1
	s_waitcnt lgkmcnt(0)
	v_mul_f32_e32 v0, v33, v5
	v_mul_f32_e32 v1, v32, v5
	v_fma_f32 v0, v32, v4, -v0
	v_fmac_f32_e32 v1, v33, v4
	v_add_f32_e32 v18, v20, v0
	v_add_f32_e32 v19, v21, v1
	v_mul_f32_e32 v0, v33, v7
	v_mul_f32_e32 v1, v32, v7
	v_fma_f32 v0, v32, v6, -v0
	v_fmac_f32_e32 v1, v33, v6
	v_add_f32_e32 v78, v22, v0
	v_add_f32_e32 v79, v23, v1
	ds_read2_b64 v[0:3], v54 offset0:160 offset1:176
	s_waitcnt lgkmcnt(0)
	v_mul_f32_e32 v20, v33, v1
	v_mul_f32_e32 v21, v32, v1
	v_fma_f32 v20, v32, v0, -v20
	v_fmac_f32_e32 v21, v33, v0
	v_add_f32_e32 v84, v58, v20
	v_add_f32_e32 v85, v59, v21
	ds_read_b128 v[58:61], v55 offset:528
	v_mul_f32_e32 v20, v33, v3
	v_mul_f32_e32 v21, v32, v3
	v_fma_f32 v20, v32, v2, -v20
	v_fmac_f32_e32 v21, v33, v2
	v_add_f32_e32 v32, v66, v20
	v_add_f32_e32 v33, v67, v21
	s_waitcnt lgkmcnt(0)
	v_mul_f32_e32 v20, v59, v5
	v_mul_f32_e32 v21, v58, v5
	v_fma_f32 v20, v58, v4, -v20
	v_fmac_f32_e32 v21, v59, v4
	v_add_f32_e32 v66, v72, v20
	v_add_f32_e32 v67, v73, v21
	v_mul_f32_e32 v20, v59, v7
	v_mul_f32_e32 v21, v58, v7
	v_fma_f32 v20, v58, v6, -v20
	v_fmac_f32_e32 v21, v59, v6
	v_add_f32_e32 v70, v70, v20
	v_add_f32_e32 v71, v71, v21
	;; [unrolled: 6-line block ×8, first 2 shown]
	ds_read2_b64 v[20:23], v54 offset0:192 offset1:208
	s_waitcnt lgkmcnt(0)
	v_mul_f32_e32 v16, v35, v21
	v_mul_f32_e32 v17, v34, v21
	v_fma_f32 v16, v34, v20, -v16
	v_fmac_f32_e32 v17, v35, v20
	v_add_f32_e32 v80, v18, v16
	v_add_f32_e32 v81, v19, v17
	v_mul_f32_e32 v16, v35, v23
	v_mul_f32_e32 v17, v34, v23
	v_fma_f32 v16, v34, v22, -v16
	v_fmac_f32_e32 v17, v35, v22
	v_add_f32_e32 v78, v78, v16
	v_add_f32_e32 v79, v79, v17
	ds_read2_b64 v[16:19], v54 offset0:224 offset1:240
	s_waitcnt lgkmcnt(0)
	v_mul_f32_e32 v72, v35, v17
	v_fma_f32 v72, v34, v16, -v72
	v_add_f32_e32 v76, v84, v72
	v_mul_f32_e32 v72, v35, v19
	v_mul_f32_e32 v73, v34, v17
	v_fma_f32 v72, v34, v18, -v72
	v_mul_f32_e32 v34, v34, v19
	v_fmac_f32_e32 v34, v35, v18
	v_add_f32_e32 v74, v32, v72
	v_add_f32_e32 v75, v33, v34
	v_mul_f32_e32 v32, v61, v21
	v_mul_f32_e32 v33, v60, v21
	v_fmac_f32_e32 v73, v35, v16
	v_fma_f32 v32, v60, v20, -v32
	v_fmac_f32_e32 v33, v61, v20
	v_add_f32_e32 v77, v85, v73
	v_add_f32_e32 v72, v66, v32
	;; [unrolled: 1-line block ×3, first 2 shown]
	v_mul_f32_e32 v32, v61, v23
	v_mul_f32_e32 v33, v60, v23
	v_fma_f32 v32, v60, v22, -v32
	v_fmac_f32_e32 v33, v61, v22
	v_add_f32_e32 v70, v70, v32
	v_add_f32_e32 v71, v71, v33
	v_mul_f32_e32 v32, v61, v17
	v_mul_f32_e32 v33, v60, v17
	v_fma_f32 v32, v60, v16, -v32
	v_fmac_f32_e32 v33, v61, v16
	v_add_f32_e32 v68, v68, v32
	v_add_f32_e32 v69, v69, v33
	;; [unrolled: 6-line block ×7, first 2 shown]
	ds_read_b128 v[32:35], v55 offset:1536
	s_waitcnt lgkmcnt(0)
	v_mul_f32_e32 v82, v33, v9
	v_mul_f32_e32 v9, v32, v9
	v_fmac_f32_e32 v9, v33, v8
	v_fma_f32 v82, v32, v8, -v82
	v_add_f32_e32 v51, v51, v9
	v_mul_f32_e32 v8, v33, v11
	v_mul_f32_e32 v9, v32, v11
	v_fma_f32 v8, v32, v10, -v8
	v_fmac_f32_e32 v9, v33, v10
	v_add_f32_e32 v48, v48, v8
	v_add_f32_e32 v49, v49, v9
	v_mul_f32_e32 v8, v33, v13
	v_mul_f32_e32 v9, v32, v13
	v_fma_f32 v8, v32, v12, -v8
	v_fmac_f32_e32 v9, v33, v12
	v_add_f32_e32 v12, v47, v8
	v_add_f32_e32 v13, v46, v9
	v_pk_mul_f32 v[8:9], v[32:33], v[14:15] op_sel:[0,1]
	v_pk_fma_f32 v[10:11], v[32:33], v[14:15], v[8:9] op_sel:[0,0,1] op_sel_hi:[1,1,0] neg_lo:[0,0,1] neg_hi:[0,0,1]
	v_pk_fma_f32 v[8:9], v[32:33], v[14:15], v[8:9] op_sel:[0,0,1] op_sel_hi:[1,0,0]
	v_mov_b32_e32 v11, v9
	v_pk_add_f32 v[8:9], v[36:37], v[10:11]
	v_mul_f32_e32 v10, v35, v25
	v_mul_f32_e32 v11, v34, v25
	v_add_f32_e32 v50, v50, v82
	v_fma_f32 v10, v34, v24, -v10
	v_fmac_f32_e32 v11, v35, v24
	v_add_f32_e32 v32, v50, v10
	v_add_f32_e32 v33, v51, v11
	v_mul_f32_e32 v10, v35, v27
	v_mul_f32_e32 v11, v34, v27
	v_fma_f32 v10, v34, v26, -v10
	v_fmac_f32_e32 v11, v35, v26
	v_add_f32_e32 v24, v48, v10
	v_add_f32_e32 v25, v49, v11
	v_mul_f32_e32 v10, v35, v29
	v_mul_f32_e32 v11, v34, v29
	v_fma_f32 v10, v34, v28, -v10
	v_fmac_f32_e32 v11, v35, v28
	v_add_f32_e32 v14, v12, v10
	v_add_f32_e32 v15, v13, v11
	v_pk_mul_f32 v[10:11], v[34:35], v[30:31] op_sel:[0,1]
	v_pk_fma_f32 v[12:13], v[34:35], v[30:31], v[10:11] op_sel:[0,0,1] op_sel_hi:[1,1,0] neg_lo:[0,0,1] neg_hi:[0,0,1]
	v_pk_fma_f32 v[10:11], v[34:35], v[30:31], v[10:11] op_sel:[0,0,1] op_sel_hi:[1,0,0]
	v_mov_b32_e32 v13, v11
	v_pk_add_f32 v[12:13], v[8:9], v[12:13]
	ds_read_b128 v[8:11], v55 offset:1552
	s_waitcnt lgkmcnt(0)
	s_barrier
	v_mul_f32_e32 v26, v9, v5
	v_mul_f32_e32 v5, v8, v5
	v_fma_f32 v26, v8, v4, -v26
	v_fmac_f32_e32 v5, v9, v4
	v_mul_f32_e32 v4, v9, v7
	v_add_f32_e32 v27, v33, v5
	v_fma_f32 v4, v8, v6, -v4
	v_mul_f32_e32 v5, v8, v7
	v_fmac_f32_e32 v5, v9, v6
	v_add_f32_e32 v6, v24, v4
	v_mul_f32_e32 v4, v9, v1
	v_mul_f32_e32 v1, v8, v1
	v_fmac_f32_e32 v1, v9, v0
	v_fma_f32 v4, v8, v0, -v4
	v_add_f32_e32 v15, v15, v1
	v_pk_mul_f32 v[0:1], v[8:9], v[2:3] op_sel:[0,1]
	v_add_f32_e32 v7, v25, v5
	v_add_f32_e32 v14, v14, v4
	v_pk_fma_f32 v[4:5], v[8:9], v[2:3], v[0:1] op_sel:[0,0,1] op_sel_hi:[1,1,0] neg_lo:[0,0,1] neg_hi:[0,0,1]
	v_pk_fma_f32 v[0:1], v[8:9], v[2:3], v[0:1] op_sel:[0,0,1] op_sel_hi:[1,0,0]
	v_mul_f32_e32 v2, v11, v21
	v_mul_f32_e32 v3, v10, v21
	v_add_f32_e32 v26, v32, v26
	v_fma_f32 v2, v10, v20, -v2
	v_fmac_f32_e32 v3, v11, v20
	v_add_f32_e32 v50, v26, v2
	v_add_f32_e32 v51, v27, v3
	v_mul_f32_e32 v2, v11, v23
	v_mul_f32_e32 v3, v10, v23
	v_fma_f32 v2, v10, v22, -v2
	v_fmac_f32_e32 v3, v11, v22
	v_add_f32_e32 v48, v6, v2
	v_add_f32_e32 v49, v7, v3
	v_mul_f32_e32 v2, v11, v17
	v_mul_f32_e32 v3, v10, v17
	v_fma_f32 v2, v10, v16, -v2
	v_fmac_f32_e32 v3, v11, v16
	v_mov_b32_e32 v5, v1
	v_add_f32_e32 v47, v14, v2
	v_add_f32_e32 v46, v15, v3
	v_pk_mul_f32 v[2:3], v[10:11], v[18:19] op_sel:[0,1]
	v_pk_add_f32 v[0:1], v[12:13], v[4:5]
	v_pk_fma_f32 v[4:5], v[10:11], v[18:19], v[2:3] op_sel:[0,0,1] op_sel_hi:[1,1,0] neg_lo:[0,0,1] neg_hi:[0,0,1]
	v_pk_fma_f32 v[2:3], v[10:11], v[18:19], v[2:3] op_sel:[0,0,1] op_sel_hi:[1,0,0]
	v_mov_b32_e32 v5, v3
	v_pk_add_f32 v[36:37], v[0:1], v[4:5]
	s_cbranch_vccnz .LBB91_2
	s_branch .LBB91_4
.LBB91_3:
	v_mov_b32_e32 v37, 0
	v_mov_b32_e32 v36, v37
	v_mov_b32_e32 v80, v37
	v_mov_b32_e32 v81, v37
	v_mov_b32_e32 v78, v37
	v_mov_b32_e32 v79, v37
	v_mov_b32_e32 v76, v37
	v_mov_b32_e32 v77, v37
	v_mov_b32_e32 v74, v37
	v_mov_b32_e32 v75, v37
	v_mov_b32_e32 v72, v37
	v_mov_b32_e32 v73, v37
	v_mov_b32_e32 v70, v37
	v_mov_b32_e32 v71, v37
	v_mov_b32_e32 v68, v37
	v_mov_b32_e32 v69, v37
	v_mov_b32_e32 v66, v37
	v_mov_b32_e32 v67, v37
	v_mov_b32_e32 v64, v37
	v_mov_b32_e32 v65, v37
	v_mov_b32_e32 v62, v37
	v_mov_b32_e32 v63, v37
	v_mov_b32_e32 v60, v37
	v_mov_b32_e32 v61, v37
	v_mov_b32_e32 v58, v37
	v_mov_b32_e32 v59, v37
	v_mov_b32_e32 v50, v37
	v_mov_b32_e32 v51, v37
	v_mov_b32_e32 v48, v37
	v_mov_b32_e32 v49, v37
	v_mov_b32_e32 v47, v37
	v_mov_b32_e32 v46, v37
.LBB91_4:
	s_load_dwordx4 s[0:3], s[4:5], 0x78
	s_load_dwordx8 s[16:23], s[4:5], 0x58
	v_mov_b32_e32 v0, s29
	v_add_co_u32_e32 v4, vcc, s28, v45
	s_waitcnt lgkmcnt(0)
	s_mul_i32 s3, s8, s3
	s_mul_hi_u32 s4, s8, s2
	s_mul_i32 s2, s8, s2
	s_add_i32 s3, s4, s3
	s_lshl_b64 s[2:3], s[2:3], 3
	s_add_u32 s9, s22, s2
	s_addc_u32 s12, s23, s3
	v_addc_co_u32_e32 v5, vcc, 0, v0, vcc
	s_or_b32 s2, s10, s11
	s_bitset0_b32 s2, 31
	v_mov_b32_e32 v1, s7
	v_add_co_u32_e32 v0, vcc, s6, v44
	s_cmp_lg_u32 s2, 0
	v_addc_co_u32_e32 v1, vcc, 0, v1, vcc
	s_mov_b32 s2, s15
	s_mov_b32 s3, s14
	s_cbranch_scc1 .LBB91_6
; %bb.5:
	v_mul_lo_u32 v6, v5, s0
	v_mul_lo_u32 v7, v4, s1
	v_mad_u64_u32 v[2:3], s[4:5], v4, s0, 0
	v_add3_u32 v3, v3, v7, v6
	v_lshlrev_b64 v[2:3], 3, v[2:3]
	v_mov_b32_e32 v6, s12
	v_add_co_u32_e32 v8, vcc, s9, v2
	v_addc_co_u32_e32 v9, vcc, v6, v3, vcc
	v_lshlrev_b64 v[6:7], 3, v[0:1]
	v_mul_f32_e32 v2, s15, v81
	v_mul_f32_e32 v3, s14, v81
	v_add_co_u32_e32 v6, vcc, v8, v6
	v_fma_f32 v2, v80, s14, -v2
	v_fmac_f32_e32 v3, s15, v80
	v_addc_co_u32_e32 v7, vcc, v9, v7, vcc
	global_store_dwordx2 v[6:7], v[2:3], off
	v_mul_f32_e32 v2, s15, v79
	v_mul_f32_e32 v3, s14, v79
	v_fma_f32 v2, v78, s14, -v2
	v_fmac_f32_e32 v3, s15, v78
	global_store_dwordx2 v[6:7], v[2:3], off offset:128
	v_mul_f32_e32 v2, s15, v77
	v_mul_f32_e32 v3, s14, v77
	v_fma_f32 v2, v76, s14, -v2
	v_fmac_f32_e32 v3, s15, v76
	global_store_dwordx2 v[6:7], v[2:3], off offset:256
	v_mul_f32_e32 v2, s15, v75
	v_mul_f32_e32 v3, s14, v75
	v_fma_f32 v2, v74, s14, -v2
	v_fmac_f32_e32 v3, s15, v74
	s_lshl_b64 s[4:5], s[0:1], 7
	global_store_dwordx2 v[6:7], v[2:3], off offset:384
	v_mul_f32_e32 v2, s15, v73
	v_mul_f32_e32 v3, s14, v73
	v_mov_b32_e32 v9, s5
	v_add_co_u32_e32 v6, vcc, s4, v6
	v_fma_f32 v2, v72, s14, -v2
	v_fmac_f32_e32 v3, s15, v72
	v_addc_co_u32_e32 v7, vcc, v7, v9, vcc
	global_store_dwordx2 v[6:7], v[2:3], off
	v_mul_f32_e32 v2, s15, v71
	v_mul_f32_e32 v3, s14, v71
	v_fma_f32 v2, v70, s14, -v2
	v_fmac_f32_e32 v3, s15, v70
	global_store_dwordx2 v[6:7], v[2:3], off offset:128
	v_mul_f32_e32 v2, s15, v69
	v_mul_f32_e32 v3, s14, v69
	v_fma_f32 v2, v68, s14, -v2
	v_fmac_f32_e32 v3, s15, v68
	global_store_dwordx2 v[6:7], v[2:3], off offset:256
	;; [unrolled: 5-line block ×3, first 2 shown]
	v_mul_f32_e32 v2, s15, v65
	v_mul_f32_e32 v3, s14, v65
	v_add_co_u32_e32 v6, vcc, s4, v6
	v_fma_f32 v2, v64, s14, -v2
	v_fmac_f32_e32 v3, s15, v64
	v_addc_co_u32_e32 v7, vcc, v7, v9, vcc
	global_store_dwordx2 v[6:7], v[2:3], off
	v_mul_f32_e32 v2, s15, v63
	v_mul_f32_e32 v3, s14, v63
	v_fma_f32 v2, v62, s14, -v2
	v_fmac_f32_e32 v3, s15, v62
	global_store_dwordx2 v[6:7], v[2:3], off offset:128
	v_mul_f32_e32 v2, s15, v61
	v_mul_f32_e32 v3, s14, v61
	v_fma_f32 v2, v60, s14, -v2
	v_fmac_f32_e32 v3, s15, v60
	global_store_dwordx2 v[6:7], v[2:3], off offset:256
	;; [unrolled: 5-line block ×3, first 2 shown]
	v_mul_f32_e32 v2, s15, v51
	v_mul_f32_e32 v3, s14, v51
	v_add_co_u32_e32 v8, vcc, s4, v6
	v_fma_f32 v2, v50, s14, -v2
	v_fmac_f32_e32 v3, s15, v50
	v_addc_co_u32_e32 v9, vcc, v7, v9, vcc
	global_store_dwordx2 v[8:9], v[2:3], off
	v_mul_f32_e32 v2, s15, v49
	v_mul_f32_e32 v3, s14, v49
	v_fma_f32 v2, v48, s14, -v2
	v_fmac_f32_e32 v3, s15, v48
	global_store_dwordx2 v[8:9], v[2:3], off offset:128
	v_mul_f32_e32 v2, s15, v46
	v_mul_f32_e32 v3, s14, v46
	v_fma_f32 v2, v47, s14, -v2
	v_fmac_f32_e32 v3, s15, v47
	global_store_dwordx2 v[8:9], v[2:3], off offset:256
	v_mul_f32_e32 v2, s3, v36
	v_fma_f32 v7, -v37, s2, v2
	v_pk_mul_f32 v[2:3], v[36:37], s[2:3]
	v_add_f32_e32 v6, v2, v3
	v_add_co_u32_e32 v2, vcc, 0x180, v8
	v_addc_co_u32_e32 v3, vcc, 0, v9, vcc
	global_store_dword v[8:9], v7, off offset:384
	s_cbranch_execz .LBB91_7
	s_branch .LBB91_8
.LBB91_6:
                                        ; implicit-def: $vgpr6
                                        ; implicit-def: $vgpr2_vgpr3
.LBB91_7:
	s_mul_i32 s4, s8, s21
	s_mul_hi_u32 s5, s8, s20
	s_add_i32 s5, s5, s4
	s_mul_i32 s4, s8, s20
	s_lshl_b64 s[4:5], s[4:5], 3
	s_add_u32 s6, s16, s4
	s_addc_u32 s7, s17, s5
	v_mul_lo_u32 v6, v5, s18
	v_mul_lo_u32 v7, v4, s19
	v_mad_u64_u32 v[2:3], s[4:5], v4, s18, 0
	v_add3_u32 v3, v3, v7, v6
	v_lshlrev_b64 v[2:3], 3, v[2:3]
	v_mov_b32_e32 v6, s7
	v_add_co_u32_e32 v2, vcc, s6, v2
	v_addc_co_u32_e32 v3, vcc, v6, v3, vcc
	v_lshlrev_b64 v[0:1], 3, v[0:1]
	v_add_co_u32_e32 v2, vcc, v2, v0
	v_addc_co_u32_e32 v3, vcc, v3, v1, vcc
	global_load_dwordx2 v[6:7], v[2:3], off
	v_mul_lo_u32 v8, v5, s0
	v_mul_lo_u32 v9, v4, s1
	v_mad_u64_u32 v[4:5], s[4:5], v4, s0, 0
	v_add3_u32 v5, v5, v9, v8
	v_lshlrev_b64 v[4:5], 3, v[4:5]
	v_mov_b32_e32 v10, s12
	v_add_co_u32_e32 v4, vcc, s9, v4
	v_addc_co_u32_e32 v5, vcc, v10, v5, vcc
	v_add_co_u32_e32 v0, vcc, v4, v0
	v_mul_f32_e32 v11, s15, v81
	v_mul_f32_e32 v12, s14, v81
	v_addc_co_u32_e32 v1, vcc, v5, v1, vcc
	v_fma_f32 v8, v80, s14, -v11
	v_fmac_f32_e32 v12, s15, v80
	s_lshl_b64 s[4:5], s[18:19], 7
	s_lshl_b64 s[0:1], s[0:1], 7
	s_waitcnt vmcnt(0)
	v_mul_f32_e32 v4, s11, v7
	v_mul_f32_e32 v5, s10, v7
	v_fma_f32 v4, v6, s10, -v4
	v_fmac_f32_e32 v5, s11, v6
	v_add_f32_e32 v4, v8, v4
	v_add_f32_e32 v5, v12, v5
	global_store_dwordx2 v[0:1], v[4:5], off
	global_load_dwordx2 v[4:5], v[2:3], off offset:128
	v_mul_f32_e32 v6, s15, v79
	v_mul_f32_e32 v7, s14, v79
	v_fma_f32 v6, v78, s14, -v6
	v_fmac_f32_e32 v7, s15, v78
	s_waitcnt vmcnt(0)
	v_mul_f32_e32 v8, s11, v5
	v_mul_f32_e32 v5, s10, v5
	v_fma_f32 v8, v4, s10, -v8
	v_fmac_f32_e32 v5, s11, v4
	v_add_f32_e32 v4, v6, v8
	v_add_f32_e32 v5, v7, v5
	global_store_dwordx2 v[0:1], v[4:5], off offset:128
	global_load_dwordx2 v[4:5], v[2:3], off offset:256
	v_mul_f32_e32 v6, s15, v77
	v_mul_f32_e32 v7, s14, v77
	v_fma_f32 v6, v76, s14, -v6
	v_fmac_f32_e32 v7, s15, v76
	s_waitcnt vmcnt(0)
	v_mul_f32_e32 v8, s11, v5
	v_mul_f32_e32 v5, s10, v5
	v_fma_f32 v8, v4, s10, -v8
	v_fmac_f32_e32 v5, s11, v4
	v_add_f32_e32 v4, v6, v8
	v_add_f32_e32 v5, v7, v5
	global_store_dwordx2 v[0:1], v[4:5], off offset:256
	global_load_dwordx2 v[4:5], v[2:3], off offset:384
	v_mul_f32_e32 v6, s15, v75
	v_mul_f32_e32 v7, s14, v75
	v_fma_f32 v6, v74, s14, -v6
	v_fmac_f32_e32 v7, s15, v74
	v_mov_b32_e32 v8, s5
	v_add_co_u32_e32 v2, vcc, s4, v2
	v_addc_co_u32_e32 v3, vcc, v3, v8, vcc
	s_waitcnt vmcnt(0)
	v_mul_f32_e32 v9, s11, v5
	v_mul_f32_e32 v5, s10, v5
	v_fma_f32 v9, v4, s10, -v9
	v_fmac_f32_e32 v5, s11, v4
	v_add_f32_e32 v4, v6, v9
	v_add_f32_e32 v5, v7, v5
	global_store_dwordx2 v[0:1], v[4:5], off offset:384
	global_load_dwordx2 v[4:5], v[2:3], off
	v_mul_f32_e32 v6, s15, v73
	v_mul_f32_e32 v7, s14, v73
	v_fma_f32 v6, v72, s14, -v6
	v_fmac_f32_e32 v7, s15, v72
	v_mov_b32_e32 v9, s1
	v_add_co_u32_e32 v0, vcc, s0, v0
	v_addc_co_u32_e32 v1, vcc, v1, v9, vcc
	s_waitcnt vmcnt(0)
	v_mul_f32_e32 v10, s11, v5
	v_mul_f32_e32 v5, s10, v5
	v_fma_f32 v10, v4, s10, -v10
	v_fmac_f32_e32 v5, s11, v4
	v_add_f32_e32 v4, v6, v10
	v_add_f32_e32 v5, v7, v5
	global_store_dwordx2 v[0:1], v[4:5], off
	global_load_dwordx2 v[4:5], v[2:3], off offset:128
	v_mul_f32_e32 v6, s15, v71
	v_mul_f32_e32 v7, s14, v71
	v_fma_f32 v6, v70, s14, -v6
	v_fmac_f32_e32 v7, s15, v70
	s_waitcnt vmcnt(0)
	v_mul_f32_e32 v10, s11, v5
	v_mul_f32_e32 v5, s10, v5
	v_fma_f32 v10, v4, s10, -v10
	v_fmac_f32_e32 v5, s11, v4
	v_add_f32_e32 v4, v6, v10
	v_add_f32_e32 v5, v7, v5
	global_store_dwordx2 v[0:1], v[4:5], off offset:128
	global_load_dwordx2 v[4:5], v[2:3], off offset:256
	v_mul_f32_e32 v6, s15, v69
	v_mul_f32_e32 v7, s14, v69
	v_fma_f32 v6, v68, s14, -v6
	v_fmac_f32_e32 v7, s15, v68
	s_waitcnt vmcnt(0)
	v_mul_f32_e32 v10, s11, v5
	v_mul_f32_e32 v5, s10, v5
	v_fma_f32 v10, v4, s10, -v10
	v_fmac_f32_e32 v5, s11, v4
	v_add_f32_e32 v4, v6, v10
	v_add_f32_e32 v5, v7, v5
	global_store_dwordx2 v[0:1], v[4:5], off offset:256
	global_load_dwordx2 v[4:5], v[2:3], off offset:384
	v_mul_f32_e32 v6, s15, v67
	v_mul_f32_e32 v7, s14, v67
	v_fma_f32 v6, v66, s14, -v6
	v_fmac_f32_e32 v7, s15, v66
	v_add_co_u32_e32 v2, vcc, s4, v2
	v_addc_co_u32_e32 v3, vcc, v3, v8, vcc
	s_waitcnt vmcnt(0)
	v_mul_f32_e32 v10, s11, v5
	v_mul_f32_e32 v5, s10, v5
	v_fma_f32 v10, v4, s10, -v10
	v_fmac_f32_e32 v5, s11, v4
	v_add_f32_e32 v4, v6, v10
	v_add_f32_e32 v5, v7, v5
	global_store_dwordx2 v[0:1], v[4:5], off offset:384
	global_load_dwordx2 v[4:5], v[2:3], off
	v_mul_f32_e32 v6, s15, v65
	v_mul_f32_e32 v7, s14, v65
	v_fma_f32 v6, v64, s14, -v6
	v_fmac_f32_e32 v7, s15, v64
	v_add_co_u32_e32 v0, vcc, s0, v0
	v_addc_co_u32_e32 v1, vcc, v1, v9, vcc
	s_waitcnt vmcnt(0)
	v_mul_f32_e32 v10, s11, v5
	v_mul_f32_e32 v5, s10, v5
	v_fma_f32 v10, v4, s10, -v10
	v_fmac_f32_e32 v5, s11, v4
	v_add_f32_e32 v4, v6, v10
	v_add_f32_e32 v5, v7, v5
	global_store_dwordx2 v[0:1], v[4:5], off
	global_load_dwordx2 v[4:5], v[2:3], off offset:128
	v_mul_f32_e32 v6, s15, v63
	v_mul_f32_e32 v7, s14, v63
	v_fma_f32 v6, v62, s14, -v6
	v_fmac_f32_e32 v7, s15, v62
	s_waitcnt vmcnt(0)
	v_mul_f32_e32 v10, s11, v5
	v_mul_f32_e32 v5, s10, v5
	v_fma_f32 v10, v4, s10, -v10
	v_fmac_f32_e32 v5, s11, v4
	v_add_f32_e32 v4, v6, v10
	v_add_f32_e32 v5, v7, v5
	global_store_dwordx2 v[0:1], v[4:5], off offset:128
	global_load_dwordx2 v[4:5], v[2:3], off offset:256
	v_mul_f32_e32 v6, s15, v61
	v_mul_f32_e32 v7, s14, v61
	v_fma_f32 v6, v60, s14, -v6
	v_fmac_f32_e32 v7, s15, v60
	s_waitcnt vmcnt(0)
	v_mul_f32_e32 v10, s11, v5
	v_mul_f32_e32 v5, s10, v5
	v_fma_f32 v10, v4, s10, -v10
	v_fmac_f32_e32 v5, s11, v4
	v_add_f32_e32 v4, v6, v10
	v_add_f32_e32 v5, v7, v5
	global_store_dwordx2 v[0:1], v[4:5], off offset:256
	global_load_dwordx2 v[4:5], v[2:3], off offset:384
	v_add_co_u32_e32 v2, vcc, s4, v2
	v_mul_f32_e32 v6, s15, v59
	v_mul_f32_e32 v7, s14, v59
	v_addc_co_u32_e32 v3, vcc, v3, v8, vcc
	v_fma_f32 v6, v58, s14, -v6
	v_fmac_f32_e32 v7, s15, v58
	s_waitcnt vmcnt(0)
	v_mul_f32_e32 v8, s11, v5
	v_mul_f32_e32 v5, s10, v5
	v_fma_f32 v8, v4, s10, -v8
	v_fmac_f32_e32 v5, s11, v4
	v_add_f32_e32 v4, v6, v8
	v_add_f32_e32 v5, v7, v5
	global_store_dwordx2 v[0:1], v[4:5], off offset:384
	global_load_dwordx2 v[4:5], v[2:3], off
	v_mul_f32_e32 v6, s15, v51
	v_mul_f32_e32 v7, s14, v51
	v_fma_f32 v6, v50, s14, -v6
	v_fmac_f32_e32 v7, s15, v50
	v_add_co_u32_e32 v0, vcc, s0, v0
	v_addc_co_u32_e32 v1, vcc, v1, v9, vcc
	s_waitcnt vmcnt(0)
	v_mul_f32_e32 v8, s11, v5
	v_mul_f32_e32 v5, s10, v5
	v_fma_f32 v8, v4, s10, -v8
	v_fmac_f32_e32 v5, s11, v4
	v_add_f32_e32 v4, v6, v8
	v_add_f32_e32 v5, v7, v5
	global_store_dwordx2 v[0:1], v[4:5], off
	global_load_dwordx2 v[4:5], v[2:3], off offset:128
	v_mul_f32_e32 v6, s15, v49
	v_mul_f32_e32 v7, s14, v49
	v_fma_f32 v6, v48, s14, -v6
	v_fmac_f32_e32 v7, s15, v48
	s_waitcnt vmcnt(0)
	v_mul_f32_e32 v8, s11, v5
	v_mul_f32_e32 v5, s10, v5
	v_fma_f32 v8, v4, s10, -v8
	v_fmac_f32_e32 v5, s11, v4
	v_add_f32_e32 v4, v6, v8
	v_add_f32_e32 v5, v7, v5
	global_store_dwordx2 v[0:1], v[4:5], off offset:128
	global_load_dwordx2 v[4:5], v[2:3], off offset:256
	v_mul_f32_e32 v6, s15, v46
	v_mul_f32_e32 v7, s14, v46
	v_fma_f32 v6, v47, s14, -v6
	v_fmac_f32_e32 v7, s15, v47
	s_waitcnt vmcnt(0)
	v_mul_f32_e32 v8, s11, v5
	v_mul_f32_e32 v5, s10, v5
	v_fma_f32 v8, v4, s10, -v8
	v_fmac_f32_e32 v5, s11, v4
	v_add_f32_e32 v4, v6, v8
	v_add_f32_e32 v5, v7, v5
	global_store_dwordx2 v[0:1], v[4:5], off offset:256
	global_load_dwordx2 v[4:5], v[2:3], off offset:384
	v_mul_f32_e32 v6, s3, v36
	v_pk_mul_f32 v[2:3], v[36:37], s[2:3]
	v_fma_f32 v8, -v37, s2, v6
	v_add_f32_e32 v3, v2, v3
	v_add_co_u32_e32 v2, vcc, 0x180, v0
	s_waitcnt vmcnt(0)
	v_pk_mul_f32 v[6:7], v[4:5], s[10:11] op_sel:[0,1] op_sel_hi:[1,0]
	v_mul_f32_e32 v4, s10, v4
	v_fma_f32 v4, -v5, s11, v4
	v_add_f32_e32 v5, v6, v7
	v_add_f32_e32 v4, v8, v4
	;; [unrolled: 1-line block ×3, first 2 shown]
	v_addc_co_u32_e32 v3, vcc, 0, v1, vcc
	global_store_dword v[0:1], v4, off offset:384
.LBB91_8:
	global_store_dword v[2:3], v6, off offset:4
	s_endpgm
	.section	.rodata,"a",@progbits
	.p2align	6, 0x0
	.amdhsa_kernel _ZN12_GLOBAL__N_127rocblas_gemm_batched_kernelI19rocblas_complex_numIfELi16ELi16ELi64ELi64ELi4ELi64ELi4ELi4ELi64ELc78ELc84EKS2_S3_S2_EEvlllT_PT11_llS6_llS4_PT12_llPT13_lli
		.amdhsa_group_segment_fixed_size 4096
		.amdhsa_private_segment_fixed_size 0
		.amdhsa_kernarg_size 140
		.amdhsa_user_sgpr_count 6
		.amdhsa_user_sgpr_private_segment_buffer 1
		.amdhsa_user_sgpr_dispatch_ptr 0
		.amdhsa_user_sgpr_queue_ptr 0
		.amdhsa_user_sgpr_kernarg_segment_ptr 1
		.amdhsa_user_sgpr_dispatch_id 0
		.amdhsa_user_sgpr_flat_scratch_init 0
		.amdhsa_user_sgpr_kernarg_preload_length 0
		.amdhsa_user_sgpr_kernarg_preload_offset 0
		.amdhsa_user_sgpr_private_segment_size 0
		.amdhsa_uses_dynamic_stack 0
		.amdhsa_system_sgpr_private_segment_wavefront_offset 0
		.amdhsa_system_sgpr_workgroup_id_x 1
		.amdhsa_system_sgpr_workgroup_id_y 1
		.amdhsa_system_sgpr_workgroup_id_z 1
		.amdhsa_system_sgpr_workgroup_info 0
		.amdhsa_system_vgpr_workitem_id 1
		.amdhsa_next_free_vgpr 90
		.amdhsa_next_free_sgpr 30
		.amdhsa_accum_offset 92
		.amdhsa_reserve_vcc 1
		.amdhsa_reserve_flat_scratch 0
		.amdhsa_float_round_mode_32 0
		.amdhsa_float_round_mode_16_64 0
		.amdhsa_float_denorm_mode_32 3
		.amdhsa_float_denorm_mode_16_64 3
		.amdhsa_dx10_clamp 1
		.amdhsa_ieee_mode 1
		.amdhsa_fp16_overflow 0
		.amdhsa_tg_split 0
		.amdhsa_exception_fp_ieee_invalid_op 0
		.amdhsa_exception_fp_denorm_src 0
		.amdhsa_exception_fp_ieee_div_zero 0
		.amdhsa_exception_fp_ieee_overflow 0
		.amdhsa_exception_fp_ieee_underflow 0
		.amdhsa_exception_fp_ieee_inexact 0
		.amdhsa_exception_int_div_zero 0
	.end_amdhsa_kernel
	.section	.text._ZN12_GLOBAL__N_127rocblas_gemm_batched_kernelI19rocblas_complex_numIfELi16ELi16ELi64ELi64ELi4ELi64ELi4ELi4ELi64ELc78ELc84EKS2_S3_S2_EEvlllT_PT11_llS6_llS4_PT12_llPT13_lli,"axG",@progbits,_ZN12_GLOBAL__N_127rocblas_gemm_batched_kernelI19rocblas_complex_numIfELi16ELi16ELi64ELi64ELi4ELi64ELi4ELi4ELi64ELc78ELc84EKS2_S3_S2_EEvlllT_PT11_llS6_llS4_PT12_llPT13_lli,comdat
.Lfunc_end91:
	.size	_ZN12_GLOBAL__N_127rocblas_gemm_batched_kernelI19rocblas_complex_numIfELi16ELi16ELi64ELi64ELi4ELi64ELi4ELi4ELi64ELc78ELc84EKS2_S3_S2_EEvlllT_PT11_llS6_llS4_PT12_llPT13_lli, .Lfunc_end91-_ZN12_GLOBAL__N_127rocblas_gemm_batched_kernelI19rocblas_complex_numIfELi16ELi16ELi64ELi64ELi4ELi64ELi4ELi4ELi64ELc78ELc84EKS2_S3_S2_EEvlllT_PT11_llS6_llS4_PT12_llPT13_lli
                                        ; -- End function
	.section	.AMDGPU.csdata,"",@progbits
; Kernel info:
; codeLenInByte = 4708
; NumSgprs: 34
; NumVgprs: 90
; NumAgprs: 0
; TotalNumVgprs: 90
; ScratchSize: 0
; MemoryBound: 0
; FloatMode: 240
; IeeeMode: 1
; LDSByteSize: 4096 bytes/workgroup (compile time only)
; SGPRBlocks: 4
; VGPRBlocks: 11
; NumSGPRsForWavesPerEU: 34
; NumVGPRsForWavesPerEU: 90
; AccumOffset: 92
; Occupancy: 5
; WaveLimiterHint : 1
; COMPUTE_PGM_RSRC2:SCRATCH_EN: 0
; COMPUTE_PGM_RSRC2:USER_SGPR: 6
; COMPUTE_PGM_RSRC2:TRAP_HANDLER: 0
; COMPUTE_PGM_RSRC2:TGID_X_EN: 1
; COMPUTE_PGM_RSRC2:TGID_Y_EN: 1
; COMPUTE_PGM_RSRC2:TGID_Z_EN: 1
; COMPUTE_PGM_RSRC2:TIDIG_COMP_CNT: 1
; COMPUTE_PGM_RSRC3_GFX90A:ACCUM_OFFSET: 22
; COMPUTE_PGM_RSRC3_GFX90A:TG_SPLIT: 0
	.section	.text._ZN12_GLOBAL__N_127rocblas_gemm_batched_kernelI19rocblas_complex_numIfELi16ELi16ELi64ELi64ELi4ELi64ELi4ELi4ELi64ELc84ELc84EKS2_S3_S2_EEvlllT_PT11_llS6_llS4_PT12_llPT13_lli,"axG",@progbits,_ZN12_GLOBAL__N_127rocblas_gemm_batched_kernelI19rocblas_complex_numIfELi16ELi16ELi64ELi64ELi4ELi64ELi4ELi4ELi64ELc84ELc84EKS2_S3_S2_EEvlllT_PT11_llS6_llS4_PT12_llPT13_lli,comdat
	.globl	_ZN12_GLOBAL__N_127rocblas_gemm_batched_kernelI19rocblas_complex_numIfELi16ELi16ELi64ELi64ELi4ELi64ELi4ELi4ELi64ELc84ELc84EKS2_S3_S2_EEvlllT_PT11_llS6_llS4_PT12_llPT13_lli ; -- Begin function _ZN12_GLOBAL__N_127rocblas_gemm_batched_kernelI19rocblas_complex_numIfELi16ELi16ELi64ELi64ELi4ELi64ELi4ELi4ELi64ELc84ELc84EKS2_S3_S2_EEvlllT_PT11_llS6_llS4_PT12_llPT13_lli
	.p2align	8
	.type	_ZN12_GLOBAL__N_127rocblas_gemm_batched_kernelI19rocblas_complex_numIfELi16ELi16ELi64ELi64ELi4ELi64ELi4ELi4ELi64ELc84ELc84EKS2_S3_S2_EEvlllT_PT11_llS6_llS4_PT12_llPT13_lli,@function
_ZN12_GLOBAL__N_127rocblas_gemm_batched_kernelI19rocblas_complex_numIfELi16ELi16ELi64ELi64ELi4ELi64ELi4ELi4ELi64ELc84ELc84EKS2_S3_S2_EEvlllT_PT11_llS6_llS4_PT12_llPT13_lli: ; @_ZN12_GLOBAL__N_127rocblas_gemm_batched_kernelI19rocblas_complex_numIfELi16ELi16ELi64ELi64ELi4ELi64ELi4ELi4ELi64ELc84ELc84EKS2_S3_S2_EEvlllT_PT11_llS6_llS4_PT12_llPT13_lli
; %bb.0:
	s_load_dwordx16 s[12:27], s[4:5], 0x10
	s_load_dwordx2 s[10:11], s[4:5], 0x50
	s_mov_b32 s0, s7
	s_ashr_i32 s1, s0, 31
	s_ashr_i32 s7, s6, 31
	s_lshl_b64 s[28:29], s[0:1], 6
	s_waitcnt lgkmcnt(0)
	v_cmp_lt_i64_e64 s[0:1], s[12:13], 1
	v_bfe_u32 v45, v0, 10, 10
	v_and_b32_e32 v44, 0x3ff, v0
	s_lshl_b64 s[6:7], s[6:7], 6
	s_and_b64 vcc, exec, s[0:1]
	s_cbranch_vccnz .LBB92_3
; %bb.1:
	v_lshl_add_u32 v4, v45, 4, v44
	v_lshrrev_b32_e32 v5, 2, v4
	v_mov_b32_e32 v1, s29
	v_add_co_u32_e32 v0, vcc, s28, v5
	v_addc_co_u32_e32 v1, vcc, 0, v1, vcc
	v_and_b32_e32 v6, 3, v44
	v_mad_u64_u32 v[0:1], s[0:1], v6, s24, v[0:1]
	v_mov_b32_e32 v2, v1
	v_mad_u64_u32 v[2:3], s[0:1], v6, s25, v[2:3]
	v_mov_b32_e32 v1, v2
	v_and_b32_e32 v2, 63, v4
	v_lshrrev_b32_e32 v4, 6, v4
	v_lshlrev_b32_e32 v3, 3, v2
	v_lshl_or_b32 v52, v4, 9, v3
	v_lshlrev_b32_e32 v3, 3, v6
	v_lshl_or_b32 v3, v5, 5, v3
	v_add_u32_e32 v53, 0x800, v3
	v_mov_b32_e32 v3, 0x800
	v_lshl_add_u32 v55, v45, 5, v3
	v_mov_b32_e32 v3, s7
	v_add_co_u32_e32 v2, vcc, s6, v2
	v_addc_co_u32_e32 v3, vcc, 0, v3, vcc
	v_mul_lo_u32 v5, s19, v2
	v_mul_lo_u32 v6, s18, v3
	v_mad_u64_u32 v[2:3], s[0:1], s18, v2, 0
	s_mul_i32 s0, s21, s8
	s_mul_hi_u32 s1, s20, s8
	v_add3_u32 v3, v3, v6, v5
	s_add_i32 s1, s1, s0
	s_mul_i32 s0, s20, s8
	v_lshlrev_b64 v[2:3], 3, v[2:3]
	s_lshl_b64 s[0:1], s[0:1], 3
	v_mov_b32_e32 v5, s1
	v_add_co_u32_e32 v2, vcc, s0, v2
	v_addc_co_u32_e32 v3, vcc, v3, v5, vcc
	v_lshlrev_b32_e32 v4, 3, v4
	s_mul_i32 s0, s27, s8
	s_mul_hi_u32 s1, s26, s8
	v_add_co_u32_e32 v2, vcc, v2, v4
	s_add_i32 s1, s1, s0
	s_mul_i32 s0, s26, s8
	v_addc_co_u32_e32 v3, vcc, 0, v3, vcc
	s_lshl_b64 s[0:1], s[0:1], 3
	v_mov_b32_e32 v4, s17
	v_add_co_u32_e32 v38, vcc, s16, v2
	s_add_u32 s0, s22, s0
	v_addc_co_u32_e32 v39, vcc, v4, v3, vcc
	v_lshlrev_b64 v[0:1], 3, v[0:1]
	s_addc_u32 s1, s23, s1
	v_mov_b32_e32 v2, s1
	v_add_co_u32_e32 v40, vcc, s0, v0
	s_lshl_b64 s[0:1], s[24:25], 5
	v_mov_b32_e32 v46, 0
	v_lshlrev_b32_e32 v54, 3, v44
	v_addc_co_u32_e32 v41, vcc, v2, v1, vcc
	s_mov_b64 s[2:3], 0
	v_mov_b32_e32 v56, s1
	v_pk_mov_b32 v[42:43], s[12:13], s[12:13] op_sel:[0,1]
	v_mov_b32_e32 v47, 0
	v_mov_b32_e32 v49, 0
	;; [unrolled: 1-line block ×31, first 2 shown]
.LBB92_2:                               ; =>This Inner Loop Header: Depth=1
	global_load_dwordx2 v[0:1], v[38:39], off
	v_add_co_u32_e32 v38, vcc, 32, v38
	v_addc_co_u32_e32 v39, vcc, 0, v39, vcc
	s_add_u32 s2, s2, 4
	s_addc_u32 s3, s3, 0
	s_waitcnt vmcnt(0)
	ds_write_b64 v52, v[0:1]
	global_load_dwordx2 v[0:1], v[40:41], off
	v_add_co_u32_e32 v40, vcc, s0, v40
	v_addc_co_u32_e32 v41, vcc, v41, v56, vcc
	v_cmp_lt_i64_e32 vcc, s[2:3], v[42:43]
	s_and_b64 vcc, exec, vcc
	s_waitcnt vmcnt(0)
	ds_write_b64 v53, v[0:1]
	s_waitcnt lgkmcnt(0)
	s_barrier
	ds_read_b128 v[0:3], v55
	ds_read_b128 v[32:35], v55 offset:16
	ds_read2_b64 v[8:11], v54 offset1:16
	ds_read2_b64 v[12:15], v54 offset0:32 offset1:48
	s_waitcnt lgkmcnt(1)
	v_mul_f32_e32 v4, v1, v9
	v_fma_f32 v4, v0, v8, -v4
	v_mul_f32_e32 v5, v0, v9
	v_add_f32_e32 v20, v79, v4
	v_mul_f32_e32 v4, v1, v11
	v_fmac_f32_e32 v5, v1, v8
	v_fma_f32 v4, v0, v10, -v4
	v_add_f32_e32 v21, v80, v5
	v_mul_f32_e32 v5, v0, v11
	v_add_f32_e32 v22, v77, v4
	s_waitcnt lgkmcnt(0)
	v_mul_f32_e32 v4, v1, v13
	v_fmac_f32_e32 v5, v1, v10
	v_fma_f32 v4, v0, v12, -v4
	v_add_f32_e32 v23, v78, v5
	v_mul_f32_e32 v5, v0, v13
	v_add_f32_e32 v75, v75, v4
	v_mul_f32_e32 v4, v1, v15
	v_fmac_f32_e32 v5, v1, v12
	v_fma_f32 v4, v0, v14, -v4
	v_mul_f32_e32 v0, v0, v15
	v_add_f32_e32 v76, v76, v5
	v_fmac_f32_e32 v0, v1, v14
	v_add_f32_e32 v1, v73, v4
	ds_read_b128 v[4:7], v55 offset:512
	ds_read_b128 v[80:83], v55 offset:1040
	v_add_f32_e32 v0, v74, v0
	s_waitcnt lgkmcnt(1)
	v_mul_f32_e32 v16, v5, v9
	v_fma_f32 v16, v4, v8, -v16
	v_mul_f32_e32 v17, v4, v9
	v_add_f32_e32 v71, v71, v16
	v_mul_f32_e32 v16, v5, v11
	v_fmac_f32_e32 v17, v5, v8
	v_fma_f32 v16, v4, v10, -v16
	v_add_f32_e32 v72, v72, v17
	v_mul_f32_e32 v17, v4, v11
	v_add_f32_e32 v69, v69, v16
	v_mul_f32_e32 v16, v5, v13
	v_fmac_f32_e32 v17, v5, v10
	v_fma_f32 v16, v4, v12, -v16
	v_add_f32_e32 v70, v70, v17
	v_mul_f32_e32 v17, v4, v13
	v_add_f32_e32 v67, v67, v16
	v_mul_f32_e32 v16, v5, v15
	v_fmac_f32_e32 v17, v5, v12
	v_fma_f32 v16, v4, v14, -v16
	v_mul_f32_e32 v4, v4, v15
	v_add_f32_e32 v68, v68, v17
	v_fmac_f32_e32 v4, v5, v14
	v_add_f32_e32 v5, v65, v16
	ds_read_b128 v[16:19], v55 offset:1024
	v_add_f32_e32 v4, v66, v4
	s_waitcnt lgkmcnt(0)
	v_mul_f32_e32 v24, v17, v9
	v_fma_f32 v24, v16, v8, -v24
	v_mul_f32_e32 v25, v16, v9
	v_add_f32_e32 v63, v63, v24
	v_mul_f32_e32 v24, v17, v11
	v_fmac_f32_e32 v25, v17, v8
	v_fma_f32 v24, v16, v10, -v24
	v_add_f32_e32 v64, v64, v25
	v_mul_f32_e32 v25, v16, v11
	v_add_f32_e32 v61, v61, v24
	v_mul_f32_e32 v24, v17, v13
	v_fmac_f32_e32 v25, v17, v10
	v_fma_f32 v24, v16, v12, -v24
	v_add_f32_e32 v62, v62, v25
	v_mul_f32_e32 v25, v16, v13
	v_add_f32_e32 v59, v59, v24
	v_mul_f32_e32 v24, v17, v15
	v_fmac_f32_e32 v25, v17, v12
	v_fma_f32 v24, v16, v14, -v24
	v_mul_f32_e32 v16, v16, v15
	v_add_f32_e32 v60, v60, v25
	v_fmac_f32_e32 v16, v17, v14
	v_add_f32_e32 v17, v57, v24
	ds_read2_b64 v[24:27], v54 offset0:64 offset1:80
	v_add_f32_e32 v16, v58, v16
	s_waitcnt lgkmcnt(0)
	v_mul_f32_e32 v28, v3, v25
	v_mul_f32_e32 v29, v2, v25
	v_fma_f32 v28, v2, v24, -v28
	v_fmac_f32_e32 v29, v3, v24
	v_add_f32_e32 v20, v20, v28
	v_add_f32_e32 v21, v21, v29
	v_mul_f32_e32 v28, v3, v27
	v_mul_f32_e32 v29, v2, v27
	v_fma_f32 v28, v2, v26, -v28
	v_fmac_f32_e32 v29, v3, v26
	v_add_f32_e32 v22, v22, v28
	v_add_f32_e32 v23, v23, v29
	ds_read2_b64 v[28:31], v54 offset0:96 offset1:112
	s_waitcnt lgkmcnt(0)
	v_mul_f32_e32 v57, v3, v29
	v_mul_f32_e32 v65, v3, v31
	v_fma_f32 v57, v2, v28, -v57
	v_mul_f32_e32 v58, v2, v29
	v_fma_f32 v65, v2, v30, -v65
	v_mul_f32_e32 v2, v2, v31
	v_fmac_f32_e32 v2, v3, v30
	v_add_f32_e32 v65, v1, v65
	v_add_f32_e32 v66, v0, v2
	v_mul_f32_e32 v0, v7, v25
	v_mul_f32_e32 v1, v6, v25
	v_fma_f32 v0, v6, v24, -v0
	v_fmac_f32_e32 v1, v7, v24
	v_add_f32_e32 v71, v71, v0
	v_add_f32_e32 v72, v72, v1
	v_mul_f32_e32 v0, v7, v27
	v_mul_f32_e32 v1, v6, v27
	v_fma_f32 v0, v6, v26, -v0
	v_fmac_f32_e32 v1, v7, v26
	v_add_f32_e32 v69, v69, v0
	v_add_f32_e32 v70, v70, v1
	v_mul_f32_e32 v0, v7, v29
	v_mul_f32_e32 v1, v6, v29
	v_fma_f32 v0, v6, v28, -v0
	v_fmac_f32_e32 v1, v7, v28
	v_add_f32_e32 v67, v67, v0
	v_add_f32_e32 v68, v68, v1
	v_mul_f32_e32 v0, v7, v31
	v_mul_f32_e32 v1, v6, v31
	v_fma_f32 v0, v6, v30, -v0
	v_fmac_f32_e32 v1, v7, v30
	v_add_f32_e32 v73, v5, v0
	v_add_f32_e32 v74, v4, v1
	v_mul_f32_e32 v0, v19, v25
	v_mul_f32_e32 v1, v18, v25
	v_fma_f32 v0, v18, v24, -v0
	v_fmac_f32_e32 v1, v19, v24
	v_add_f32_e32 v63, v63, v0
	v_add_f32_e32 v64, v64, v1
	v_mul_f32_e32 v0, v19, v27
	v_mul_f32_e32 v1, v18, v27
	v_fma_f32 v0, v18, v26, -v0
	v_fmac_f32_e32 v1, v19, v26
	ds_read2_b64 v[4:7], v54 offset0:128 offset1:144
	v_add_f32_e32 v57, v75, v57
	v_add_f32_e32 v75, v61, v0
	;; [unrolled: 1-line block ×3, first 2 shown]
	v_mul_f32_e32 v0, v19, v29
	v_mul_f32_e32 v1, v18, v29
	v_fmac_f32_e32 v58, v3, v28
	v_fma_f32 v0, v18, v28, -v0
	v_fmac_f32_e32 v1, v19, v28
	v_add_f32_e32 v58, v76, v58
	v_add_f32_e32 v76, v59, v0
	;; [unrolled: 1-line block ×3, first 2 shown]
	v_mul_f32_e32 v0, v19, v31
	v_mul_f32_e32 v1, v18, v31
	v_fma_f32 v0, v18, v30, -v0
	v_fmac_f32_e32 v1, v19, v30
	v_add_f32_e32 v17, v17, v0
	v_add_f32_e32 v16, v16, v1
	s_waitcnt lgkmcnt(0)
	v_mul_f32_e32 v0, v33, v5
	v_mul_f32_e32 v1, v32, v5
	v_fma_f32 v0, v32, v4, -v0
	v_fmac_f32_e32 v1, v33, v4
	v_add_f32_e32 v18, v20, v0
	v_add_f32_e32 v19, v21, v1
	v_mul_f32_e32 v0, v33, v7
	v_mul_f32_e32 v1, v32, v7
	v_fma_f32 v0, v32, v6, -v0
	v_fmac_f32_e32 v1, v33, v6
	v_add_f32_e32 v78, v22, v0
	v_add_f32_e32 v84, v23, v1
	ds_read2_b64 v[0:3], v54 offset0:160 offset1:176
	s_waitcnt lgkmcnt(0)
	v_mul_f32_e32 v21, v32, v1
	v_fmac_f32_e32 v21, v33, v0
	v_add_f32_e32 v85, v58, v21
	ds_read_b128 v[58:61], v55 offset:528
	v_mul_f32_e32 v20, v33, v1
	v_fma_f32 v20, v32, v0, -v20
	v_add_f32_e32 v57, v57, v20
	v_mul_f32_e32 v20, v33, v3
	v_mul_f32_e32 v21, v32, v3
	v_fma_f32 v20, v32, v2, -v20
	v_fmac_f32_e32 v21, v33, v2
	v_add_f32_e32 v32, v65, v20
	v_add_f32_e32 v33, v66, v21
	s_waitcnt lgkmcnt(0)
	v_mul_f32_e32 v20, v59, v5
	v_mul_f32_e32 v21, v58, v5
	v_fma_f32 v20, v58, v4, -v20
	v_fmac_f32_e32 v21, v59, v4
	v_add_f32_e32 v65, v71, v20
	v_add_f32_e32 v66, v72, v21
	v_mul_f32_e32 v20, v59, v7
	v_mul_f32_e32 v21, v58, v7
	v_fma_f32 v20, v58, v6, -v20
	v_fmac_f32_e32 v21, v59, v6
	v_add_f32_e32 v69, v69, v20
	v_add_f32_e32 v70, v70, v21
	;; [unrolled: 6-line block ×8, first 2 shown]
	ds_read2_b64 v[20:23], v54 offset0:192 offset1:208
	s_waitcnt lgkmcnt(0)
	v_mul_f32_e32 v16, v35, v21
	v_mul_f32_e32 v17, v34, v21
	v_fma_f32 v16, v34, v20, -v16
	v_fmac_f32_e32 v17, v35, v20
	v_add_f32_e32 v79, v18, v16
	v_add_f32_e32 v80, v19, v17
	v_mul_f32_e32 v16, v35, v23
	v_mul_f32_e32 v17, v34, v23
	v_fma_f32 v16, v34, v22, -v16
	v_fmac_f32_e32 v17, v35, v22
	v_add_f32_e32 v77, v78, v16
	v_add_f32_e32 v78, v84, v17
	ds_read2_b64 v[16:19], v54 offset0:224 offset1:240
	s_waitcnt lgkmcnt(0)
	v_mul_f32_e32 v71, v35, v17
	v_fma_f32 v71, v34, v16, -v71
	v_add_f32_e32 v75, v57, v71
	v_mul_f32_e32 v57, v35, v19
	v_mul_f32_e32 v72, v34, v17
	v_fma_f32 v57, v34, v18, -v57
	v_mul_f32_e32 v34, v34, v19
	v_fmac_f32_e32 v34, v35, v18
	v_add_f32_e32 v73, v32, v57
	v_add_f32_e32 v74, v33, v34
	v_mul_f32_e32 v32, v61, v21
	v_mul_f32_e32 v33, v60, v21
	v_fmac_f32_e32 v72, v35, v16
	v_fma_f32 v32, v60, v20, -v32
	v_fmac_f32_e32 v33, v61, v20
	v_add_f32_e32 v76, v85, v72
	v_add_f32_e32 v71, v65, v32
	;; [unrolled: 1-line block ×3, first 2 shown]
	v_mul_f32_e32 v32, v61, v23
	v_mul_f32_e32 v33, v60, v23
	v_fma_f32 v32, v60, v22, -v32
	v_fmac_f32_e32 v33, v61, v22
	v_add_f32_e32 v69, v69, v32
	v_add_f32_e32 v70, v70, v33
	v_mul_f32_e32 v32, v61, v17
	v_mul_f32_e32 v33, v60, v17
	v_fma_f32 v32, v60, v16, -v32
	v_fmac_f32_e32 v33, v61, v16
	v_add_f32_e32 v67, v67, v32
	v_add_f32_e32 v68, v68, v33
	;; [unrolled: 6-line block ×7, first 2 shown]
	ds_read_b128 v[32:35], v55 offset:1536
	s_waitcnt lgkmcnt(0)
	v_mul_f32_e32 v81, v33, v9
	v_mul_f32_e32 v9, v32, v9
	v_fmac_f32_e32 v9, v33, v8
	v_fma_f32 v81, v32, v8, -v81
	v_add_f32_e32 v51, v51, v9
	v_mul_f32_e32 v8, v33, v11
	v_mul_f32_e32 v9, v32, v11
	v_fma_f32 v8, v32, v10, -v8
	v_fmac_f32_e32 v9, v33, v10
	v_add_f32_e32 v48, v48, v8
	v_add_f32_e32 v49, v49, v9
	v_mul_f32_e32 v8, v33, v13
	v_mul_f32_e32 v9, v32, v13
	v_fma_f32 v8, v32, v12, -v8
	v_fmac_f32_e32 v9, v33, v12
	v_add_f32_e32 v12, v47, v8
	v_add_f32_e32 v13, v46, v9
	v_pk_mul_f32 v[8:9], v[32:33], v[14:15] op_sel:[0,1]
	v_pk_fma_f32 v[10:11], v[32:33], v[14:15], v[8:9] op_sel:[0,0,1] op_sel_hi:[1,1,0] neg_lo:[0,0,1] neg_hi:[0,0,1]
	v_pk_fma_f32 v[8:9], v[32:33], v[14:15], v[8:9] op_sel:[0,0,1] op_sel_hi:[1,0,0]
	v_mov_b32_e32 v11, v9
	v_pk_add_f32 v[8:9], v[36:37], v[10:11]
	v_mul_f32_e32 v10, v35, v25
	v_mul_f32_e32 v11, v34, v25
	v_add_f32_e32 v50, v50, v81
	v_fma_f32 v10, v34, v24, -v10
	v_fmac_f32_e32 v11, v35, v24
	v_add_f32_e32 v32, v50, v10
	v_add_f32_e32 v33, v51, v11
	v_mul_f32_e32 v10, v35, v27
	v_mul_f32_e32 v11, v34, v27
	v_fma_f32 v10, v34, v26, -v10
	v_fmac_f32_e32 v11, v35, v26
	v_add_f32_e32 v24, v48, v10
	v_add_f32_e32 v25, v49, v11
	v_mul_f32_e32 v10, v35, v29
	v_mul_f32_e32 v11, v34, v29
	v_fma_f32 v10, v34, v28, -v10
	v_fmac_f32_e32 v11, v35, v28
	v_add_f32_e32 v14, v12, v10
	v_add_f32_e32 v15, v13, v11
	v_pk_mul_f32 v[10:11], v[34:35], v[30:31] op_sel:[0,1]
	v_pk_fma_f32 v[12:13], v[34:35], v[30:31], v[10:11] op_sel:[0,0,1] op_sel_hi:[1,1,0] neg_lo:[0,0,1] neg_hi:[0,0,1]
	v_pk_fma_f32 v[10:11], v[34:35], v[30:31], v[10:11] op_sel:[0,0,1] op_sel_hi:[1,0,0]
	v_mov_b32_e32 v13, v11
	v_pk_add_f32 v[12:13], v[8:9], v[12:13]
	ds_read_b128 v[8:11], v55 offset:1552
	s_waitcnt lgkmcnt(0)
	s_barrier
	v_mul_f32_e32 v26, v9, v5
	v_mul_f32_e32 v5, v8, v5
	v_fma_f32 v26, v8, v4, -v26
	v_fmac_f32_e32 v5, v9, v4
	v_mul_f32_e32 v4, v9, v7
	v_add_f32_e32 v27, v33, v5
	v_fma_f32 v4, v8, v6, -v4
	v_mul_f32_e32 v5, v8, v7
	v_fmac_f32_e32 v5, v9, v6
	v_add_f32_e32 v6, v24, v4
	v_mul_f32_e32 v4, v9, v1
	v_mul_f32_e32 v1, v8, v1
	v_fmac_f32_e32 v1, v9, v0
	v_fma_f32 v4, v8, v0, -v4
	v_add_f32_e32 v15, v15, v1
	v_pk_mul_f32 v[0:1], v[8:9], v[2:3] op_sel:[0,1]
	v_add_f32_e32 v7, v25, v5
	v_add_f32_e32 v14, v14, v4
	v_pk_fma_f32 v[4:5], v[8:9], v[2:3], v[0:1] op_sel:[0,0,1] op_sel_hi:[1,1,0] neg_lo:[0,0,1] neg_hi:[0,0,1]
	v_pk_fma_f32 v[0:1], v[8:9], v[2:3], v[0:1] op_sel:[0,0,1] op_sel_hi:[1,0,0]
	v_mul_f32_e32 v2, v11, v21
	v_mul_f32_e32 v3, v10, v21
	v_add_f32_e32 v26, v32, v26
	v_fma_f32 v2, v10, v20, -v2
	v_fmac_f32_e32 v3, v11, v20
	v_add_f32_e32 v50, v26, v2
	v_add_f32_e32 v51, v27, v3
	v_mul_f32_e32 v2, v11, v23
	v_mul_f32_e32 v3, v10, v23
	v_fma_f32 v2, v10, v22, -v2
	v_fmac_f32_e32 v3, v11, v22
	v_add_f32_e32 v48, v6, v2
	v_add_f32_e32 v49, v7, v3
	v_mul_f32_e32 v2, v11, v17
	v_mul_f32_e32 v3, v10, v17
	v_fma_f32 v2, v10, v16, -v2
	v_fmac_f32_e32 v3, v11, v16
	v_mov_b32_e32 v5, v1
	v_add_f32_e32 v47, v14, v2
	v_add_f32_e32 v46, v15, v3
	v_pk_mul_f32 v[2:3], v[10:11], v[18:19] op_sel:[0,1]
	v_pk_add_f32 v[0:1], v[12:13], v[4:5]
	v_pk_fma_f32 v[4:5], v[10:11], v[18:19], v[2:3] op_sel:[0,0,1] op_sel_hi:[1,1,0] neg_lo:[0,0,1] neg_hi:[0,0,1]
	v_pk_fma_f32 v[2:3], v[10:11], v[18:19], v[2:3] op_sel:[0,0,1] op_sel_hi:[1,0,0]
	v_mov_b32_e32 v5, v3
	v_pk_add_f32 v[36:37], v[0:1], v[4:5]
	s_cbranch_vccnz .LBB92_2
	s_branch .LBB92_4
.LBB92_3:
	v_mov_b32_e32 v37, 0
	v_mov_b32_e32 v36, v37
	;; [unrolled: 1-line block ×32, first 2 shown]
.LBB92_4:
	s_load_dwordx4 s[0:3], s[4:5], 0x78
	s_load_dwordx8 s[16:23], s[4:5], 0x58
	v_mov_b32_e32 v0, s29
	v_add_co_u32_e32 v4, vcc, s28, v45
	s_waitcnt lgkmcnt(0)
	s_mul_i32 s3, s8, s3
	s_mul_hi_u32 s4, s8, s2
	s_mul_i32 s2, s8, s2
	s_add_i32 s3, s4, s3
	s_lshl_b64 s[2:3], s[2:3], 3
	s_add_u32 s9, s22, s2
	s_addc_u32 s12, s23, s3
	v_addc_co_u32_e32 v5, vcc, 0, v0, vcc
	s_or_b32 s2, s10, s11
	s_bitset0_b32 s2, 31
	v_mov_b32_e32 v1, s7
	v_add_co_u32_e32 v0, vcc, s6, v44
	s_cmp_lg_u32 s2, 0
	v_addc_co_u32_e32 v1, vcc, 0, v1, vcc
	s_mov_b32 s2, s15
	s_mov_b32 s3, s14
	s_cbranch_scc1 .LBB92_6
; %bb.5:
	v_mul_lo_u32 v6, v5, s0
	v_mul_lo_u32 v7, v4, s1
	v_mad_u64_u32 v[2:3], s[4:5], v4, s0, 0
	v_add3_u32 v3, v3, v7, v6
	v_lshlrev_b64 v[2:3], 3, v[2:3]
	v_mov_b32_e32 v6, s12
	v_add_co_u32_e32 v8, vcc, s9, v2
	v_addc_co_u32_e32 v9, vcc, v6, v3, vcc
	v_lshlrev_b64 v[6:7], 3, v[0:1]
	v_mul_f32_e32 v2, s15, v80
	v_mul_f32_e32 v3, s14, v80
	v_add_co_u32_e32 v6, vcc, v8, v6
	v_fma_f32 v2, v79, s14, -v2
	v_fmac_f32_e32 v3, s15, v79
	v_addc_co_u32_e32 v7, vcc, v9, v7, vcc
	global_store_dwordx2 v[6:7], v[2:3], off
	v_mul_f32_e32 v2, s15, v78
	v_mul_f32_e32 v3, s14, v78
	v_fma_f32 v2, v77, s14, -v2
	v_fmac_f32_e32 v3, s15, v77
	global_store_dwordx2 v[6:7], v[2:3], off offset:128
	v_mul_f32_e32 v2, s15, v76
	v_mul_f32_e32 v3, s14, v76
	v_fma_f32 v2, v75, s14, -v2
	v_fmac_f32_e32 v3, s15, v75
	global_store_dwordx2 v[6:7], v[2:3], off offset:256
	v_mul_f32_e32 v2, s15, v74
	v_mul_f32_e32 v3, s14, v74
	v_fma_f32 v2, v73, s14, -v2
	v_fmac_f32_e32 v3, s15, v73
	s_lshl_b64 s[4:5], s[0:1], 7
	global_store_dwordx2 v[6:7], v[2:3], off offset:384
	v_mul_f32_e32 v2, s15, v72
	v_mul_f32_e32 v3, s14, v72
	v_mov_b32_e32 v9, s5
	v_add_co_u32_e32 v6, vcc, s4, v6
	v_fma_f32 v2, v71, s14, -v2
	v_fmac_f32_e32 v3, s15, v71
	v_addc_co_u32_e32 v7, vcc, v7, v9, vcc
	global_store_dwordx2 v[6:7], v[2:3], off
	v_mul_f32_e32 v2, s15, v70
	v_mul_f32_e32 v3, s14, v70
	v_fma_f32 v2, v69, s14, -v2
	v_fmac_f32_e32 v3, s15, v69
	global_store_dwordx2 v[6:7], v[2:3], off offset:128
	v_mul_f32_e32 v2, s15, v68
	v_mul_f32_e32 v3, s14, v68
	v_fma_f32 v2, v67, s14, -v2
	v_fmac_f32_e32 v3, s15, v67
	global_store_dwordx2 v[6:7], v[2:3], off offset:256
	;; [unrolled: 5-line block ×3, first 2 shown]
	v_mul_f32_e32 v2, s15, v64
	v_mul_f32_e32 v3, s14, v64
	v_add_co_u32_e32 v6, vcc, s4, v6
	v_fma_f32 v2, v63, s14, -v2
	v_fmac_f32_e32 v3, s15, v63
	v_addc_co_u32_e32 v7, vcc, v7, v9, vcc
	global_store_dwordx2 v[6:7], v[2:3], off
	v_mul_f32_e32 v2, s15, v62
	v_mul_f32_e32 v3, s14, v62
	v_fma_f32 v2, v61, s14, -v2
	v_fmac_f32_e32 v3, s15, v61
	global_store_dwordx2 v[6:7], v[2:3], off offset:128
	v_mul_f32_e32 v2, s15, v60
	v_mul_f32_e32 v3, s14, v60
	v_fma_f32 v2, v59, s14, -v2
	v_fmac_f32_e32 v3, s15, v59
	global_store_dwordx2 v[6:7], v[2:3], off offset:256
	;; [unrolled: 5-line block ×3, first 2 shown]
	v_mul_f32_e32 v2, s15, v51
	v_mul_f32_e32 v3, s14, v51
	v_add_co_u32_e32 v8, vcc, s4, v6
	v_fma_f32 v2, v50, s14, -v2
	v_fmac_f32_e32 v3, s15, v50
	v_addc_co_u32_e32 v9, vcc, v7, v9, vcc
	global_store_dwordx2 v[8:9], v[2:3], off
	v_mul_f32_e32 v2, s15, v49
	v_mul_f32_e32 v3, s14, v49
	v_fma_f32 v2, v48, s14, -v2
	v_fmac_f32_e32 v3, s15, v48
	global_store_dwordx2 v[8:9], v[2:3], off offset:128
	v_mul_f32_e32 v2, s15, v46
	v_mul_f32_e32 v3, s14, v46
	v_fma_f32 v2, v47, s14, -v2
	v_fmac_f32_e32 v3, s15, v47
	global_store_dwordx2 v[8:9], v[2:3], off offset:256
	v_mul_f32_e32 v2, s3, v36
	v_fma_f32 v7, -v37, s2, v2
	v_pk_mul_f32 v[2:3], v[36:37], s[2:3]
	v_add_f32_e32 v6, v2, v3
	v_add_co_u32_e32 v2, vcc, 0x180, v8
	v_addc_co_u32_e32 v3, vcc, 0, v9, vcc
	global_store_dword v[8:9], v7, off offset:384
	s_cbranch_execz .LBB92_7
	s_branch .LBB92_8
.LBB92_6:
                                        ; implicit-def: $vgpr6
                                        ; implicit-def: $vgpr2_vgpr3
.LBB92_7:
	s_mul_i32 s4, s8, s21
	s_mul_hi_u32 s5, s8, s20
	s_add_i32 s5, s5, s4
	s_mul_i32 s4, s8, s20
	s_lshl_b64 s[4:5], s[4:5], 3
	s_add_u32 s6, s16, s4
	s_addc_u32 s7, s17, s5
	v_mul_lo_u32 v6, v5, s18
	v_mul_lo_u32 v7, v4, s19
	v_mad_u64_u32 v[2:3], s[4:5], v4, s18, 0
	v_add3_u32 v3, v3, v7, v6
	v_lshlrev_b64 v[2:3], 3, v[2:3]
	v_mov_b32_e32 v6, s7
	v_add_co_u32_e32 v2, vcc, s6, v2
	v_addc_co_u32_e32 v3, vcc, v6, v3, vcc
	v_lshlrev_b64 v[0:1], 3, v[0:1]
	v_add_co_u32_e32 v2, vcc, v2, v0
	v_addc_co_u32_e32 v3, vcc, v3, v1, vcc
	global_load_dwordx2 v[6:7], v[2:3], off
	v_mul_lo_u32 v8, v5, s0
	v_mul_lo_u32 v9, v4, s1
	v_mad_u64_u32 v[4:5], s[4:5], v4, s0, 0
	v_add3_u32 v5, v5, v9, v8
	v_lshlrev_b64 v[4:5], 3, v[4:5]
	v_mov_b32_e32 v10, s12
	v_add_co_u32_e32 v4, vcc, s9, v4
	v_addc_co_u32_e32 v5, vcc, v10, v5, vcc
	v_add_co_u32_e32 v0, vcc, v4, v0
	v_mul_f32_e32 v11, s15, v80
	v_mul_f32_e32 v12, s14, v80
	v_addc_co_u32_e32 v1, vcc, v5, v1, vcc
	v_fma_f32 v8, v79, s14, -v11
	v_fmac_f32_e32 v12, s15, v79
	s_lshl_b64 s[4:5], s[18:19], 7
	s_lshl_b64 s[0:1], s[0:1], 7
	s_waitcnt vmcnt(0)
	v_mul_f32_e32 v4, s11, v7
	v_mul_f32_e32 v5, s10, v7
	v_fma_f32 v4, v6, s10, -v4
	v_fmac_f32_e32 v5, s11, v6
	v_add_f32_e32 v4, v8, v4
	v_add_f32_e32 v5, v12, v5
	global_store_dwordx2 v[0:1], v[4:5], off
	global_load_dwordx2 v[4:5], v[2:3], off offset:128
	v_mul_f32_e32 v6, s15, v78
	v_mul_f32_e32 v7, s14, v78
	v_fma_f32 v6, v77, s14, -v6
	v_fmac_f32_e32 v7, s15, v77
	s_waitcnt vmcnt(0)
	v_mul_f32_e32 v8, s11, v5
	v_mul_f32_e32 v5, s10, v5
	v_fma_f32 v8, v4, s10, -v8
	v_fmac_f32_e32 v5, s11, v4
	v_add_f32_e32 v4, v6, v8
	v_add_f32_e32 v5, v7, v5
	global_store_dwordx2 v[0:1], v[4:5], off offset:128
	global_load_dwordx2 v[4:5], v[2:3], off offset:256
	v_mul_f32_e32 v6, s15, v76
	v_mul_f32_e32 v7, s14, v76
	v_fma_f32 v6, v75, s14, -v6
	v_fmac_f32_e32 v7, s15, v75
	s_waitcnt vmcnt(0)
	v_mul_f32_e32 v8, s11, v5
	v_mul_f32_e32 v5, s10, v5
	v_fma_f32 v8, v4, s10, -v8
	v_fmac_f32_e32 v5, s11, v4
	v_add_f32_e32 v4, v6, v8
	v_add_f32_e32 v5, v7, v5
	global_store_dwordx2 v[0:1], v[4:5], off offset:256
	global_load_dwordx2 v[4:5], v[2:3], off offset:384
	v_mul_f32_e32 v6, s15, v74
	v_mul_f32_e32 v7, s14, v74
	v_fma_f32 v6, v73, s14, -v6
	v_fmac_f32_e32 v7, s15, v73
	v_mov_b32_e32 v8, s5
	v_add_co_u32_e32 v2, vcc, s4, v2
	v_addc_co_u32_e32 v3, vcc, v3, v8, vcc
	s_waitcnt vmcnt(0)
	v_mul_f32_e32 v9, s11, v5
	v_mul_f32_e32 v5, s10, v5
	v_fma_f32 v9, v4, s10, -v9
	v_fmac_f32_e32 v5, s11, v4
	v_add_f32_e32 v4, v6, v9
	v_add_f32_e32 v5, v7, v5
	global_store_dwordx2 v[0:1], v[4:5], off offset:384
	global_load_dwordx2 v[4:5], v[2:3], off
	v_mul_f32_e32 v6, s15, v72
	v_mul_f32_e32 v7, s14, v72
	v_fma_f32 v6, v71, s14, -v6
	v_fmac_f32_e32 v7, s15, v71
	v_mov_b32_e32 v9, s1
	v_add_co_u32_e32 v0, vcc, s0, v0
	v_addc_co_u32_e32 v1, vcc, v1, v9, vcc
	s_waitcnt vmcnt(0)
	v_mul_f32_e32 v10, s11, v5
	v_mul_f32_e32 v5, s10, v5
	v_fma_f32 v10, v4, s10, -v10
	v_fmac_f32_e32 v5, s11, v4
	v_add_f32_e32 v4, v6, v10
	v_add_f32_e32 v5, v7, v5
	global_store_dwordx2 v[0:1], v[4:5], off
	global_load_dwordx2 v[4:5], v[2:3], off offset:128
	v_mul_f32_e32 v6, s15, v70
	v_mul_f32_e32 v7, s14, v70
	v_fma_f32 v6, v69, s14, -v6
	v_fmac_f32_e32 v7, s15, v69
	s_waitcnt vmcnt(0)
	v_mul_f32_e32 v10, s11, v5
	v_mul_f32_e32 v5, s10, v5
	v_fma_f32 v10, v4, s10, -v10
	v_fmac_f32_e32 v5, s11, v4
	v_add_f32_e32 v4, v6, v10
	v_add_f32_e32 v5, v7, v5
	global_store_dwordx2 v[0:1], v[4:5], off offset:128
	global_load_dwordx2 v[4:5], v[2:3], off offset:256
	v_mul_f32_e32 v6, s15, v68
	v_mul_f32_e32 v7, s14, v68
	v_fma_f32 v6, v67, s14, -v6
	v_fmac_f32_e32 v7, s15, v67
	s_waitcnt vmcnt(0)
	v_mul_f32_e32 v10, s11, v5
	v_mul_f32_e32 v5, s10, v5
	v_fma_f32 v10, v4, s10, -v10
	v_fmac_f32_e32 v5, s11, v4
	v_add_f32_e32 v4, v6, v10
	v_add_f32_e32 v5, v7, v5
	global_store_dwordx2 v[0:1], v[4:5], off offset:256
	global_load_dwordx2 v[4:5], v[2:3], off offset:384
	v_mul_f32_e32 v6, s15, v66
	v_mul_f32_e32 v7, s14, v66
	v_fma_f32 v6, v65, s14, -v6
	v_fmac_f32_e32 v7, s15, v65
	v_add_co_u32_e32 v2, vcc, s4, v2
	v_addc_co_u32_e32 v3, vcc, v3, v8, vcc
	s_waitcnt vmcnt(0)
	v_mul_f32_e32 v10, s11, v5
	v_mul_f32_e32 v5, s10, v5
	v_fma_f32 v10, v4, s10, -v10
	v_fmac_f32_e32 v5, s11, v4
	v_add_f32_e32 v4, v6, v10
	v_add_f32_e32 v5, v7, v5
	global_store_dwordx2 v[0:1], v[4:5], off offset:384
	global_load_dwordx2 v[4:5], v[2:3], off
	v_mul_f32_e32 v6, s15, v64
	v_mul_f32_e32 v7, s14, v64
	v_fma_f32 v6, v63, s14, -v6
	v_fmac_f32_e32 v7, s15, v63
	v_add_co_u32_e32 v0, vcc, s0, v0
	v_addc_co_u32_e32 v1, vcc, v1, v9, vcc
	s_waitcnt vmcnt(0)
	v_mul_f32_e32 v10, s11, v5
	v_mul_f32_e32 v5, s10, v5
	v_fma_f32 v10, v4, s10, -v10
	v_fmac_f32_e32 v5, s11, v4
	v_add_f32_e32 v4, v6, v10
	v_add_f32_e32 v5, v7, v5
	global_store_dwordx2 v[0:1], v[4:5], off
	global_load_dwordx2 v[4:5], v[2:3], off offset:128
	v_mul_f32_e32 v6, s15, v62
	v_mul_f32_e32 v7, s14, v62
	v_fma_f32 v6, v61, s14, -v6
	v_fmac_f32_e32 v7, s15, v61
	s_waitcnt vmcnt(0)
	v_mul_f32_e32 v10, s11, v5
	v_mul_f32_e32 v5, s10, v5
	v_fma_f32 v10, v4, s10, -v10
	v_fmac_f32_e32 v5, s11, v4
	v_add_f32_e32 v4, v6, v10
	v_add_f32_e32 v5, v7, v5
	global_store_dwordx2 v[0:1], v[4:5], off offset:128
	global_load_dwordx2 v[4:5], v[2:3], off offset:256
	v_mul_f32_e32 v6, s15, v60
	v_mul_f32_e32 v7, s14, v60
	v_fma_f32 v6, v59, s14, -v6
	v_fmac_f32_e32 v7, s15, v59
	s_waitcnt vmcnt(0)
	v_mul_f32_e32 v10, s11, v5
	v_mul_f32_e32 v5, s10, v5
	v_fma_f32 v10, v4, s10, -v10
	v_fmac_f32_e32 v5, s11, v4
	v_add_f32_e32 v4, v6, v10
	v_add_f32_e32 v5, v7, v5
	global_store_dwordx2 v[0:1], v[4:5], off offset:256
	global_load_dwordx2 v[4:5], v[2:3], off offset:384
	v_add_co_u32_e32 v2, vcc, s4, v2
	v_mul_f32_e32 v6, s15, v58
	v_mul_f32_e32 v7, s14, v58
	v_addc_co_u32_e32 v3, vcc, v3, v8, vcc
	v_fma_f32 v6, v57, s14, -v6
	v_fmac_f32_e32 v7, s15, v57
	s_waitcnt vmcnt(0)
	v_mul_f32_e32 v8, s11, v5
	v_mul_f32_e32 v5, s10, v5
	v_fma_f32 v8, v4, s10, -v8
	v_fmac_f32_e32 v5, s11, v4
	v_add_f32_e32 v4, v6, v8
	v_add_f32_e32 v5, v7, v5
	global_store_dwordx2 v[0:1], v[4:5], off offset:384
	global_load_dwordx2 v[4:5], v[2:3], off
	v_mul_f32_e32 v6, s15, v51
	v_mul_f32_e32 v7, s14, v51
	v_fma_f32 v6, v50, s14, -v6
	v_fmac_f32_e32 v7, s15, v50
	v_add_co_u32_e32 v0, vcc, s0, v0
	v_addc_co_u32_e32 v1, vcc, v1, v9, vcc
	s_waitcnt vmcnt(0)
	v_mul_f32_e32 v8, s11, v5
	v_mul_f32_e32 v5, s10, v5
	v_fma_f32 v8, v4, s10, -v8
	v_fmac_f32_e32 v5, s11, v4
	v_add_f32_e32 v4, v6, v8
	v_add_f32_e32 v5, v7, v5
	global_store_dwordx2 v[0:1], v[4:5], off
	global_load_dwordx2 v[4:5], v[2:3], off offset:128
	v_mul_f32_e32 v6, s15, v49
	v_mul_f32_e32 v7, s14, v49
	v_fma_f32 v6, v48, s14, -v6
	v_fmac_f32_e32 v7, s15, v48
	s_waitcnt vmcnt(0)
	v_mul_f32_e32 v8, s11, v5
	v_mul_f32_e32 v5, s10, v5
	v_fma_f32 v8, v4, s10, -v8
	v_fmac_f32_e32 v5, s11, v4
	v_add_f32_e32 v4, v6, v8
	v_add_f32_e32 v5, v7, v5
	global_store_dwordx2 v[0:1], v[4:5], off offset:128
	global_load_dwordx2 v[4:5], v[2:3], off offset:256
	v_mul_f32_e32 v6, s15, v46
	v_mul_f32_e32 v7, s14, v46
	v_fma_f32 v6, v47, s14, -v6
	v_fmac_f32_e32 v7, s15, v47
	s_waitcnt vmcnt(0)
	v_mul_f32_e32 v8, s11, v5
	v_mul_f32_e32 v5, s10, v5
	v_fma_f32 v8, v4, s10, -v8
	v_fmac_f32_e32 v5, s11, v4
	v_add_f32_e32 v4, v6, v8
	v_add_f32_e32 v5, v7, v5
	global_store_dwordx2 v[0:1], v[4:5], off offset:256
	global_load_dwordx2 v[4:5], v[2:3], off offset:384
	v_mul_f32_e32 v6, s3, v36
	v_pk_mul_f32 v[2:3], v[36:37], s[2:3]
	v_fma_f32 v8, -v37, s2, v6
	v_add_f32_e32 v3, v2, v3
	v_add_co_u32_e32 v2, vcc, 0x180, v0
	s_waitcnt vmcnt(0)
	v_pk_mul_f32 v[6:7], v[4:5], s[10:11] op_sel:[0,1] op_sel_hi:[1,0]
	v_mul_f32_e32 v4, s10, v4
	v_fma_f32 v4, -v5, s11, v4
	v_add_f32_e32 v5, v6, v7
	v_add_f32_e32 v4, v8, v4
	;; [unrolled: 1-line block ×3, first 2 shown]
	v_addc_co_u32_e32 v3, vcc, 0, v1, vcc
	global_store_dword v[0:1], v4, off offset:384
.LBB92_8:
	global_store_dword v[2:3], v6, off offset:4
	s_endpgm
	.section	.rodata,"a",@progbits
	.p2align	6, 0x0
	.amdhsa_kernel _ZN12_GLOBAL__N_127rocblas_gemm_batched_kernelI19rocblas_complex_numIfELi16ELi16ELi64ELi64ELi4ELi64ELi4ELi4ELi64ELc84ELc84EKS2_S3_S2_EEvlllT_PT11_llS6_llS4_PT12_llPT13_lli
		.amdhsa_group_segment_fixed_size 4096
		.amdhsa_private_segment_fixed_size 0
		.amdhsa_kernarg_size 140
		.amdhsa_user_sgpr_count 6
		.amdhsa_user_sgpr_private_segment_buffer 1
		.amdhsa_user_sgpr_dispatch_ptr 0
		.amdhsa_user_sgpr_queue_ptr 0
		.amdhsa_user_sgpr_kernarg_segment_ptr 1
		.amdhsa_user_sgpr_dispatch_id 0
		.amdhsa_user_sgpr_flat_scratch_init 0
		.amdhsa_user_sgpr_kernarg_preload_length 0
		.amdhsa_user_sgpr_kernarg_preload_offset 0
		.amdhsa_user_sgpr_private_segment_size 0
		.amdhsa_uses_dynamic_stack 0
		.amdhsa_system_sgpr_private_segment_wavefront_offset 0
		.amdhsa_system_sgpr_workgroup_id_x 1
		.amdhsa_system_sgpr_workgroup_id_y 1
		.amdhsa_system_sgpr_workgroup_id_z 1
		.amdhsa_system_sgpr_workgroup_info 0
		.amdhsa_system_vgpr_workitem_id 1
		.amdhsa_next_free_vgpr 90
		.amdhsa_next_free_sgpr 30
		.amdhsa_accum_offset 92
		.amdhsa_reserve_vcc 1
		.amdhsa_reserve_flat_scratch 0
		.amdhsa_float_round_mode_32 0
		.amdhsa_float_round_mode_16_64 0
		.amdhsa_float_denorm_mode_32 3
		.amdhsa_float_denorm_mode_16_64 3
		.amdhsa_dx10_clamp 1
		.amdhsa_ieee_mode 1
		.amdhsa_fp16_overflow 0
		.amdhsa_tg_split 0
		.amdhsa_exception_fp_ieee_invalid_op 0
		.amdhsa_exception_fp_denorm_src 0
		.amdhsa_exception_fp_ieee_div_zero 0
		.amdhsa_exception_fp_ieee_overflow 0
		.amdhsa_exception_fp_ieee_underflow 0
		.amdhsa_exception_fp_ieee_inexact 0
		.amdhsa_exception_int_div_zero 0
	.end_amdhsa_kernel
	.section	.text._ZN12_GLOBAL__N_127rocblas_gemm_batched_kernelI19rocblas_complex_numIfELi16ELi16ELi64ELi64ELi4ELi64ELi4ELi4ELi64ELc84ELc84EKS2_S3_S2_EEvlllT_PT11_llS6_llS4_PT12_llPT13_lli,"axG",@progbits,_ZN12_GLOBAL__N_127rocblas_gemm_batched_kernelI19rocblas_complex_numIfELi16ELi16ELi64ELi64ELi4ELi64ELi4ELi4ELi64ELc84ELc84EKS2_S3_S2_EEvlllT_PT11_llS6_llS4_PT12_llPT13_lli,comdat
.Lfunc_end92:
	.size	_ZN12_GLOBAL__N_127rocblas_gemm_batched_kernelI19rocblas_complex_numIfELi16ELi16ELi64ELi64ELi4ELi64ELi4ELi4ELi64ELc84ELc84EKS2_S3_S2_EEvlllT_PT11_llS6_llS4_PT12_llPT13_lli, .Lfunc_end92-_ZN12_GLOBAL__N_127rocblas_gemm_batched_kernelI19rocblas_complex_numIfELi16ELi16ELi64ELi64ELi4ELi64ELi4ELi4ELi64ELc84ELc84EKS2_S3_S2_EEvlllT_PT11_llS6_llS4_PT12_llPT13_lli
                                        ; -- End function
	.section	.AMDGPU.csdata,"",@progbits
; Kernel info:
; codeLenInByte = 4720
; NumSgprs: 34
; NumVgprs: 90
; NumAgprs: 0
; TotalNumVgprs: 90
; ScratchSize: 0
; MemoryBound: 0
; FloatMode: 240
; IeeeMode: 1
; LDSByteSize: 4096 bytes/workgroup (compile time only)
; SGPRBlocks: 4
; VGPRBlocks: 11
; NumSGPRsForWavesPerEU: 34
; NumVGPRsForWavesPerEU: 90
; AccumOffset: 92
; Occupancy: 5
; WaveLimiterHint : 1
; COMPUTE_PGM_RSRC2:SCRATCH_EN: 0
; COMPUTE_PGM_RSRC2:USER_SGPR: 6
; COMPUTE_PGM_RSRC2:TRAP_HANDLER: 0
; COMPUTE_PGM_RSRC2:TGID_X_EN: 1
; COMPUTE_PGM_RSRC2:TGID_Y_EN: 1
; COMPUTE_PGM_RSRC2:TGID_Z_EN: 1
; COMPUTE_PGM_RSRC2:TIDIG_COMP_CNT: 1
; COMPUTE_PGM_RSRC3_GFX90A:ACCUM_OFFSET: 22
; COMPUTE_PGM_RSRC3_GFX90A:TG_SPLIT: 0
	.section	.text._ZN12_GLOBAL__N_127rocblas_gemm_batched_kernelI19rocblas_complex_numIfELi16ELi16ELi64ELi64ELi4ELi64ELi4ELi4ELi64ELc67ELc67EKS2_S3_S2_EEvlllT_PT11_llS6_llS4_PT12_llPT13_lli,"axG",@progbits,_ZN12_GLOBAL__N_127rocblas_gemm_batched_kernelI19rocblas_complex_numIfELi16ELi16ELi64ELi64ELi4ELi64ELi4ELi4ELi64ELc67ELc67EKS2_S3_S2_EEvlllT_PT11_llS6_llS4_PT12_llPT13_lli,comdat
	.globl	_ZN12_GLOBAL__N_127rocblas_gemm_batched_kernelI19rocblas_complex_numIfELi16ELi16ELi64ELi64ELi4ELi64ELi4ELi4ELi64ELc67ELc67EKS2_S3_S2_EEvlllT_PT11_llS6_llS4_PT12_llPT13_lli ; -- Begin function _ZN12_GLOBAL__N_127rocblas_gemm_batched_kernelI19rocblas_complex_numIfELi16ELi16ELi64ELi64ELi4ELi64ELi4ELi4ELi64ELc67ELc67EKS2_S3_S2_EEvlllT_PT11_llS6_llS4_PT12_llPT13_lli
	.p2align	8
	.type	_ZN12_GLOBAL__N_127rocblas_gemm_batched_kernelI19rocblas_complex_numIfELi16ELi16ELi64ELi64ELi4ELi64ELi4ELi4ELi64ELc67ELc67EKS2_S3_S2_EEvlllT_PT11_llS6_llS4_PT12_llPT13_lli,@function
_ZN12_GLOBAL__N_127rocblas_gemm_batched_kernelI19rocblas_complex_numIfELi16ELi16ELi64ELi64ELi4ELi64ELi4ELi4ELi64ELc67ELc67EKS2_S3_S2_EEvlllT_PT11_llS6_llS4_PT12_llPT13_lli: ; @_ZN12_GLOBAL__N_127rocblas_gemm_batched_kernelI19rocblas_complex_numIfELi16ELi16ELi64ELi64ELi4ELi64ELi4ELi4ELi64ELc67ELc67EKS2_S3_S2_EEvlllT_PT11_llS6_llS4_PT12_llPT13_lli
; %bb.0:
	s_load_dwordx16 s[12:27], s[4:5], 0x10
	s_load_dwordx2 s[10:11], s[4:5], 0x50
	s_mov_b32 s0, s7
	s_ashr_i32 s1, s0, 31
	s_ashr_i32 s7, s6, 31
	s_lshl_b64 s[28:29], s[0:1], 6
	s_waitcnt lgkmcnt(0)
	v_cmp_lt_i64_e64 s[0:1], s[12:13], 1
	v_bfe_u32 v45, v0, 10, 10
	v_and_b32_e32 v44, 0x3ff, v0
	s_lshl_b64 s[6:7], s[6:7], 6
	s_and_b64 vcc, exec, s[0:1]
	s_cbranch_vccnz .LBB93_3
; %bb.1:
	v_lshl_add_u32 v4, v45, 4, v44
	v_lshrrev_b32_e32 v5, 2, v4
	v_mov_b32_e32 v1, s29
	v_add_co_u32_e32 v0, vcc, s28, v5
	v_addc_co_u32_e32 v1, vcc, 0, v1, vcc
	v_and_b32_e32 v6, 3, v44
	v_mad_u64_u32 v[0:1], s[0:1], v6, s24, v[0:1]
	v_mov_b32_e32 v2, v1
	v_mad_u64_u32 v[2:3], s[0:1], v6, s25, v[2:3]
	v_mov_b32_e32 v1, v2
	v_and_b32_e32 v2, 63, v4
	v_lshrrev_b32_e32 v4, 6, v4
	v_lshlrev_b32_e32 v3, 3, v2
	v_lshl_or_b32 v52, v4, 9, v3
	v_lshlrev_b32_e32 v3, 3, v6
	v_lshl_or_b32 v3, v5, 5, v3
	v_add_u32_e32 v53, 0x800, v3
	v_mov_b32_e32 v3, 0x800
	v_lshl_add_u32 v55, v45, 5, v3
	v_mov_b32_e32 v3, s7
	v_add_co_u32_e32 v2, vcc, s6, v2
	v_addc_co_u32_e32 v3, vcc, 0, v3, vcc
	v_mul_lo_u32 v5, s19, v2
	v_mul_lo_u32 v6, s18, v3
	v_mad_u64_u32 v[2:3], s[0:1], s18, v2, 0
	s_mul_i32 s0, s21, s8
	s_mul_hi_u32 s1, s20, s8
	v_add3_u32 v3, v3, v6, v5
	s_add_i32 s1, s1, s0
	s_mul_i32 s0, s20, s8
	v_lshlrev_b64 v[2:3], 3, v[2:3]
	s_lshl_b64 s[0:1], s[0:1], 3
	v_mov_b32_e32 v5, s1
	v_add_co_u32_e32 v2, vcc, s0, v2
	v_addc_co_u32_e32 v3, vcc, v3, v5, vcc
	v_lshlrev_b32_e32 v4, 3, v4
	s_mul_i32 s0, s27, s8
	s_mul_hi_u32 s1, s26, s8
	v_add_co_u32_e32 v2, vcc, v2, v4
	s_add_i32 s1, s1, s0
	s_mul_i32 s0, s26, s8
	v_addc_co_u32_e32 v3, vcc, 0, v3, vcc
	s_lshl_b64 s[0:1], s[0:1], 3
	v_mov_b32_e32 v4, s17
	v_add_co_u32_e32 v38, vcc, s16, v2
	s_add_u32 s0, s22, s0
	v_addc_co_u32_e32 v39, vcc, v4, v3, vcc
	v_lshlrev_b64 v[0:1], 3, v[0:1]
	s_addc_u32 s1, s23, s1
	v_mov_b32_e32 v2, s1
	v_add_co_u32_e32 v0, vcc, s0, v0
	v_addc_co_u32_e32 v1, vcc, v2, v1, vcc
	v_add_co_u32_e32 v40, vcc, 4, v0
	s_lshl_b64 s[0:1], s[24:25], 5
	v_mov_b32_e32 v46, 0
	v_lshlrev_b32_e32 v54, 3, v44
	v_addc_co_u32_e32 v41, vcc, 0, v1, vcc
	s_mov_b64 s[2:3], 0
	v_mov_b32_e32 v56, s1
	v_pk_mov_b32 v[42:43], s[12:13], s[12:13] op_sel:[0,1]
	v_mov_b32_e32 v47, 0
	v_mov_b32_e32 v49, 0
	;; [unrolled: 1-line block ×31, first 2 shown]
.LBB93_2:                               ; =>This Inner Loop Header: Depth=1
	global_load_dwordx2 v[0:1], v[38:39], off
	v_add_co_u32_e32 v38, vcc, 32, v38
	v_addc_co_u32_e32 v39, vcc, 0, v39, vcc
	s_add_u32 s2, s2, 4
	s_addc_u32 s3, s3, 0
	s_waitcnt vmcnt(0)
	v_xor_b32_e32 v1, 0x80000000, v1
	ds_write_b64 v52, v[0:1]
	global_load_dwordx2 v[0:1], v[40:41], off offset:-4
	v_add_co_u32_e32 v40, vcc, s0, v40
	v_addc_co_u32_e32 v41, vcc, v41, v56, vcc
	v_cmp_lt_i64_e32 vcc, s[2:3], v[42:43]
	s_and_b64 vcc, exec, vcc
	s_waitcnt vmcnt(0)
	v_xor_b32_e32 v1, 0x80000000, v1
	ds_write_b64 v53, v[0:1]
	s_waitcnt lgkmcnt(0)
	s_barrier
	ds_read_b128 v[0:3], v55
	ds_read_b128 v[32:35], v55 offset:16
	ds_read2_b64 v[8:11], v54 offset1:16
	ds_read2_b64 v[12:15], v54 offset0:32 offset1:48
	s_waitcnt lgkmcnt(1)
	v_mul_f32_e32 v4, v1, v9
	v_fma_f32 v4, v0, v8, -v4
	v_mul_f32_e32 v5, v0, v9
	v_add_f32_e32 v20, v79, v4
	v_mul_f32_e32 v4, v1, v11
	v_fmac_f32_e32 v5, v1, v8
	v_fma_f32 v4, v0, v10, -v4
	v_add_f32_e32 v21, v80, v5
	v_mul_f32_e32 v5, v0, v11
	v_add_f32_e32 v22, v77, v4
	s_waitcnt lgkmcnt(0)
	v_mul_f32_e32 v4, v1, v13
	v_fmac_f32_e32 v5, v1, v10
	v_fma_f32 v4, v0, v12, -v4
	v_add_f32_e32 v23, v78, v5
	v_mul_f32_e32 v5, v0, v13
	v_add_f32_e32 v75, v75, v4
	v_mul_f32_e32 v4, v1, v15
	v_fmac_f32_e32 v5, v1, v12
	v_fma_f32 v4, v0, v14, -v4
	v_mul_f32_e32 v0, v0, v15
	v_add_f32_e32 v76, v76, v5
	v_fmac_f32_e32 v0, v1, v14
	v_add_f32_e32 v1, v73, v4
	ds_read_b128 v[4:7], v55 offset:512
	ds_read_b128 v[80:83], v55 offset:1040
	v_add_f32_e32 v0, v74, v0
	s_waitcnt lgkmcnt(1)
	v_mul_f32_e32 v16, v5, v9
	v_fma_f32 v16, v4, v8, -v16
	v_mul_f32_e32 v17, v4, v9
	v_add_f32_e32 v71, v71, v16
	v_mul_f32_e32 v16, v5, v11
	v_fmac_f32_e32 v17, v5, v8
	v_fma_f32 v16, v4, v10, -v16
	v_add_f32_e32 v72, v72, v17
	v_mul_f32_e32 v17, v4, v11
	v_add_f32_e32 v69, v69, v16
	v_mul_f32_e32 v16, v5, v13
	v_fmac_f32_e32 v17, v5, v10
	v_fma_f32 v16, v4, v12, -v16
	v_add_f32_e32 v70, v70, v17
	v_mul_f32_e32 v17, v4, v13
	v_add_f32_e32 v67, v67, v16
	v_mul_f32_e32 v16, v5, v15
	v_fmac_f32_e32 v17, v5, v12
	v_fma_f32 v16, v4, v14, -v16
	v_mul_f32_e32 v4, v4, v15
	v_add_f32_e32 v68, v68, v17
	v_fmac_f32_e32 v4, v5, v14
	v_add_f32_e32 v5, v65, v16
	ds_read_b128 v[16:19], v55 offset:1024
	v_add_f32_e32 v4, v66, v4
	s_waitcnt lgkmcnt(0)
	v_mul_f32_e32 v24, v17, v9
	v_fma_f32 v24, v16, v8, -v24
	v_mul_f32_e32 v25, v16, v9
	v_add_f32_e32 v63, v63, v24
	v_mul_f32_e32 v24, v17, v11
	v_fmac_f32_e32 v25, v17, v8
	v_fma_f32 v24, v16, v10, -v24
	v_add_f32_e32 v64, v64, v25
	v_mul_f32_e32 v25, v16, v11
	v_add_f32_e32 v61, v61, v24
	v_mul_f32_e32 v24, v17, v13
	v_fmac_f32_e32 v25, v17, v10
	v_fma_f32 v24, v16, v12, -v24
	v_add_f32_e32 v62, v62, v25
	v_mul_f32_e32 v25, v16, v13
	v_add_f32_e32 v59, v59, v24
	v_mul_f32_e32 v24, v17, v15
	v_fmac_f32_e32 v25, v17, v12
	v_fma_f32 v24, v16, v14, -v24
	v_mul_f32_e32 v16, v16, v15
	v_add_f32_e32 v60, v60, v25
	v_fmac_f32_e32 v16, v17, v14
	v_add_f32_e32 v17, v57, v24
	ds_read2_b64 v[24:27], v54 offset0:64 offset1:80
	v_add_f32_e32 v16, v58, v16
	s_waitcnt lgkmcnt(0)
	v_mul_f32_e32 v28, v3, v25
	v_mul_f32_e32 v29, v2, v25
	v_fma_f32 v28, v2, v24, -v28
	v_fmac_f32_e32 v29, v3, v24
	v_add_f32_e32 v20, v20, v28
	v_add_f32_e32 v21, v21, v29
	v_mul_f32_e32 v28, v3, v27
	v_mul_f32_e32 v29, v2, v27
	v_fma_f32 v28, v2, v26, -v28
	v_fmac_f32_e32 v29, v3, v26
	v_add_f32_e32 v22, v22, v28
	v_add_f32_e32 v23, v23, v29
	ds_read2_b64 v[28:31], v54 offset0:96 offset1:112
	s_waitcnt lgkmcnt(0)
	v_mul_f32_e32 v57, v3, v29
	v_mul_f32_e32 v65, v3, v31
	v_fma_f32 v57, v2, v28, -v57
	v_mul_f32_e32 v58, v2, v29
	v_fma_f32 v65, v2, v30, -v65
	v_mul_f32_e32 v2, v2, v31
	v_fmac_f32_e32 v2, v3, v30
	v_add_f32_e32 v65, v1, v65
	v_add_f32_e32 v66, v0, v2
	v_mul_f32_e32 v0, v7, v25
	v_mul_f32_e32 v1, v6, v25
	v_fma_f32 v0, v6, v24, -v0
	v_fmac_f32_e32 v1, v7, v24
	v_add_f32_e32 v71, v71, v0
	v_add_f32_e32 v72, v72, v1
	v_mul_f32_e32 v0, v7, v27
	v_mul_f32_e32 v1, v6, v27
	v_fma_f32 v0, v6, v26, -v0
	;; [unrolled: 6-line block ×6, first 2 shown]
	v_fmac_f32_e32 v1, v19, v26
	ds_read2_b64 v[4:7], v54 offset0:128 offset1:144
	v_add_f32_e32 v57, v75, v57
	v_add_f32_e32 v75, v61, v0
	;; [unrolled: 1-line block ×3, first 2 shown]
	v_mul_f32_e32 v0, v19, v29
	v_mul_f32_e32 v1, v18, v29
	v_fmac_f32_e32 v58, v3, v28
	v_fma_f32 v0, v18, v28, -v0
	v_fmac_f32_e32 v1, v19, v28
	v_add_f32_e32 v58, v76, v58
	v_add_f32_e32 v76, v59, v0
	;; [unrolled: 1-line block ×3, first 2 shown]
	v_mul_f32_e32 v0, v19, v31
	v_mul_f32_e32 v1, v18, v31
	v_fma_f32 v0, v18, v30, -v0
	v_fmac_f32_e32 v1, v19, v30
	v_add_f32_e32 v17, v17, v0
	v_add_f32_e32 v16, v16, v1
	s_waitcnt lgkmcnt(0)
	v_mul_f32_e32 v0, v33, v5
	v_mul_f32_e32 v1, v32, v5
	v_fma_f32 v0, v32, v4, -v0
	v_fmac_f32_e32 v1, v33, v4
	v_add_f32_e32 v18, v20, v0
	v_add_f32_e32 v19, v21, v1
	v_mul_f32_e32 v0, v33, v7
	v_mul_f32_e32 v1, v32, v7
	v_fma_f32 v0, v32, v6, -v0
	v_fmac_f32_e32 v1, v33, v6
	v_add_f32_e32 v78, v22, v0
	v_add_f32_e32 v84, v23, v1
	ds_read2_b64 v[0:3], v54 offset0:160 offset1:176
	s_waitcnt lgkmcnt(0)
	v_mul_f32_e32 v21, v32, v1
	v_fmac_f32_e32 v21, v33, v0
	v_add_f32_e32 v85, v58, v21
	ds_read_b128 v[58:61], v55 offset:528
	v_mul_f32_e32 v20, v33, v1
	v_fma_f32 v20, v32, v0, -v20
	v_add_f32_e32 v57, v57, v20
	v_mul_f32_e32 v20, v33, v3
	v_mul_f32_e32 v21, v32, v3
	v_fma_f32 v20, v32, v2, -v20
	v_fmac_f32_e32 v21, v33, v2
	v_add_f32_e32 v32, v65, v20
	v_add_f32_e32 v33, v66, v21
	s_waitcnt lgkmcnt(0)
	v_mul_f32_e32 v20, v59, v5
	v_mul_f32_e32 v21, v58, v5
	v_fma_f32 v20, v58, v4, -v20
	v_fmac_f32_e32 v21, v59, v4
	v_add_f32_e32 v65, v71, v20
	v_add_f32_e32 v66, v72, v21
	v_mul_f32_e32 v20, v59, v7
	v_mul_f32_e32 v21, v58, v7
	v_fma_f32 v20, v58, v6, -v20
	v_fmac_f32_e32 v21, v59, v6
	v_add_f32_e32 v69, v69, v20
	v_add_f32_e32 v70, v70, v21
	;; [unrolled: 6-line block ×8, first 2 shown]
	ds_read2_b64 v[20:23], v54 offset0:192 offset1:208
	s_waitcnt lgkmcnt(0)
	v_mul_f32_e32 v16, v35, v21
	v_mul_f32_e32 v17, v34, v21
	v_fma_f32 v16, v34, v20, -v16
	v_fmac_f32_e32 v17, v35, v20
	v_add_f32_e32 v79, v18, v16
	v_add_f32_e32 v80, v19, v17
	v_mul_f32_e32 v16, v35, v23
	v_mul_f32_e32 v17, v34, v23
	v_fma_f32 v16, v34, v22, -v16
	v_fmac_f32_e32 v17, v35, v22
	v_add_f32_e32 v77, v78, v16
	v_add_f32_e32 v78, v84, v17
	ds_read2_b64 v[16:19], v54 offset0:224 offset1:240
	s_waitcnt lgkmcnt(0)
	v_mul_f32_e32 v71, v35, v17
	v_fma_f32 v71, v34, v16, -v71
	v_add_f32_e32 v75, v57, v71
	v_mul_f32_e32 v57, v35, v19
	v_mul_f32_e32 v72, v34, v17
	v_fma_f32 v57, v34, v18, -v57
	v_mul_f32_e32 v34, v34, v19
	v_fmac_f32_e32 v34, v35, v18
	v_add_f32_e32 v73, v32, v57
	v_add_f32_e32 v74, v33, v34
	v_mul_f32_e32 v32, v61, v21
	v_mul_f32_e32 v33, v60, v21
	v_fmac_f32_e32 v72, v35, v16
	v_fma_f32 v32, v60, v20, -v32
	v_fmac_f32_e32 v33, v61, v20
	v_add_f32_e32 v76, v85, v72
	v_add_f32_e32 v71, v65, v32
	;; [unrolled: 1-line block ×3, first 2 shown]
	v_mul_f32_e32 v32, v61, v23
	v_mul_f32_e32 v33, v60, v23
	v_fma_f32 v32, v60, v22, -v32
	v_fmac_f32_e32 v33, v61, v22
	v_add_f32_e32 v69, v69, v32
	v_add_f32_e32 v70, v70, v33
	v_mul_f32_e32 v32, v61, v17
	v_mul_f32_e32 v33, v60, v17
	v_fma_f32 v32, v60, v16, -v32
	v_fmac_f32_e32 v33, v61, v16
	v_add_f32_e32 v67, v67, v32
	v_add_f32_e32 v68, v68, v33
	;; [unrolled: 6-line block ×7, first 2 shown]
	ds_read_b128 v[32:35], v55 offset:1536
	s_waitcnt lgkmcnt(0)
	v_mul_f32_e32 v81, v33, v9
	v_mul_f32_e32 v9, v32, v9
	v_fmac_f32_e32 v9, v33, v8
	v_fma_f32 v81, v32, v8, -v81
	v_add_f32_e32 v51, v51, v9
	v_mul_f32_e32 v8, v33, v11
	v_mul_f32_e32 v9, v32, v11
	v_fma_f32 v8, v32, v10, -v8
	v_fmac_f32_e32 v9, v33, v10
	v_add_f32_e32 v48, v48, v8
	v_add_f32_e32 v49, v49, v9
	v_mul_f32_e32 v8, v33, v13
	v_mul_f32_e32 v9, v32, v13
	v_fma_f32 v8, v32, v12, -v8
	v_fmac_f32_e32 v9, v33, v12
	v_add_f32_e32 v12, v47, v8
	v_add_f32_e32 v13, v46, v9
	v_pk_mul_f32 v[8:9], v[32:33], v[14:15] op_sel:[0,1]
	v_pk_fma_f32 v[10:11], v[32:33], v[14:15], v[8:9] op_sel:[0,0,1] op_sel_hi:[1,1,0] neg_lo:[0,0,1] neg_hi:[0,0,1]
	v_pk_fma_f32 v[8:9], v[32:33], v[14:15], v[8:9] op_sel:[0,0,1] op_sel_hi:[1,0,0]
	v_mov_b32_e32 v11, v9
	v_pk_add_f32 v[8:9], v[36:37], v[10:11]
	v_mul_f32_e32 v10, v35, v25
	v_mul_f32_e32 v11, v34, v25
	v_add_f32_e32 v50, v50, v81
	v_fma_f32 v10, v34, v24, -v10
	v_fmac_f32_e32 v11, v35, v24
	v_add_f32_e32 v32, v50, v10
	v_add_f32_e32 v33, v51, v11
	v_mul_f32_e32 v10, v35, v27
	v_mul_f32_e32 v11, v34, v27
	v_fma_f32 v10, v34, v26, -v10
	v_fmac_f32_e32 v11, v35, v26
	v_add_f32_e32 v24, v48, v10
	v_add_f32_e32 v25, v49, v11
	v_mul_f32_e32 v10, v35, v29
	v_mul_f32_e32 v11, v34, v29
	v_fma_f32 v10, v34, v28, -v10
	v_fmac_f32_e32 v11, v35, v28
	v_add_f32_e32 v14, v12, v10
	v_add_f32_e32 v15, v13, v11
	v_pk_mul_f32 v[10:11], v[34:35], v[30:31] op_sel:[0,1]
	v_pk_fma_f32 v[12:13], v[34:35], v[30:31], v[10:11] op_sel:[0,0,1] op_sel_hi:[1,1,0] neg_lo:[0,0,1] neg_hi:[0,0,1]
	v_pk_fma_f32 v[10:11], v[34:35], v[30:31], v[10:11] op_sel:[0,0,1] op_sel_hi:[1,0,0]
	v_mov_b32_e32 v13, v11
	v_pk_add_f32 v[12:13], v[8:9], v[12:13]
	ds_read_b128 v[8:11], v55 offset:1552
	s_waitcnt lgkmcnt(0)
	s_barrier
	v_mul_f32_e32 v26, v9, v5
	v_mul_f32_e32 v5, v8, v5
	v_fma_f32 v26, v8, v4, -v26
	v_fmac_f32_e32 v5, v9, v4
	v_mul_f32_e32 v4, v9, v7
	v_add_f32_e32 v27, v33, v5
	v_fma_f32 v4, v8, v6, -v4
	v_mul_f32_e32 v5, v8, v7
	v_fmac_f32_e32 v5, v9, v6
	v_add_f32_e32 v6, v24, v4
	v_mul_f32_e32 v4, v9, v1
	v_mul_f32_e32 v1, v8, v1
	v_fmac_f32_e32 v1, v9, v0
	v_fma_f32 v4, v8, v0, -v4
	v_add_f32_e32 v15, v15, v1
	v_pk_mul_f32 v[0:1], v[8:9], v[2:3] op_sel:[0,1]
	v_add_f32_e32 v7, v25, v5
	v_add_f32_e32 v14, v14, v4
	v_pk_fma_f32 v[4:5], v[8:9], v[2:3], v[0:1] op_sel:[0,0,1] op_sel_hi:[1,1,0] neg_lo:[0,0,1] neg_hi:[0,0,1]
	v_pk_fma_f32 v[0:1], v[8:9], v[2:3], v[0:1] op_sel:[0,0,1] op_sel_hi:[1,0,0]
	v_mul_f32_e32 v2, v11, v21
	v_mul_f32_e32 v3, v10, v21
	v_add_f32_e32 v26, v32, v26
	v_fma_f32 v2, v10, v20, -v2
	v_fmac_f32_e32 v3, v11, v20
	v_add_f32_e32 v50, v26, v2
	v_add_f32_e32 v51, v27, v3
	v_mul_f32_e32 v2, v11, v23
	v_mul_f32_e32 v3, v10, v23
	v_fma_f32 v2, v10, v22, -v2
	v_fmac_f32_e32 v3, v11, v22
	v_add_f32_e32 v48, v6, v2
	v_add_f32_e32 v49, v7, v3
	v_mul_f32_e32 v2, v11, v17
	v_mul_f32_e32 v3, v10, v17
	v_fma_f32 v2, v10, v16, -v2
	v_fmac_f32_e32 v3, v11, v16
	v_mov_b32_e32 v5, v1
	v_add_f32_e32 v47, v14, v2
	v_add_f32_e32 v46, v15, v3
	v_pk_mul_f32 v[2:3], v[10:11], v[18:19] op_sel:[0,1]
	v_pk_add_f32 v[0:1], v[12:13], v[4:5]
	v_pk_fma_f32 v[4:5], v[10:11], v[18:19], v[2:3] op_sel:[0,0,1] op_sel_hi:[1,1,0] neg_lo:[0,0,1] neg_hi:[0,0,1]
	v_pk_fma_f32 v[2:3], v[10:11], v[18:19], v[2:3] op_sel:[0,0,1] op_sel_hi:[1,0,0]
	v_mov_b32_e32 v5, v3
	v_pk_add_f32 v[36:37], v[0:1], v[4:5]
	s_cbranch_vccnz .LBB93_2
	s_branch .LBB93_4
.LBB93_3:
	v_mov_b32_e32 v37, 0
	v_mov_b32_e32 v36, v37
	v_mov_b32_e32 v79, v37
	v_mov_b32_e32 v80, v37
	v_mov_b32_e32 v77, v37
	v_mov_b32_e32 v78, v37
	v_mov_b32_e32 v75, v37
	v_mov_b32_e32 v76, v37
	v_mov_b32_e32 v73, v37
	v_mov_b32_e32 v74, v37
	v_mov_b32_e32 v71, v37
	v_mov_b32_e32 v72, v37
	v_mov_b32_e32 v69, v37
	v_mov_b32_e32 v70, v37
	v_mov_b32_e32 v67, v37
	v_mov_b32_e32 v68, v37
	v_mov_b32_e32 v65, v37
	v_mov_b32_e32 v66, v37
	v_mov_b32_e32 v63, v37
	v_mov_b32_e32 v64, v37
	v_mov_b32_e32 v61, v37
	v_mov_b32_e32 v62, v37
	v_mov_b32_e32 v59, v37
	v_mov_b32_e32 v60, v37
	v_mov_b32_e32 v57, v37
	v_mov_b32_e32 v58, v37
	v_mov_b32_e32 v50, v37
	v_mov_b32_e32 v51, v37
	v_mov_b32_e32 v48, v37
	v_mov_b32_e32 v49, v37
	v_mov_b32_e32 v47, v37
	v_mov_b32_e32 v46, v37
.LBB93_4:
	s_load_dwordx4 s[0:3], s[4:5], 0x78
	s_load_dwordx8 s[16:23], s[4:5], 0x58
	v_mov_b32_e32 v0, s29
	v_add_co_u32_e32 v4, vcc, s28, v45
	s_waitcnt lgkmcnt(0)
	s_mul_i32 s3, s8, s3
	s_mul_hi_u32 s4, s8, s2
	s_mul_i32 s2, s8, s2
	s_add_i32 s3, s4, s3
	s_lshl_b64 s[2:3], s[2:3], 3
	s_add_u32 s9, s22, s2
	s_addc_u32 s12, s23, s3
	v_addc_co_u32_e32 v5, vcc, 0, v0, vcc
	s_or_b32 s2, s10, s11
	s_bitset0_b32 s2, 31
	v_mov_b32_e32 v1, s7
	v_add_co_u32_e32 v0, vcc, s6, v44
	s_cmp_lg_u32 s2, 0
	v_addc_co_u32_e32 v1, vcc, 0, v1, vcc
	s_mov_b32 s2, s15
	s_mov_b32 s3, s14
	s_cbranch_scc1 .LBB93_6
; %bb.5:
	v_mul_lo_u32 v6, v5, s0
	v_mul_lo_u32 v7, v4, s1
	v_mad_u64_u32 v[2:3], s[4:5], v4, s0, 0
	v_add3_u32 v3, v3, v7, v6
	v_lshlrev_b64 v[2:3], 3, v[2:3]
	v_mov_b32_e32 v6, s12
	v_add_co_u32_e32 v8, vcc, s9, v2
	v_addc_co_u32_e32 v9, vcc, v6, v3, vcc
	v_lshlrev_b64 v[6:7], 3, v[0:1]
	v_mul_f32_e32 v2, s15, v80
	v_mul_f32_e32 v3, s14, v80
	v_add_co_u32_e32 v6, vcc, v8, v6
	v_fma_f32 v2, v79, s14, -v2
	v_fmac_f32_e32 v3, s15, v79
	v_addc_co_u32_e32 v7, vcc, v9, v7, vcc
	global_store_dwordx2 v[6:7], v[2:3], off
	v_mul_f32_e32 v2, s15, v78
	v_mul_f32_e32 v3, s14, v78
	v_fma_f32 v2, v77, s14, -v2
	v_fmac_f32_e32 v3, s15, v77
	global_store_dwordx2 v[6:7], v[2:3], off offset:128
	v_mul_f32_e32 v2, s15, v76
	v_mul_f32_e32 v3, s14, v76
	v_fma_f32 v2, v75, s14, -v2
	v_fmac_f32_e32 v3, s15, v75
	global_store_dwordx2 v[6:7], v[2:3], off offset:256
	v_mul_f32_e32 v2, s15, v74
	v_mul_f32_e32 v3, s14, v74
	v_fma_f32 v2, v73, s14, -v2
	v_fmac_f32_e32 v3, s15, v73
	s_lshl_b64 s[4:5], s[0:1], 7
	global_store_dwordx2 v[6:7], v[2:3], off offset:384
	v_mul_f32_e32 v2, s15, v72
	v_mul_f32_e32 v3, s14, v72
	v_mov_b32_e32 v9, s5
	v_add_co_u32_e32 v6, vcc, s4, v6
	v_fma_f32 v2, v71, s14, -v2
	v_fmac_f32_e32 v3, s15, v71
	v_addc_co_u32_e32 v7, vcc, v7, v9, vcc
	global_store_dwordx2 v[6:7], v[2:3], off
	v_mul_f32_e32 v2, s15, v70
	v_mul_f32_e32 v3, s14, v70
	v_fma_f32 v2, v69, s14, -v2
	v_fmac_f32_e32 v3, s15, v69
	global_store_dwordx2 v[6:7], v[2:3], off offset:128
	v_mul_f32_e32 v2, s15, v68
	v_mul_f32_e32 v3, s14, v68
	v_fma_f32 v2, v67, s14, -v2
	v_fmac_f32_e32 v3, s15, v67
	global_store_dwordx2 v[6:7], v[2:3], off offset:256
	;; [unrolled: 5-line block ×3, first 2 shown]
	v_mul_f32_e32 v2, s15, v64
	v_mul_f32_e32 v3, s14, v64
	v_add_co_u32_e32 v6, vcc, s4, v6
	v_fma_f32 v2, v63, s14, -v2
	v_fmac_f32_e32 v3, s15, v63
	v_addc_co_u32_e32 v7, vcc, v7, v9, vcc
	global_store_dwordx2 v[6:7], v[2:3], off
	v_mul_f32_e32 v2, s15, v62
	v_mul_f32_e32 v3, s14, v62
	v_fma_f32 v2, v61, s14, -v2
	v_fmac_f32_e32 v3, s15, v61
	global_store_dwordx2 v[6:7], v[2:3], off offset:128
	v_mul_f32_e32 v2, s15, v60
	v_mul_f32_e32 v3, s14, v60
	v_fma_f32 v2, v59, s14, -v2
	v_fmac_f32_e32 v3, s15, v59
	global_store_dwordx2 v[6:7], v[2:3], off offset:256
	;; [unrolled: 5-line block ×3, first 2 shown]
	v_mul_f32_e32 v2, s15, v51
	v_mul_f32_e32 v3, s14, v51
	v_add_co_u32_e32 v8, vcc, s4, v6
	v_fma_f32 v2, v50, s14, -v2
	v_fmac_f32_e32 v3, s15, v50
	v_addc_co_u32_e32 v9, vcc, v7, v9, vcc
	global_store_dwordx2 v[8:9], v[2:3], off
	v_mul_f32_e32 v2, s15, v49
	v_mul_f32_e32 v3, s14, v49
	v_fma_f32 v2, v48, s14, -v2
	v_fmac_f32_e32 v3, s15, v48
	global_store_dwordx2 v[8:9], v[2:3], off offset:128
	v_mul_f32_e32 v2, s15, v46
	v_mul_f32_e32 v3, s14, v46
	v_fma_f32 v2, v47, s14, -v2
	v_fmac_f32_e32 v3, s15, v47
	global_store_dwordx2 v[8:9], v[2:3], off offset:256
	v_mul_f32_e32 v2, s3, v36
	v_fma_f32 v7, -v37, s2, v2
	v_pk_mul_f32 v[2:3], v[36:37], s[2:3]
	v_add_f32_e32 v6, v2, v3
	v_add_co_u32_e32 v2, vcc, 0x180, v8
	v_addc_co_u32_e32 v3, vcc, 0, v9, vcc
	global_store_dword v[8:9], v7, off offset:384
	s_cbranch_execz .LBB93_7
	s_branch .LBB93_8
.LBB93_6:
                                        ; implicit-def: $vgpr6
                                        ; implicit-def: $vgpr2_vgpr3
.LBB93_7:
	s_mul_i32 s4, s8, s21
	s_mul_hi_u32 s5, s8, s20
	s_add_i32 s5, s5, s4
	s_mul_i32 s4, s8, s20
	s_lshl_b64 s[4:5], s[4:5], 3
	s_add_u32 s6, s16, s4
	s_addc_u32 s7, s17, s5
	v_mul_lo_u32 v6, v5, s18
	v_mul_lo_u32 v7, v4, s19
	v_mad_u64_u32 v[2:3], s[4:5], v4, s18, 0
	v_add3_u32 v3, v3, v7, v6
	v_lshlrev_b64 v[2:3], 3, v[2:3]
	v_mov_b32_e32 v6, s7
	v_add_co_u32_e32 v2, vcc, s6, v2
	v_addc_co_u32_e32 v3, vcc, v6, v3, vcc
	v_lshlrev_b64 v[0:1], 3, v[0:1]
	v_add_co_u32_e32 v2, vcc, v2, v0
	v_addc_co_u32_e32 v3, vcc, v3, v1, vcc
	global_load_dwordx2 v[6:7], v[2:3], off
	v_mul_lo_u32 v8, v5, s0
	v_mul_lo_u32 v9, v4, s1
	v_mad_u64_u32 v[4:5], s[4:5], v4, s0, 0
	v_add3_u32 v5, v5, v9, v8
	v_lshlrev_b64 v[4:5], 3, v[4:5]
	v_mov_b32_e32 v10, s12
	v_add_co_u32_e32 v4, vcc, s9, v4
	v_addc_co_u32_e32 v5, vcc, v10, v5, vcc
	v_add_co_u32_e32 v0, vcc, v4, v0
	v_mul_f32_e32 v11, s15, v80
	v_mul_f32_e32 v12, s14, v80
	v_addc_co_u32_e32 v1, vcc, v5, v1, vcc
	v_fma_f32 v8, v79, s14, -v11
	v_fmac_f32_e32 v12, s15, v79
	s_lshl_b64 s[4:5], s[18:19], 7
	s_lshl_b64 s[0:1], s[0:1], 7
	s_waitcnt vmcnt(0)
	v_mul_f32_e32 v4, s11, v7
	v_mul_f32_e32 v5, s10, v7
	v_fma_f32 v4, v6, s10, -v4
	v_fmac_f32_e32 v5, s11, v6
	v_add_f32_e32 v4, v8, v4
	v_add_f32_e32 v5, v12, v5
	global_store_dwordx2 v[0:1], v[4:5], off
	global_load_dwordx2 v[4:5], v[2:3], off offset:128
	v_mul_f32_e32 v6, s15, v78
	v_mul_f32_e32 v7, s14, v78
	v_fma_f32 v6, v77, s14, -v6
	v_fmac_f32_e32 v7, s15, v77
	s_waitcnt vmcnt(0)
	v_mul_f32_e32 v8, s11, v5
	v_mul_f32_e32 v5, s10, v5
	v_fma_f32 v8, v4, s10, -v8
	v_fmac_f32_e32 v5, s11, v4
	v_add_f32_e32 v4, v6, v8
	v_add_f32_e32 v5, v7, v5
	global_store_dwordx2 v[0:1], v[4:5], off offset:128
	global_load_dwordx2 v[4:5], v[2:3], off offset:256
	v_mul_f32_e32 v6, s15, v76
	v_mul_f32_e32 v7, s14, v76
	v_fma_f32 v6, v75, s14, -v6
	v_fmac_f32_e32 v7, s15, v75
	s_waitcnt vmcnt(0)
	v_mul_f32_e32 v8, s11, v5
	v_mul_f32_e32 v5, s10, v5
	v_fma_f32 v8, v4, s10, -v8
	v_fmac_f32_e32 v5, s11, v4
	v_add_f32_e32 v4, v6, v8
	v_add_f32_e32 v5, v7, v5
	global_store_dwordx2 v[0:1], v[4:5], off offset:256
	global_load_dwordx2 v[4:5], v[2:3], off offset:384
	v_mul_f32_e32 v6, s15, v74
	v_mul_f32_e32 v7, s14, v74
	v_fma_f32 v6, v73, s14, -v6
	v_fmac_f32_e32 v7, s15, v73
	v_mov_b32_e32 v8, s5
	v_add_co_u32_e32 v2, vcc, s4, v2
	v_addc_co_u32_e32 v3, vcc, v3, v8, vcc
	s_waitcnt vmcnt(0)
	v_mul_f32_e32 v9, s11, v5
	v_mul_f32_e32 v5, s10, v5
	v_fma_f32 v9, v4, s10, -v9
	v_fmac_f32_e32 v5, s11, v4
	v_add_f32_e32 v4, v6, v9
	v_add_f32_e32 v5, v7, v5
	global_store_dwordx2 v[0:1], v[4:5], off offset:384
	global_load_dwordx2 v[4:5], v[2:3], off
	v_mul_f32_e32 v6, s15, v72
	v_mul_f32_e32 v7, s14, v72
	v_fma_f32 v6, v71, s14, -v6
	v_fmac_f32_e32 v7, s15, v71
	v_mov_b32_e32 v9, s1
	v_add_co_u32_e32 v0, vcc, s0, v0
	v_addc_co_u32_e32 v1, vcc, v1, v9, vcc
	s_waitcnt vmcnt(0)
	v_mul_f32_e32 v10, s11, v5
	v_mul_f32_e32 v5, s10, v5
	v_fma_f32 v10, v4, s10, -v10
	v_fmac_f32_e32 v5, s11, v4
	v_add_f32_e32 v4, v6, v10
	v_add_f32_e32 v5, v7, v5
	global_store_dwordx2 v[0:1], v[4:5], off
	global_load_dwordx2 v[4:5], v[2:3], off offset:128
	v_mul_f32_e32 v6, s15, v70
	v_mul_f32_e32 v7, s14, v70
	v_fma_f32 v6, v69, s14, -v6
	v_fmac_f32_e32 v7, s15, v69
	s_waitcnt vmcnt(0)
	v_mul_f32_e32 v10, s11, v5
	v_mul_f32_e32 v5, s10, v5
	v_fma_f32 v10, v4, s10, -v10
	v_fmac_f32_e32 v5, s11, v4
	v_add_f32_e32 v4, v6, v10
	v_add_f32_e32 v5, v7, v5
	global_store_dwordx2 v[0:1], v[4:5], off offset:128
	global_load_dwordx2 v[4:5], v[2:3], off offset:256
	v_mul_f32_e32 v6, s15, v68
	v_mul_f32_e32 v7, s14, v68
	v_fma_f32 v6, v67, s14, -v6
	v_fmac_f32_e32 v7, s15, v67
	s_waitcnt vmcnt(0)
	v_mul_f32_e32 v10, s11, v5
	v_mul_f32_e32 v5, s10, v5
	v_fma_f32 v10, v4, s10, -v10
	v_fmac_f32_e32 v5, s11, v4
	v_add_f32_e32 v4, v6, v10
	v_add_f32_e32 v5, v7, v5
	global_store_dwordx2 v[0:1], v[4:5], off offset:256
	global_load_dwordx2 v[4:5], v[2:3], off offset:384
	v_mul_f32_e32 v6, s15, v66
	v_mul_f32_e32 v7, s14, v66
	v_fma_f32 v6, v65, s14, -v6
	v_fmac_f32_e32 v7, s15, v65
	v_add_co_u32_e32 v2, vcc, s4, v2
	v_addc_co_u32_e32 v3, vcc, v3, v8, vcc
	s_waitcnt vmcnt(0)
	v_mul_f32_e32 v10, s11, v5
	v_mul_f32_e32 v5, s10, v5
	v_fma_f32 v10, v4, s10, -v10
	v_fmac_f32_e32 v5, s11, v4
	v_add_f32_e32 v4, v6, v10
	v_add_f32_e32 v5, v7, v5
	global_store_dwordx2 v[0:1], v[4:5], off offset:384
	global_load_dwordx2 v[4:5], v[2:3], off
	v_mul_f32_e32 v6, s15, v64
	v_mul_f32_e32 v7, s14, v64
	v_fma_f32 v6, v63, s14, -v6
	v_fmac_f32_e32 v7, s15, v63
	v_add_co_u32_e32 v0, vcc, s0, v0
	v_addc_co_u32_e32 v1, vcc, v1, v9, vcc
	s_waitcnt vmcnt(0)
	v_mul_f32_e32 v10, s11, v5
	v_mul_f32_e32 v5, s10, v5
	v_fma_f32 v10, v4, s10, -v10
	v_fmac_f32_e32 v5, s11, v4
	v_add_f32_e32 v4, v6, v10
	v_add_f32_e32 v5, v7, v5
	global_store_dwordx2 v[0:1], v[4:5], off
	global_load_dwordx2 v[4:5], v[2:3], off offset:128
	v_mul_f32_e32 v6, s15, v62
	v_mul_f32_e32 v7, s14, v62
	v_fma_f32 v6, v61, s14, -v6
	v_fmac_f32_e32 v7, s15, v61
	s_waitcnt vmcnt(0)
	v_mul_f32_e32 v10, s11, v5
	v_mul_f32_e32 v5, s10, v5
	v_fma_f32 v10, v4, s10, -v10
	v_fmac_f32_e32 v5, s11, v4
	v_add_f32_e32 v4, v6, v10
	v_add_f32_e32 v5, v7, v5
	global_store_dwordx2 v[0:1], v[4:5], off offset:128
	global_load_dwordx2 v[4:5], v[2:3], off offset:256
	v_mul_f32_e32 v6, s15, v60
	v_mul_f32_e32 v7, s14, v60
	v_fma_f32 v6, v59, s14, -v6
	v_fmac_f32_e32 v7, s15, v59
	s_waitcnt vmcnt(0)
	v_mul_f32_e32 v10, s11, v5
	v_mul_f32_e32 v5, s10, v5
	v_fma_f32 v10, v4, s10, -v10
	v_fmac_f32_e32 v5, s11, v4
	v_add_f32_e32 v4, v6, v10
	v_add_f32_e32 v5, v7, v5
	global_store_dwordx2 v[0:1], v[4:5], off offset:256
	global_load_dwordx2 v[4:5], v[2:3], off offset:384
	v_add_co_u32_e32 v2, vcc, s4, v2
	v_mul_f32_e32 v6, s15, v58
	v_mul_f32_e32 v7, s14, v58
	v_addc_co_u32_e32 v3, vcc, v3, v8, vcc
	v_fma_f32 v6, v57, s14, -v6
	v_fmac_f32_e32 v7, s15, v57
	s_waitcnt vmcnt(0)
	v_mul_f32_e32 v8, s11, v5
	v_mul_f32_e32 v5, s10, v5
	v_fma_f32 v8, v4, s10, -v8
	v_fmac_f32_e32 v5, s11, v4
	v_add_f32_e32 v4, v6, v8
	v_add_f32_e32 v5, v7, v5
	global_store_dwordx2 v[0:1], v[4:5], off offset:384
	global_load_dwordx2 v[4:5], v[2:3], off
	v_mul_f32_e32 v6, s15, v51
	v_mul_f32_e32 v7, s14, v51
	v_fma_f32 v6, v50, s14, -v6
	v_fmac_f32_e32 v7, s15, v50
	v_add_co_u32_e32 v0, vcc, s0, v0
	v_addc_co_u32_e32 v1, vcc, v1, v9, vcc
	s_waitcnt vmcnt(0)
	v_mul_f32_e32 v8, s11, v5
	v_mul_f32_e32 v5, s10, v5
	v_fma_f32 v8, v4, s10, -v8
	v_fmac_f32_e32 v5, s11, v4
	v_add_f32_e32 v4, v6, v8
	v_add_f32_e32 v5, v7, v5
	global_store_dwordx2 v[0:1], v[4:5], off
	global_load_dwordx2 v[4:5], v[2:3], off offset:128
	v_mul_f32_e32 v6, s15, v49
	v_mul_f32_e32 v7, s14, v49
	v_fma_f32 v6, v48, s14, -v6
	v_fmac_f32_e32 v7, s15, v48
	s_waitcnt vmcnt(0)
	v_mul_f32_e32 v8, s11, v5
	v_mul_f32_e32 v5, s10, v5
	v_fma_f32 v8, v4, s10, -v8
	v_fmac_f32_e32 v5, s11, v4
	v_add_f32_e32 v4, v6, v8
	v_add_f32_e32 v5, v7, v5
	global_store_dwordx2 v[0:1], v[4:5], off offset:128
	global_load_dwordx2 v[4:5], v[2:3], off offset:256
	v_mul_f32_e32 v6, s15, v46
	v_mul_f32_e32 v7, s14, v46
	v_fma_f32 v6, v47, s14, -v6
	v_fmac_f32_e32 v7, s15, v47
	s_waitcnt vmcnt(0)
	v_mul_f32_e32 v8, s11, v5
	v_mul_f32_e32 v5, s10, v5
	v_fma_f32 v8, v4, s10, -v8
	v_fmac_f32_e32 v5, s11, v4
	v_add_f32_e32 v4, v6, v8
	v_add_f32_e32 v5, v7, v5
	global_store_dwordx2 v[0:1], v[4:5], off offset:256
	global_load_dwordx2 v[4:5], v[2:3], off offset:384
	v_mul_f32_e32 v6, s3, v36
	v_pk_mul_f32 v[2:3], v[36:37], s[2:3]
	v_fma_f32 v8, -v37, s2, v6
	v_add_f32_e32 v3, v2, v3
	v_add_co_u32_e32 v2, vcc, 0x180, v0
	s_waitcnt vmcnt(0)
	v_pk_mul_f32 v[6:7], v[4:5], s[10:11] op_sel:[0,1] op_sel_hi:[1,0]
	v_mul_f32_e32 v4, s10, v4
	v_fma_f32 v4, -v5, s11, v4
	v_add_f32_e32 v5, v6, v7
	v_add_f32_e32 v4, v8, v4
	;; [unrolled: 1-line block ×3, first 2 shown]
	v_addc_co_u32_e32 v3, vcc, 0, v1, vcc
	global_store_dword v[0:1], v4, off offset:384
.LBB93_8:
	global_store_dword v[2:3], v6, off offset:4
	s_endpgm
	.section	.rodata,"a",@progbits
	.p2align	6, 0x0
	.amdhsa_kernel _ZN12_GLOBAL__N_127rocblas_gemm_batched_kernelI19rocblas_complex_numIfELi16ELi16ELi64ELi64ELi4ELi64ELi4ELi4ELi64ELc67ELc67EKS2_S3_S2_EEvlllT_PT11_llS6_llS4_PT12_llPT13_lli
		.amdhsa_group_segment_fixed_size 4096
		.amdhsa_private_segment_fixed_size 0
		.amdhsa_kernarg_size 140
		.amdhsa_user_sgpr_count 6
		.amdhsa_user_sgpr_private_segment_buffer 1
		.amdhsa_user_sgpr_dispatch_ptr 0
		.amdhsa_user_sgpr_queue_ptr 0
		.amdhsa_user_sgpr_kernarg_segment_ptr 1
		.amdhsa_user_sgpr_dispatch_id 0
		.amdhsa_user_sgpr_flat_scratch_init 0
		.amdhsa_user_sgpr_kernarg_preload_length 0
		.amdhsa_user_sgpr_kernarg_preload_offset 0
		.amdhsa_user_sgpr_private_segment_size 0
		.amdhsa_uses_dynamic_stack 0
		.amdhsa_system_sgpr_private_segment_wavefront_offset 0
		.amdhsa_system_sgpr_workgroup_id_x 1
		.amdhsa_system_sgpr_workgroup_id_y 1
		.amdhsa_system_sgpr_workgroup_id_z 1
		.amdhsa_system_sgpr_workgroup_info 0
		.amdhsa_system_vgpr_workitem_id 1
		.amdhsa_next_free_vgpr 90
		.amdhsa_next_free_sgpr 30
		.amdhsa_accum_offset 92
		.amdhsa_reserve_vcc 1
		.amdhsa_reserve_flat_scratch 0
		.amdhsa_float_round_mode_32 0
		.amdhsa_float_round_mode_16_64 0
		.amdhsa_float_denorm_mode_32 3
		.amdhsa_float_denorm_mode_16_64 3
		.amdhsa_dx10_clamp 1
		.amdhsa_ieee_mode 1
		.amdhsa_fp16_overflow 0
		.amdhsa_tg_split 0
		.amdhsa_exception_fp_ieee_invalid_op 0
		.amdhsa_exception_fp_denorm_src 0
		.amdhsa_exception_fp_ieee_div_zero 0
		.amdhsa_exception_fp_ieee_overflow 0
		.amdhsa_exception_fp_ieee_underflow 0
		.amdhsa_exception_fp_ieee_inexact 0
		.amdhsa_exception_int_div_zero 0
	.end_amdhsa_kernel
	.section	.text._ZN12_GLOBAL__N_127rocblas_gemm_batched_kernelI19rocblas_complex_numIfELi16ELi16ELi64ELi64ELi4ELi64ELi4ELi4ELi64ELc67ELc67EKS2_S3_S2_EEvlllT_PT11_llS6_llS4_PT12_llPT13_lli,"axG",@progbits,_ZN12_GLOBAL__N_127rocblas_gemm_batched_kernelI19rocblas_complex_numIfELi16ELi16ELi64ELi64ELi4ELi64ELi4ELi4ELi64ELc67ELc67EKS2_S3_S2_EEvlllT_PT11_llS6_llS4_PT12_llPT13_lli,comdat
.Lfunc_end93:
	.size	_ZN12_GLOBAL__N_127rocblas_gemm_batched_kernelI19rocblas_complex_numIfELi16ELi16ELi64ELi64ELi4ELi64ELi4ELi4ELi64ELc67ELc67EKS2_S3_S2_EEvlllT_PT11_llS6_llS4_PT12_llPT13_lli, .Lfunc_end93-_ZN12_GLOBAL__N_127rocblas_gemm_batched_kernelI19rocblas_complex_numIfELi16ELi16ELi64ELi64ELi4ELi64ELi4ELi4ELi64ELc67ELc67EKS2_S3_S2_EEvlllT_PT11_llS6_llS4_PT12_llPT13_lli
                                        ; -- End function
	.section	.AMDGPU.csdata,"",@progbits
; Kernel info:
; codeLenInByte = 4744
; NumSgprs: 34
; NumVgprs: 90
; NumAgprs: 0
; TotalNumVgprs: 90
; ScratchSize: 0
; MemoryBound: 0
; FloatMode: 240
; IeeeMode: 1
; LDSByteSize: 4096 bytes/workgroup (compile time only)
; SGPRBlocks: 4
; VGPRBlocks: 11
; NumSGPRsForWavesPerEU: 34
; NumVGPRsForWavesPerEU: 90
; AccumOffset: 92
; Occupancy: 5
; WaveLimiterHint : 1
; COMPUTE_PGM_RSRC2:SCRATCH_EN: 0
; COMPUTE_PGM_RSRC2:USER_SGPR: 6
; COMPUTE_PGM_RSRC2:TRAP_HANDLER: 0
; COMPUTE_PGM_RSRC2:TGID_X_EN: 1
; COMPUTE_PGM_RSRC2:TGID_Y_EN: 1
; COMPUTE_PGM_RSRC2:TGID_Z_EN: 1
; COMPUTE_PGM_RSRC2:TIDIG_COMP_CNT: 1
; COMPUTE_PGM_RSRC3_GFX90A:ACCUM_OFFSET: 22
; COMPUTE_PGM_RSRC3_GFX90A:TG_SPLIT: 0
	.section	.text._ZN12_GLOBAL__N_127rocblas_gemm_batched_kernelI19rocblas_complex_numIfELi16ELi16ELi64ELi64ELi4ELi64ELi4ELi4ELi64ELc67ELc78EKS2_S3_S2_EEvlllT_PT11_llS6_llS4_PT12_llPT13_lli,"axG",@progbits,_ZN12_GLOBAL__N_127rocblas_gemm_batched_kernelI19rocblas_complex_numIfELi16ELi16ELi64ELi64ELi4ELi64ELi4ELi4ELi64ELc67ELc78EKS2_S3_S2_EEvlllT_PT11_llS6_llS4_PT12_llPT13_lli,comdat
	.globl	_ZN12_GLOBAL__N_127rocblas_gemm_batched_kernelI19rocblas_complex_numIfELi16ELi16ELi64ELi64ELi4ELi64ELi4ELi4ELi64ELc67ELc78EKS2_S3_S2_EEvlllT_PT11_llS6_llS4_PT12_llPT13_lli ; -- Begin function _ZN12_GLOBAL__N_127rocblas_gemm_batched_kernelI19rocblas_complex_numIfELi16ELi16ELi64ELi64ELi4ELi64ELi4ELi4ELi64ELc67ELc78EKS2_S3_S2_EEvlllT_PT11_llS6_llS4_PT12_llPT13_lli
	.p2align	8
	.type	_ZN12_GLOBAL__N_127rocblas_gemm_batched_kernelI19rocblas_complex_numIfELi16ELi16ELi64ELi64ELi4ELi64ELi4ELi4ELi64ELc67ELc78EKS2_S3_S2_EEvlllT_PT11_llS6_llS4_PT12_llPT13_lli,@function
_ZN12_GLOBAL__N_127rocblas_gemm_batched_kernelI19rocblas_complex_numIfELi16ELi16ELi64ELi64ELi4ELi64ELi4ELi4ELi64ELc67ELc78EKS2_S3_S2_EEvlllT_PT11_llS6_llS4_PT12_llPT13_lli: ; @_ZN12_GLOBAL__N_127rocblas_gemm_batched_kernelI19rocblas_complex_numIfELi16ELi16ELi64ELi64ELi4ELi64ELi4ELi4ELi64ELc67ELc78EKS2_S3_S2_EEvlllT_PT11_llS6_llS4_PT12_llPT13_lli
; %bb.0:
	s_load_dwordx16 s[12:27], s[4:5], 0x10
	s_load_dwordx2 s[10:11], s[4:5], 0x50
	s_mov_b32 s0, s7
	s_ashr_i32 s1, s0, 31
	s_ashr_i32 s7, s6, 31
	s_lshl_b64 s[28:29], s[0:1], 6
	s_waitcnt lgkmcnt(0)
	v_cmp_lt_i64_e64 s[0:1], s[12:13], 1
	v_bfe_u32 v45, v0, 10, 10
	v_and_b32_e32 v44, 0x3ff, v0
	s_lshl_b64 s[6:7], s[6:7], 6
	s_and_b64 vcc, exec, s[0:1]
	s_cbranch_vccnz .LBB94_3
; %bb.1:
	v_lshl_add_u32 v0, v45, 4, v44
	v_and_b32_e32 v4, 3, v44
	v_and_b32_e32 v5, 63, v0
	v_lshrrev_b32_e32 v1, 2, v0
	v_lshrrev_b32_e32 v6, 6, v0
	v_lshlrev_b32_e32 v0, 3, v5
	v_lshlrev_b32_e32 v4, 3, v4
	v_mov_b32_e32 v2, s29
	v_add_co_u32_e32 v3, vcc, s28, v1
	v_lshl_or_b32 v52, v6, 9, v0
	v_lshl_or_b32 v0, v1, 5, v4
	v_addc_co_u32_e32 v2, vcc, 0, v2, vcc
	v_add_u32_e32 v53, 0x800, v0
	v_mov_b32_e32 v0, 0x800
	v_lshl_add_u32 v55, v45, 5, v0
	v_mov_b32_e32 v0, s7
	v_add_co_u32_e32 v1, vcc, s6, v5
	v_addc_co_u32_e32 v0, vcc, 0, v0, vcc
	v_mul_lo_u32 v5, s19, v1
	v_mul_lo_u32 v7, s18, v0
	v_mad_u64_u32 v[0:1], s[0:1], s18, v1, 0
	s_mul_i32 s0, s21, s8
	s_mul_hi_u32 s1, s20, s8
	v_add3_u32 v1, v1, v7, v5
	s_add_i32 s1, s1, s0
	s_mul_i32 s0, s20, s8
	v_lshlrev_b64 v[0:1], 3, v[0:1]
	s_lshl_b64 s[0:1], s[0:1], 3
	v_mov_b32_e32 v5, s1
	v_add_co_u32_e32 v0, vcc, s0, v0
	v_addc_co_u32_e32 v1, vcc, v1, v5, vcc
	v_lshlrev_b32_e32 v5, 3, v6
	v_add_co_u32_e32 v0, vcc, v0, v5
	v_addc_co_u32_e32 v1, vcc, 0, v1, vcc
	v_mov_b32_e32 v5, s17
	v_add_co_u32_e32 v0, vcc, s16, v0
	v_addc_co_u32_e32 v1, vcc, v1, v5, vcc
	v_add_co_u32_e32 v38, vcc, 4, v0
	v_addc_co_u32_e32 v39, vcc, 0, v1, vcc
	v_mad_u64_u32 v[0:1], s[0:1], s24, v3, 0
	v_mul_lo_u32 v5, s25, v3
	v_mul_lo_u32 v2, s24, v2
	s_mul_i32 s0, s27, s8
	s_mul_hi_u32 s1, s26, s8
	v_add3_u32 v1, v1, v2, v5
	s_add_i32 s1, s1, s0
	s_mul_i32 s0, s26, s8
	v_lshlrev_b64 v[0:1], 3, v[0:1]
	s_lshl_b64 s[0:1], s[0:1], 3
	v_mov_b32_e32 v2, s1
	v_add_co_u32_e32 v0, vcc, s0, v0
	v_addc_co_u32_e32 v1, vcc, v1, v2, vcc
	v_add_co_u32_e32 v0, vcc, v0, v4
	v_addc_co_u32_e32 v1, vcc, 0, v1, vcc
	v_mov_b32_e32 v2, s23
	v_add_co_u32_e32 v40, vcc, s22, v0
	v_mov_b32_e32 v46, 0
	v_lshlrev_b32_e32 v54, 3, v44
	v_addc_co_u32_e32 v41, vcc, v2, v1, vcc
	s_mov_b64 s[0:1], 0
	v_pk_mov_b32 v[42:43], s[12:13], s[12:13] op_sel:[0,1]
	v_mov_b32_e32 v47, 0
	v_mov_b32_e32 v49, 0
	;; [unrolled: 1-line block ×31, first 2 shown]
.LBB94_2:                               ; =>This Inner Loop Header: Depth=1
	global_load_dwordx2 v[0:1], v[38:39], off offset:-4
	v_add_co_u32_e32 v38, vcc, 32, v38
	v_addc_co_u32_e32 v39, vcc, 0, v39, vcc
	s_add_u32 s0, s0, 4
	s_addc_u32 s1, s1, 0
	s_waitcnt vmcnt(0)
	v_xor_b32_e32 v1, 0x80000000, v1
	ds_write_b64 v52, v[0:1]
	global_load_dwordx2 v[0:1], v[40:41], off
	v_add_co_u32_e32 v40, vcc, 32, v40
	v_addc_co_u32_e32 v41, vcc, 0, v41, vcc
	v_cmp_lt_i64_e32 vcc, s[0:1], v[42:43]
	s_and_b64 vcc, exec, vcc
	s_waitcnt vmcnt(0)
	ds_write_b64 v53, v[0:1]
	s_waitcnt lgkmcnt(0)
	s_barrier
	ds_read_b128 v[0:3], v55
	ds_read_b128 v[32:35], v55 offset:16
	ds_read2_b64 v[8:11], v54 offset1:16
	ds_read2_b64 v[12:15], v54 offset0:32 offset1:48
	s_waitcnt lgkmcnt(1)
	v_mul_f32_e32 v4, v1, v9
	v_fma_f32 v4, v0, v8, -v4
	v_mul_f32_e32 v5, v0, v9
	v_add_f32_e32 v20, v78, v4
	v_mul_f32_e32 v4, v1, v11
	v_fmac_f32_e32 v5, v1, v8
	v_fma_f32 v4, v0, v10, -v4
	v_add_f32_e32 v21, v79, v5
	v_mul_f32_e32 v5, v0, v11
	v_add_f32_e32 v22, v76, v4
	s_waitcnt lgkmcnt(0)
	v_mul_f32_e32 v4, v1, v13
	v_fmac_f32_e32 v5, v1, v10
	v_fma_f32 v4, v0, v12, -v4
	v_add_f32_e32 v23, v77, v5
	v_mul_f32_e32 v5, v0, v13
	v_add_f32_e32 v74, v74, v4
	v_mul_f32_e32 v4, v1, v15
	v_fmac_f32_e32 v5, v1, v12
	v_fma_f32 v4, v0, v14, -v4
	v_mul_f32_e32 v0, v0, v15
	v_add_f32_e32 v75, v75, v5
	v_fmac_f32_e32 v0, v1, v14
	v_add_f32_e32 v1, v72, v4
	ds_read_b128 v[4:7], v55 offset:512
	ds_read_b128 v[78:81], v55 offset:1040
	v_add_f32_e32 v0, v73, v0
	s_waitcnt lgkmcnt(1)
	v_mul_f32_e32 v16, v5, v9
	v_fma_f32 v16, v4, v8, -v16
	v_mul_f32_e32 v17, v4, v9
	v_add_f32_e32 v70, v70, v16
	v_mul_f32_e32 v16, v5, v11
	v_fmac_f32_e32 v17, v5, v8
	v_fma_f32 v16, v4, v10, -v16
	v_add_f32_e32 v71, v71, v17
	v_mul_f32_e32 v17, v4, v11
	v_add_f32_e32 v68, v68, v16
	v_mul_f32_e32 v16, v5, v13
	v_fmac_f32_e32 v17, v5, v10
	v_fma_f32 v16, v4, v12, -v16
	v_add_f32_e32 v69, v69, v17
	v_mul_f32_e32 v17, v4, v13
	v_add_f32_e32 v66, v66, v16
	v_mul_f32_e32 v16, v5, v15
	v_fmac_f32_e32 v17, v5, v12
	v_fma_f32 v16, v4, v14, -v16
	v_mul_f32_e32 v4, v4, v15
	v_add_f32_e32 v67, v67, v17
	v_fmac_f32_e32 v4, v5, v14
	v_add_f32_e32 v5, v64, v16
	ds_read_b128 v[16:19], v55 offset:1024
	v_add_f32_e32 v4, v65, v4
	s_waitcnt lgkmcnt(0)
	v_mul_f32_e32 v24, v17, v9
	v_fma_f32 v24, v16, v8, -v24
	v_mul_f32_e32 v25, v16, v9
	v_add_f32_e32 v62, v62, v24
	v_mul_f32_e32 v24, v17, v11
	v_fmac_f32_e32 v25, v17, v8
	v_fma_f32 v24, v16, v10, -v24
	v_add_f32_e32 v63, v63, v25
	v_mul_f32_e32 v25, v16, v11
	v_add_f32_e32 v60, v60, v24
	v_mul_f32_e32 v24, v17, v13
	v_fmac_f32_e32 v25, v17, v10
	v_fma_f32 v24, v16, v12, -v24
	v_add_f32_e32 v61, v61, v25
	v_mul_f32_e32 v25, v16, v13
	v_add_f32_e32 v58, v58, v24
	v_mul_f32_e32 v24, v17, v15
	v_fmac_f32_e32 v25, v17, v12
	v_fma_f32 v24, v16, v14, -v24
	v_mul_f32_e32 v16, v16, v15
	v_add_f32_e32 v59, v59, v25
	v_fmac_f32_e32 v16, v17, v14
	v_add_f32_e32 v17, v56, v24
	ds_read2_b64 v[24:27], v54 offset0:64 offset1:80
	v_add_f32_e32 v16, v57, v16
	s_waitcnt lgkmcnt(0)
	v_mul_f32_e32 v28, v3, v25
	v_mul_f32_e32 v29, v2, v25
	v_fma_f32 v28, v2, v24, -v28
	v_fmac_f32_e32 v29, v3, v24
	v_add_f32_e32 v20, v20, v28
	v_add_f32_e32 v21, v21, v29
	v_mul_f32_e32 v28, v3, v27
	v_mul_f32_e32 v29, v2, v27
	v_fma_f32 v28, v2, v26, -v28
	v_fmac_f32_e32 v29, v3, v26
	v_add_f32_e32 v22, v22, v28
	v_add_f32_e32 v23, v23, v29
	ds_read2_b64 v[28:31], v54 offset0:96 offset1:112
	s_waitcnt lgkmcnt(0)
	v_mul_f32_e32 v56, v3, v29
	v_mul_f32_e32 v64, v3, v31
	v_fma_f32 v56, v2, v28, -v56
	v_mul_f32_e32 v57, v2, v29
	v_fma_f32 v64, v2, v30, -v64
	v_mul_f32_e32 v2, v2, v31
	v_fmac_f32_e32 v2, v3, v30
	v_add_f32_e32 v64, v1, v64
	v_add_f32_e32 v65, v0, v2
	v_mul_f32_e32 v0, v7, v25
	v_mul_f32_e32 v1, v6, v25
	v_fma_f32 v0, v6, v24, -v0
	v_fmac_f32_e32 v1, v7, v24
	v_add_f32_e32 v70, v70, v0
	v_add_f32_e32 v71, v71, v1
	v_mul_f32_e32 v0, v7, v27
	v_mul_f32_e32 v1, v6, v27
	v_fma_f32 v0, v6, v26, -v0
	;; [unrolled: 6-line block ×6, first 2 shown]
	v_fmac_f32_e32 v1, v19, v26
	ds_read2_b64 v[4:7], v54 offset0:128 offset1:144
	v_add_f32_e32 v60, v60, v0
	v_add_f32_e32 v61, v61, v1
	v_mul_f32_e32 v0, v19, v29
	v_mul_f32_e32 v1, v18, v29
	v_fmac_f32_e32 v57, v3, v28
	v_fma_f32 v0, v18, v28, -v0
	v_fmac_f32_e32 v1, v19, v28
	v_add_f32_e32 v56, v74, v56
	v_add_f32_e32 v57, v75, v57
	v_add_f32_e32 v74, v58, v0
	v_add_f32_e32 v75, v59, v1
	v_mul_f32_e32 v0, v19, v31
	v_mul_f32_e32 v1, v18, v31
	v_fma_f32 v0, v18, v30, -v0
	v_fmac_f32_e32 v1, v19, v30
	v_add_f32_e32 v17, v17, v0
	v_add_f32_e32 v16, v16, v1
	s_waitcnt lgkmcnt(0)
	v_mul_f32_e32 v0, v33, v5
	v_mul_f32_e32 v1, v32, v5
	v_fma_f32 v0, v32, v4, -v0
	v_fmac_f32_e32 v1, v33, v4
	v_add_f32_e32 v18, v20, v0
	v_add_f32_e32 v19, v21, v1
	v_mul_f32_e32 v0, v33, v7
	v_mul_f32_e32 v1, v32, v7
	v_fma_f32 v0, v32, v6, -v0
	v_fmac_f32_e32 v1, v33, v6
	v_add_f32_e32 v76, v22, v0
	v_add_f32_e32 v77, v23, v1
	ds_read2_b64 v[0:3], v54 offset0:160 offset1:176
	s_waitcnt lgkmcnt(0)
	v_mul_f32_e32 v20, v33, v1
	v_mul_f32_e32 v21, v32, v1
	v_fma_f32 v20, v32, v0, -v20
	v_fmac_f32_e32 v21, v33, v0
	v_add_f32_e32 v82, v56, v20
	v_add_f32_e32 v83, v57, v21
	ds_read_b128 v[56:59], v55 offset:528
	v_mul_f32_e32 v20, v33, v3
	v_mul_f32_e32 v21, v32, v3
	v_fma_f32 v20, v32, v2, -v20
	v_fmac_f32_e32 v21, v33, v2
	v_add_f32_e32 v32, v64, v20
	v_add_f32_e32 v33, v65, v21
	s_waitcnt lgkmcnt(0)
	v_mul_f32_e32 v20, v57, v5
	v_mul_f32_e32 v21, v56, v5
	v_fma_f32 v20, v56, v4, -v20
	v_fmac_f32_e32 v21, v57, v4
	v_add_f32_e32 v64, v70, v20
	v_add_f32_e32 v65, v71, v21
	v_mul_f32_e32 v20, v57, v7
	v_mul_f32_e32 v21, v56, v7
	v_fma_f32 v20, v56, v6, -v20
	v_fmac_f32_e32 v21, v57, v6
	v_add_f32_e32 v68, v68, v20
	v_add_f32_e32 v69, v69, v21
	;; [unrolled: 6-line block ×8, first 2 shown]
	ds_read2_b64 v[20:23], v54 offset0:192 offset1:208
	s_waitcnt lgkmcnt(0)
	v_mul_f32_e32 v16, v35, v21
	v_mul_f32_e32 v17, v34, v21
	v_fma_f32 v16, v34, v20, -v16
	v_fmac_f32_e32 v17, v35, v20
	v_add_f32_e32 v78, v18, v16
	v_add_f32_e32 v79, v19, v17
	v_mul_f32_e32 v16, v35, v23
	v_mul_f32_e32 v17, v34, v23
	v_fma_f32 v16, v34, v22, -v16
	v_fmac_f32_e32 v17, v35, v22
	v_add_f32_e32 v76, v76, v16
	v_add_f32_e32 v77, v77, v17
	ds_read2_b64 v[16:19], v54 offset0:224 offset1:240
	s_waitcnt lgkmcnt(0)
	v_mul_f32_e32 v70, v35, v17
	v_fma_f32 v70, v34, v16, -v70
	v_add_f32_e32 v74, v82, v70
	v_mul_f32_e32 v70, v35, v19
	v_mul_f32_e32 v71, v34, v17
	v_fma_f32 v70, v34, v18, -v70
	v_mul_f32_e32 v34, v34, v19
	v_fmac_f32_e32 v34, v35, v18
	v_add_f32_e32 v72, v32, v70
	v_add_f32_e32 v73, v33, v34
	v_mul_f32_e32 v32, v59, v21
	v_mul_f32_e32 v33, v58, v21
	v_fmac_f32_e32 v71, v35, v16
	v_fma_f32 v32, v58, v20, -v32
	v_fmac_f32_e32 v33, v59, v20
	v_add_f32_e32 v75, v83, v71
	v_add_f32_e32 v70, v64, v32
	;; [unrolled: 1-line block ×3, first 2 shown]
	v_mul_f32_e32 v32, v59, v23
	v_mul_f32_e32 v33, v58, v23
	v_fma_f32 v32, v58, v22, -v32
	v_fmac_f32_e32 v33, v59, v22
	v_add_f32_e32 v68, v68, v32
	v_add_f32_e32 v69, v69, v33
	v_mul_f32_e32 v32, v59, v17
	v_mul_f32_e32 v33, v58, v17
	v_fma_f32 v32, v58, v16, -v32
	v_fmac_f32_e32 v33, v59, v16
	v_add_f32_e32 v66, v66, v32
	v_add_f32_e32 v67, v67, v33
	v_mul_f32_e32 v32, v59, v19
	v_mul_f32_e32 v33, v58, v19
	v_fma_f32 v32, v58, v18, -v32
	v_fmac_f32_e32 v33, v59, v18
	v_add_f32_e32 v64, v56, v32
	v_add_f32_e32 v65, v57, v33
	v_mul_f32_e32 v32, v81, v21
	v_mul_f32_e32 v33, v80, v21
	v_fma_f32 v32, v80, v20, -v32
	v_fmac_f32_e32 v33, v81, v20
	v_add_f32_e32 v62, v62, v32
	v_add_f32_e32 v63, v63, v33
	v_mul_f32_e32 v32, v81, v23
	v_mul_f32_e32 v33, v80, v23
	v_fma_f32 v32, v80, v22, -v32
	v_fmac_f32_e32 v33, v81, v22
	v_add_f32_e32 v60, v60, v32
	v_add_f32_e32 v61, v61, v33
	v_mul_f32_e32 v32, v81, v17
	v_mul_f32_e32 v33, v80, v17
	v_fma_f32 v32, v80, v16, -v32
	v_fmac_f32_e32 v33, v81, v16
	v_add_f32_e32 v58, v84, v32
	v_add_f32_e32 v59, v85, v33
	v_mul_f32_e32 v32, v81, v19
	v_mul_f32_e32 v33, v80, v19
	v_fma_f32 v32, v80, v18, -v32
	v_fmac_f32_e32 v33, v81, v18
	v_add_f32_e32 v56, v86, v32
	v_add_f32_e32 v57, v87, v33
	ds_read_b128 v[32:35], v55 offset:1536
	s_waitcnt lgkmcnt(0)
	v_mul_f32_e32 v80, v33, v9
	v_mul_f32_e32 v9, v32, v9
	v_fmac_f32_e32 v9, v33, v8
	v_fma_f32 v80, v32, v8, -v80
	v_add_f32_e32 v51, v51, v9
	v_mul_f32_e32 v8, v33, v11
	v_mul_f32_e32 v9, v32, v11
	v_fma_f32 v8, v32, v10, -v8
	v_fmac_f32_e32 v9, v33, v10
	v_add_f32_e32 v48, v48, v8
	v_add_f32_e32 v49, v49, v9
	v_mul_f32_e32 v8, v33, v13
	v_mul_f32_e32 v9, v32, v13
	v_fma_f32 v8, v32, v12, -v8
	v_fmac_f32_e32 v9, v33, v12
	v_add_f32_e32 v12, v47, v8
	v_add_f32_e32 v13, v46, v9
	v_pk_mul_f32 v[8:9], v[32:33], v[14:15] op_sel:[0,1]
	v_pk_fma_f32 v[10:11], v[32:33], v[14:15], v[8:9] op_sel:[0,0,1] op_sel_hi:[1,1,0] neg_lo:[0,0,1] neg_hi:[0,0,1]
	v_pk_fma_f32 v[8:9], v[32:33], v[14:15], v[8:9] op_sel:[0,0,1] op_sel_hi:[1,0,0]
	v_mov_b32_e32 v11, v9
	v_pk_add_f32 v[8:9], v[36:37], v[10:11]
	v_mul_f32_e32 v10, v35, v25
	v_mul_f32_e32 v11, v34, v25
	v_add_f32_e32 v50, v50, v80
	v_fma_f32 v10, v34, v24, -v10
	v_fmac_f32_e32 v11, v35, v24
	v_add_f32_e32 v32, v50, v10
	v_add_f32_e32 v33, v51, v11
	v_mul_f32_e32 v10, v35, v27
	v_mul_f32_e32 v11, v34, v27
	v_fma_f32 v10, v34, v26, -v10
	v_fmac_f32_e32 v11, v35, v26
	v_add_f32_e32 v24, v48, v10
	v_add_f32_e32 v25, v49, v11
	v_mul_f32_e32 v10, v35, v29
	v_mul_f32_e32 v11, v34, v29
	v_fma_f32 v10, v34, v28, -v10
	v_fmac_f32_e32 v11, v35, v28
	v_add_f32_e32 v14, v12, v10
	v_add_f32_e32 v15, v13, v11
	v_pk_mul_f32 v[10:11], v[34:35], v[30:31] op_sel:[0,1]
	v_pk_fma_f32 v[12:13], v[34:35], v[30:31], v[10:11] op_sel:[0,0,1] op_sel_hi:[1,1,0] neg_lo:[0,0,1] neg_hi:[0,0,1]
	v_pk_fma_f32 v[10:11], v[34:35], v[30:31], v[10:11] op_sel:[0,0,1] op_sel_hi:[1,0,0]
	v_mov_b32_e32 v13, v11
	v_pk_add_f32 v[12:13], v[8:9], v[12:13]
	ds_read_b128 v[8:11], v55 offset:1552
	s_waitcnt lgkmcnt(0)
	s_barrier
	v_mul_f32_e32 v26, v9, v5
	v_mul_f32_e32 v5, v8, v5
	v_fma_f32 v26, v8, v4, -v26
	v_fmac_f32_e32 v5, v9, v4
	v_mul_f32_e32 v4, v9, v7
	v_add_f32_e32 v27, v33, v5
	v_fma_f32 v4, v8, v6, -v4
	v_mul_f32_e32 v5, v8, v7
	v_fmac_f32_e32 v5, v9, v6
	v_add_f32_e32 v6, v24, v4
	v_mul_f32_e32 v4, v9, v1
	v_mul_f32_e32 v1, v8, v1
	v_fmac_f32_e32 v1, v9, v0
	v_fma_f32 v4, v8, v0, -v4
	v_add_f32_e32 v15, v15, v1
	v_pk_mul_f32 v[0:1], v[8:9], v[2:3] op_sel:[0,1]
	v_add_f32_e32 v7, v25, v5
	v_add_f32_e32 v14, v14, v4
	v_pk_fma_f32 v[4:5], v[8:9], v[2:3], v[0:1] op_sel:[0,0,1] op_sel_hi:[1,1,0] neg_lo:[0,0,1] neg_hi:[0,0,1]
	v_pk_fma_f32 v[0:1], v[8:9], v[2:3], v[0:1] op_sel:[0,0,1] op_sel_hi:[1,0,0]
	v_mul_f32_e32 v2, v11, v21
	v_mul_f32_e32 v3, v10, v21
	v_add_f32_e32 v26, v32, v26
	v_fma_f32 v2, v10, v20, -v2
	v_fmac_f32_e32 v3, v11, v20
	v_add_f32_e32 v50, v26, v2
	v_add_f32_e32 v51, v27, v3
	v_mul_f32_e32 v2, v11, v23
	v_mul_f32_e32 v3, v10, v23
	v_fma_f32 v2, v10, v22, -v2
	v_fmac_f32_e32 v3, v11, v22
	v_add_f32_e32 v48, v6, v2
	v_add_f32_e32 v49, v7, v3
	v_mul_f32_e32 v2, v11, v17
	v_mul_f32_e32 v3, v10, v17
	v_fma_f32 v2, v10, v16, -v2
	v_fmac_f32_e32 v3, v11, v16
	v_mov_b32_e32 v5, v1
	v_add_f32_e32 v47, v14, v2
	v_add_f32_e32 v46, v15, v3
	v_pk_mul_f32 v[2:3], v[10:11], v[18:19] op_sel:[0,1]
	v_pk_add_f32 v[0:1], v[12:13], v[4:5]
	v_pk_fma_f32 v[4:5], v[10:11], v[18:19], v[2:3] op_sel:[0,0,1] op_sel_hi:[1,1,0] neg_lo:[0,0,1] neg_hi:[0,0,1]
	v_pk_fma_f32 v[2:3], v[10:11], v[18:19], v[2:3] op_sel:[0,0,1] op_sel_hi:[1,0,0]
	v_mov_b32_e32 v5, v3
	v_pk_add_f32 v[36:37], v[0:1], v[4:5]
	s_cbranch_vccnz .LBB94_2
	s_branch .LBB94_4
.LBB94_3:
	v_mov_b32_e32 v37, 0
	v_mov_b32_e32 v36, v37
	;; [unrolled: 1-line block ×32, first 2 shown]
.LBB94_4:
	s_load_dwordx4 s[0:3], s[4:5], 0x78
	s_load_dwordx8 s[16:23], s[4:5], 0x58
	v_mov_b32_e32 v0, s29
	v_add_co_u32_e32 v4, vcc, s28, v45
	s_waitcnt lgkmcnt(0)
	s_mul_i32 s3, s8, s3
	s_mul_hi_u32 s4, s8, s2
	s_mul_i32 s2, s8, s2
	s_add_i32 s3, s4, s3
	s_lshl_b64 s[2:3], s[2:3], 3
	s_add_u32 s9, s22, s2
	s_addc_u32 s12, s23, s3
	v_addc_co_u32_e32 v5, vcc, 0, v0, vcc
	s_or_b32 s2, s10, s11
	s_bitset0_b32 s2, 31
	v_mov_b32_e32 v1, s7
	v_add_co_u32_e32 v0, vcc, s6, v44
	s_cmp_lg_u32 s2, 0
	v_addc_co_u32_e32 v1, vcc, 0, v1, vcc
	s_mov_b32 s2, s15
	s_mov_b32 s3, s14
	s_cbranch_scc1 .LBB94_6
; %bb.5:
	v_mul_lo_u32 v6, v5, s0
	v_mul_lo_u32 v7, v4, s1
	v_mad_u64_u32 v[2:3], s[4:5], v4, s0, 0
	v_add3_u32 v3, v3, v7, v6
	v_lshlrev_b64 v[2:3], 3, v[2:3]
	v_mov_b32_e32 v6, s12
	v_add_co_u32_e32 v8, vcc, s9, v2
	v_addc_co_u32_e32 v9, vcc, v6, v3, vcc
	v_lshlrev_b64 v[6:7], 3, v[0:1]
	v_mul_f32_e32 v2, s15, v79
	v_mul_f32_e32 v3, s14, v79
	v_add_co_u32_e32 v6, vcc, v8, v6
	v_fma_f32 v2, v78, s14, -v2
	v_fmac_f32_e32 v3, s15, v78
	v_addc_co_u32_e32 v7, vcc, v9, v7, vcc
	global_store_dwordx2 v[6:7], v[2:3], off
	v_mul_f32_e32 v2, s15, v77
	v_mul_f32_e32 v3, s14, v77
	v_fma_f32 v2, v76, s14, -v2
	v_fmac_f32_e32 v3, s15, v76
	global_store_dwordx2 v[6:7], v[2:3], off offset:128
	v_mul_f32_e32 v2, s15, v75
	v_mul_f32_e32 v3, s14, v75
	v_fma_f32 v2, v74, s14, -v2
	v_fmac_f32_e32 v3, s15, v74
	global_store_dwordx2 v[6:7], v[2:3], off offset:256
	v_mul_f32_e32 v2, s15, v73
	v_mul_f32_e32 v3, s14, v73
	v_fma_f32 v2, v72, s14, -v2
	v_fmac_f32_e32 v3, s15, v72
	s_lshl_b64 s[4:5], s[0:1], 7
	global_store_dwordx2 v[6:7], v[2:3], off offset:384
	v_mul_f32_e32 v2, s15, v71
	v_mul_f32_e32 v3, s14, v71
	v_mov_b32_e32 v9, s5
	v_add_co_u32_e32 v6, vcc, s4, v6
	v_fma_f32 v2, v70, s14, -v2
	v_fmac_f32_e32 v3, s15, v70
	v_addc_co_u32_e32 v7, vcc, v7, v9, vcc
	global_store_dwordx2 v[6:7], v[2:3], off
	v_mul_f32_e32 v2, s15, v69
	v_mul_f32_e32 v3, s14, v69
	v_fma_f32 v2, v68, s14, -v2
	v_fmac_f32_e32 v3, s15, v68
	global_store_dwordx2 v[6:7], v[2:3], off offset:128
	v_mul_f32_e32 v2, s15, v67
	v_mul_f32_e32 v3, s14, v67
	v_fma_f32 v2, v66, s14, -v2
	v_fmac_f32_e32 v3, s15, v66
	global_store_dwordx2 v[6:7], v[2:3], off offset:256
	v_mul_f32_e32 v2, s15, v65
	v_mul_f32_e32 v3, s14, v65
	v_fma_f32 v2, v64, s14, -v2
	v_fmac_f32_e32 v3, s15, v64
	global_store_dwordx2 v[6:7], v[2:3], off offset:384
	v_mul_f32_e32 v2, s15, v63
	v_mul_f32_e32 v3, s14, v63
	v_add_co_u32_e32 v6, vcc, s4, v6
	v_fma_f32 v2, v62, s14, -v2
	v_fmac_f32_e32 v3, s15, v62
	v_addc_co_u32_e32 v7, vcc, v7, v9, vcc
	global_store_dwordx2 v[6:7], v[2:3], off
	v_mul_f32_e32 v2, s15, v61
	v_mul_f32_e32 v3, s14, v61
	v_fma_f32 v2, v60, s14, -v2
	v_fmac_f32_e32 v3, s15, v60
	global_store_dwordx2 v[6:7], v[2:3], off offset:128
	v_mul_f32_e32 v2, s15, v59
	v_mul_f32_e32 v3, s14, v59
	v_fma_f32 v2, v58, s14, -v2
	v_fmac_f32_e32 v3, s15, v58
	global_store_dwordx2 v[6:7], v[2:3], off offset:256
	;; [unrolled: 5-line block ×3, first 2 shown]
	v_mul_f32_e32 v2, s15, v51
	v_mul_f32_e32 v3, s14, v51
	v_add_co_u32_e32 v8, vcc, s4, v6
	v_fma_f32 v2, v50, s14, -v2
	v_fmac_f32_e32 v3, s15, v50
	v_addc_co_u32_e32 v9, vcc, v7, v9, vcc
	global_store_dwordx2 v[8:9], v[2:3], off
	v_mul_f32_e32 v2, s15, v49
	v_mul_f32_e32 v3, s14, v49
	v_fma_f32 v2, v48, s14, -v2
	v_fmac_f32_e32 v3, s15, v48
	global_store_dwordx2 v[8:9], v[2:3], off offset:128
	v_mul_f32_e32 v2, s15, v46
	v_mul_f32_e32 v3, s14, v46
	v_fma_f32 v2, v47, s14, -v2
	v_fmac_f32_e32 v3, s15, v47
	global_store_dwordx2 v[8:9], v[2:3], off offset:256
	v_mul_f32_e32 v2, s3, v36
	v_fma_f32 v7, -v37, s2, v2
	v_pk_mul_f32 v[2:3], v[36:37], s[2:3]
	v_add_f32_e32 v6, v2, v3
	v_add_co_u32_e32 v2, vcc, 0x180, v8
	v_addc_co_u32_e32 v3, vcc, 0, v9, vcc
	global_store_dword v[8:9], v7, off offset:384
	s_cbranch_execz .LBB94_7
	s_branch .LBB94_8
.LBB94_6:
                                        ; implicit-def: $vgpr6
                                        ; implicit-def: $vgpr2_vgpr3
.LBB94_7:
	s_mul_i32 s4, s8, s21
	s_mul_hi_u32 s5, s8, s20
	s_add_i32 s5, s5, s4
	s_mul_i32 s4, s8, s20
	s_lshl_b64 s[4:5], s[4:5], 3
	s_add_u32 s6, s16, s4
	s_addc_u32 s7, s17, s5
	v_mul_lo_u32 v6, v5, s18
	v_mul_lo_u32 v7, v4, s19
	v_mad_u64_u32 v[2:3], s[4:5], v4, s18, 0
	v_add3_u32 v3, v3, v7, v6
	v_lshlrev_b64 v[2:3], 3, v[2:3]
	v_mov_b32_e32 v6, s7
	v_add_co_u32_e32 v2, vcc, s6, v2
	v_addc_co_u32_e32 v3, vcc, v6, v3, vcc
	v_lshlrev_b64 v[0:1], 3, v[0:1]
	v_add_co_u32_e32 v2, vcc, v2, v0
	v_addc_co_u32_e32 v3, vcc, v3, v1, vcc
	global_load_dwordx2 v[6:7], v[2:3], off
	v_mul_lo_u32 v8, v5, s0
	v_mul_lo_u32 v9, v4, s1
	v_mad_u64_u32 v[4:5], s[4:5], v4, s0, 0
	v_add3_u32 v5, v5, v9, v8
	v_lshlrev_b64 v[4:5], 3, v[4:5]
	v_mov_b32_e32 v10, s12
	v_add_co_u32_e32 v4, vcc, s9, v4
	v_addc_co_u32_e32 v5, vcc, v10, v5, vcc
	v_add_co_u32_e32 v0, vcc, v4, v0
	v_mul_f32_e32 v11, s15, v79
	v_mul_f32_e32 v12, s14, v79
	v_addc_co_u32_e32 v1, vcc, v5, v1, vcc
	v_fma_f32 v8, v78, s14, -v11
	v_fmac_f32_e32 v12, s15, v78
	s_lshl_b64 s[4:5], s[18:19], 7
	s_lshl_b64 s[0:1], s[0:1], 7
	s_waitcnt vmcnt(0)
	v_mul_f32_e32 v4, s11, v7
	v_mul_f32_e32 v5, s10, v7
	v_fma_f32 v4, v6, s10, -v4
	v_fmac_f32_e32 v5, s11, v6
	v_add_f32_e32 v4, v8, v4
	v_add_f32_e32 v5, v12, v5
	global_store_dwordx2 v[0:1], v[4:5], off
	global_load_dwordx2 v[4:5], v[2:3], off offset:128
	v_mul_f32_e32 v6, s15, v77
	v_mul_f32_e32 v7, s14, v77
	v_fma_f32 v6, v76, s14, -v6
	v_fmac_f32_e32 v7, s15, v76
	s_waitcnt vmcnt(0)
	v_mul_f32_e32 v8, s11, v5
	v_mul_f32_e32 v5, s10, v5
	v_fma_f32 v8, v4, s10, -v8
	v_fmac_f32_e32 v5, s11, v4
	v_add_f32_e32 v4, v6, v8
	v_add_f32_e32 v5, v7, v5
	global_store_dwordx2 v[0:1], v[4:5], off offset:128
	global_load_dwordx2 v[4:5], v[2:3], off offset:256
	v_mul_f32_e32 v6, s15, v75
	v_mul_f32_e32 v7, s14, v75
	v_fma_f32 v6, v74, s14, -v6
	v_fmac_f32_e32 v7, s15, v74
	s_waitcnt vmcnt(0)
	v_mul_f32_e32 v8, s11, v5
	v_mul_f32_e32 v5, s10, v5
	v_fma_f32 v8, v4, s10, -v8
	v_fmac_f32_e32 v5, s11, v4
	v_add_f32_e32 v4, v6, v8
	v_add_f32_e32 v5, v7, v5
	global_store_dwordx2 v[0:1], v[4:5], off offset:256
	global_load_dwordx2 v[4:5], v[2:3], off offset:384
	v_mul_f32_e32 v6, s15, v73
	v_mul_f32_e32 v7, s14, v73
	v_fma_f32 v6, v72, s14, -v6
	v_fmac_f32_e32 v7, s15, v72
	v_mov_b32_e32 v8, s5
	v_add_co_u32_e32 v2, vcc, s4, v2
	v_addc_co_u32_e32 v3, vcc, v3, v8, vcc
	s_waitcnt vmcnt(0)
	v_mul_f32_e32 v9, s11, v5
	v_mul_f32_e32 v5, s10, v5
	v_fma_f32 v9, v4, s10, -v9
	v_fmac_f32_e32 v5, s11, v4
	v_add_f32_e32 v4, v6, v9
	v_add_f32_e32 v5, v7, v5
	global_store_dwordx2 v[0:1], v[4:5], off offset:384
	global_load_dwordx2 v[4:5], v[2:3], off
	v_mul_f32_e32 v6, s15, v71
	v_mul_f32_e32 v7, s14, v71
	v_fma_f32 v6, v70, s14, -v6
	v_fmac_f32_e32 v7, s15, v70
	v_mov_b32_e32 v9, s1
	v_add_co_u32_e32 v0, vcc, s0, v0
	v_addc_co_u32_e32 v1, vcc, v1, v9, vcc
	s_waitcnt vmcnt(0)
	v_mul_f32_e32 v10, s11, v5
	v_mul_f32_e32 v5, s10, v5
	v_fma_f32 v10, v4, s10, -v10
	v_fmac_f32_e32 v5, s11, v4
	v_add_f32_e32 v4, v6, v10
	v_add_f32_e32 v5, v7, v5
	global_store_dwordx2 v[0:1], v[4:5], off
	global_load_dwordx2 v[4:5], v[2:3], off offset:128
	v_mul_f32_e32 v6, s15, v69
	v_mul_f32_e32 v7, s14, v69
	v_fma_f32 v6, v68, s14, -v6
	v_fmac_f32_e32 v7, s15, v68
	s_waitcnt vmcnt(0)
	v_mul_f32_e32 v10, s11, v5
	v_mul_f32_e32 v5, s10, v5
	v_fma_f32 v10, v4, s10, -v10
	v_fmac_f32_e32 v5, s11, v4
	v_add_f32_e32 v4, v6, v10
	v_add_f32_e32 v5, v7, v5
	global_store_dwordx2 v[0:1], v[4:5], off offset:128
	global_load_dwordx2 v[4:5], v[2:3], off offset:256
	v_mul_f32_e32 v6, s15, v67
	v_mul_f32_e32 v7, s14, v67
	v_fma_f32 v6, v66, s14, -v6
	v_fmac_f32_e32 v7, s15, v66
	s_waitcnt vmcnt(0)
	v_mul_f32_e32 v10, s11, v5
	v_mul_f32_e32 v5, s10, v5
	v_fma_f32 v10, v4, s10, -v10
	v_fmac_f32_e32 v5, s11, v4
	v_add_f32_e32 v4, v6, v10
	v_add_f32_e32 v5, v7, v5
	global_store_dwordx2 v[0:1], v[4:5], off offset:256
	global_load_dwordx2 v[4:5], v[2:3], off offset:384
	v_mul_f32_e32 v6, s15, v65
	v_mul_f32_e32 v7, s14, v65
	v_fma_f32 v6, v64, s14, -v6
	v_fmac_f32_e32 v7, s15, v64
	v_add_co_u32_e32 v2, vcc, s4, v2
	v_addc_co_u32_e32 v3, vcc, v3, v8, vcc
	s_waitcnt vmcnt(0)
	v_mul_f32_e32 v10, s11, v5
	v_mul_f32_e32 v5, s10, v5
	v_fma_f32 v10, v4, s10, -v10
	v_fmac_f32_e32 v5, s11, v4
	v_add_f32_e32 v4, v6, v10
	v_add_f32_e32 v5, v7, v5
	global_store_dwordx2 v[0:1], v[4:5], off offset:384
	global_load_dwordx2 v[4:5], v[2:3], off
	v_mul_f32_e32 v6, s15, v63
	v_mul_f32_e32 v7, s14, v63
	v_fma_f32 v6, v62, s14, -v6
	v_fmac_f32_e32 v7, s15, v62
	v_add_co_u32_e32 v0, vcc, s0, v0
	v_addc_co_u32_e32 v1, vcc, v1, v9, vcc
	s_waitcnt vmcnt(0)
	v_mul_f32_e32 v10, s11, v5
	v_mul_f32_e32 v5, s10, v5
	v_fma_f32 v10, v4, s10, -v10
	v_fmac_f32_e32 v5, s11, v4
	v_add_f32_e32 v4, v6, v10
	v_add_f32_e32 v5, v7, v5
	global_store_dwordx2 v[0:1], v[4:5], off
	global_load_dwordx2 v[4:5], v[2:3], off offset:128
	v_mul_f32_e32 v6, s15, v61
	v_mul_f32_e32 v7, s14, v61
	v_fma_f32 v6, v60, s14, -v6
	v_fmac_f32_e32 v7, s15, v60
	s_waitcnt vmcnt(0)
	v_mul_f32_e32 v10, s11, v5
	v_mul_f32_e32 v5, s10, v5
	v_fma_f32 v10, v4, s10, -v10
	v_fmac_f32_e32 v5, s11, v4
	v_add_f32_e32 v4, v6, v10
	v_add_f32_e32 v5, v7, v5
	global_store_dwordx2 v[0:1], v[4:5], off offset:128
	global_load_dwordx2 v[4:5], v[2:3], off offset:256
	v_mul_f32_e32 v6, s15, v59
	v_mul_f32_e32 v7, s14, v59
	v_fma_f32 v6, v58, s14, -v6
	v_fmac_f32_e32 v7, s15, v58
	s_waitcnt vmcnt(0)
	v_mul_f32_e32 v10, s11, v5
	v_mul_f32_e32 v5, s10, v5
	v_fma_f32 v10, v4, s10, -v10
	v_fmac_f32_e32 v5, s11, v4
	v_add_f32_e32 v4, v6, v10
	v_add_f32_e32 v5, v7, v5
	global_store_dwordx2 v[0:1], v[4:5], off offset:256
	global_load_dwordx2 v[4:5], v[2:3], off offset:384
	v_add_co_u32_e32 v2, vcc, s4, v2
	v_mul_f32_e32 v6, s15, v57
	v_mul_f32_e32 v7, s14, v57
	v_addc_co_u32_e32 v3, vcc, v3, v8, vcc
	v_fma_f32 v6, v56, s14, -v6
	v_fmac_f32_e32 v7, s15, v56
	s_waitcnt vmcnt(0)
	v_mul_f32_e32 v8, s11, v5
	v_mul_f32_e32 v5, s10, v5
	v_fma_f32 v8, v4, s10, -v8
	v_fmac_f32_e32 v5, s11, v4
	v_add_f32_e32 v4, v6, v8
	v_add_f32_e32 v5, v7, v5
	global_store_dwordx2 v[0:1], v[4:5], off offset:384
	global_load_dwordx2 v[4:5], v[2:3], off
	v_mul_f32_e32 v6, s15, v51
	v_mul_f32_e32 v7, s14, v51
	v_fma_f32 v6, v50, s14, -v6
	v_fmac_f32_e32 v7, s15, v50
	v_add_co_u32_e32 v0, vcc, s0, v0
	v_addc_co_u32_e32 v1, vcc, v1, v9, vcc
	s_waitcnt vmcnt(0)
	v_mul_f32_e32 v8, s11, v5
	v_mul_f32_e32 v5, s10, v5
	v_fma_f32 v8, v4, s10, -v8
	v_fmac_f32_e32 v5, s11, v4
	v_add_f32_e32 v4, v6, v8
	v_add_f32_e32 v5, v7, v5
	global_store_dwordx2 v[0:1], v[4:5], off
	global_load_dwordx2 v[4:5], v[2:3], off offset:128
	v_mul_f32_e32 v6, s15, v49
	v_mul_f32_e32 v7, s14, v49
	v_fma_f32 v6, v48, s14, -v6
	v_fmac_f32_e32 v7, s15, v48
	s_waitcnt vmcnt(0)
	v_mul_f32_e32 v8, s11, v5
	v_mul_f32_e32 v5, s10, v5
	v_fma_f32 v8, v4, s10, -v8
	v_fmac_f32_e32 v5, s11, v4
	v_add_f32_e32 v4, v6, v8
	v_add_f32_e32 v5, v7, v5
	global_store_dwordx2 v[0:1], v[4:5], off offset:128
	global_load_dwordx2 v[4:5], v[2:3], off offset:256
	v_mul_f32_e32 v6, s15, v46
	v_mul_f32_e32 v7, s14, v46
	v_fma_f32 v6, v47, s14, -v6
	v_fmac_f32_e32 v7, s15, v47
	s_waitcnt vmcnt(0)
	v_mul_f32_e32 v8, s11, v5
	v_mul_f32_e32 v5, s10, v5
	v_fma_f32 v8, v4, s10, -v8
	v_fmac_f32_e32 v5, s11, v4
	v_add_f32_e32 v4, v6, v8
	v_add_f32_e32 v5, v7, v5
	global_store_dwordx2 v[0:1], v[4:5], off offset:256
	global_load_dwordx2 v[4:5], v[2:3], off offset:384
	v_mul_f32_e32 v6, s3, v36
	v_pk_mul_f32 v[2:3], v[36:37], s[2:3]
	v_fma_f32 v8, -v37, s2, v6
	v_add_f32_e32 v3, v2, v3
	v_add_co_u32_e32 v2, vcc, 0x180, v0
	s_waitcnt vmcnt(0)
	v_pk_mul_f32 v[6:7], v[4:5], s[10:11] op_sel:[0,1] op_sel_hi:[1,0]
	v_mul_f32_e32 v4, s10, v4
	v_fma_f32 v4, -v5, s11, v4
	v_add_f32_e32 v5, v6, v7
	v_add_f32_e32 v4, v8, v4
	;; [unrolled: 1-line block ×3, first 2 shown]
	v_addc_co_u32_e32 v3, vcc, 0, v1, vcc
	global_store_dword v[0:1], v4, off offset:384
.LBB94_8:
	global_store_dword v[2:3], v6, off offset:4
	s_endpgm
	.section	.rodata,"a",@progbits
	.p2align	6, 0x0
	.amdhsa_kernel _ZN12_GLOBAL__N_127rocblas_gemm_batched_kernelI19rocblas_complex_numIfELi16ELi16ELi64ELi64ELi4ELi64ELi4ELi4ELi64ELc67ELc78EKS2_S3_S2_EEvlllT_PT11_llS6_llS4_PT12_llPT13_lli
		.amdhsa_group_segment_fixed_size 4096
		.amdhsa_private_segment_fixed_size 0
		.amdhsa_kernarg_size 140
		.amdhsa_user_sgpr_count 6
		.amdhsa_user_sgpr_private_segment_buffer 1
		.amdhsa_user_sgpr_dispatch_ptr 0
		.amdhsa_user_sgpr_queue_ptr 0
		.amdhsa_user_sgpr_kernarg_segment_ptr 1
		.amdhsa_user_sgpr_dispatch_id 0
		.amdhsa_user_sgpr_flat_scratch_init 0
		.amdhsa_user_sgpr_kernarg_preload_length 0
		.amdhsa_user_sgpr_kernarg_preload_offset 0
		.amdhsa_user_sgpr_private_segment_size 0
		.amdhsa_uses_dynamic_stack 0
		.amdhsa_system_sgpr_private_segment_wavefront_offset 0
		.amdhsa_system_sgpr_workgroup_id_x 1
		.amdhsa_system_sgpr_workgroup_id_y 1
		.amdhsa_system_sgpr_workgroup_id_z 1
		.amdhsa_system_sgpr_workgroup_info 0
		.amdhsa_system_vgpr_workitem_id 1
		.amdhsa_next_free_vgpr 88
		.amdhsa_next_free_sgpr 30
		.amdhsa_accum_offset 88
		.amdhsa_reserve_vcc 1
		.amdhsa_reserve_flat_scratch 0
		.amdhsa_float_round_mode_32 0
		.amdhsa_float_round_mode_16_64 0
		.amdhsa_float_denorm_mode_32 3
		.amdhsa_float_denorm_mode_16_64 3
		.amdhsa_dx10_clamp 1
		.amdhsa_ieee_mode 1
		.amdhsa_fp16_overflow 0
		.amdhsa_tg_split 0
		.amdhsa_exception_fp_ieee_invalid_op 0
		.amdhsa_exception_fp_denorm_src 0
		.amdhsa_exception_fp_ieee_div_zero 0
		.amdhsa_exception_fp_ieee_overflow 0
		.amdhsa_exception_fp_ieee_underflow 0
		.amdhsa_exception_fp_ieee_inexact 0
		.amdhsa_exception_int_div_zero 0
	.end_amdhsa_kernel
	.section	.text._ZN12_GLOBAL__N_127rocblas_gemm_batched_kernelI19rocblas_complex_numIfELi16ELi16ELi64ELi64ELi4ELi64ELi4ELi4ELi64ELc67ELc78EKS2_S3_S2_EEvlllT_PT11_llS6_llS4_PT12_llPT13_lli,"axG",@progbits,_ZN12_GLOBAL__N_127rocblas_gemm_batched_kernelI19rocblas_complex_numIfELi16ELi16ELi64ELi64ELi4ELi64ELi4ELi4ELi64ELc67ELc78EKS2_S3_S2_EEvlllT_PT11_llS6_llS4_PT12_llPT13_lli,comdat
.Lfunc_end94:
	.size	_ZN12_GLOBAL__N_127rocblas_gemm_batched_kernelI19rocblas_complex_numIfELi16ELi16ELi64ELi64ELi4ELi64ELi4ELi4ELi64ELc67ELc78EKS2_S3_S2_EEvlllT_PT11_llS6_llS4_PT12_llPT13_lli, .Lfunc_end94-_ZN12_GLOBAL__N_127rocblas_gemm_batched_kernelI19rocblas_complex_numIfELi16ELi16ELi64ELi64ELi4ELi64ELi4ELi4ELi64ELc67ELc78EKS2_S3_S2_EEvlllT_PT11_llS6_llS4_PT12_llPT13_lli
                                        ; -- End function
	.section	.AMDGPU.csdata,"",@progbits
; Kernel info:
; codeLenInByte = 4748
; NumSgprs: 34
; NumVgprs: 88
; NumAgprs: 0
; TotalNumVgprs: 88
; ScratchSize: 0
; MemoryBound: 0
; FloatMode: 240
; IeeeMode: 1
; LDSByteSize: 4096 bytes/workgroup (compile time only)
; SGPRBlocks: 4
; VGPRBlocks: 10
; NumSGPRsForWavesPerEU: 34
; NumVGPRsForWavesPerEU: 88
; AccumOffset: 88
; Occupancy: 5
; WaveLimiterHint : 1
; COMPUTE_PGM_RSRC2:SCRATCH_EN: 0
; COMPUTE_PGM_RSRC2:USER_SGPR: 6
; COMPUTE_PGM_RSRC2:TRAP_HANDLER: 0
; COMPUTE_PGM_RSRC2:TGID_X_EN: 1
; COMPUTE_PGM_RSRC2:TGID_Y_EN: 1
; COMPUTE_PGM_RSRC2:TGID_Z_EN: 1
; COMPUTE_PGM_RSRC2:TIDIG_COMP_CNT: 1
; COMPUTE_PGM_RSRC3_GFX90A:ACCUM_OFFSET: 21
; COMPUTE_PGM_RSRC3_GFX90A:TG_SPLIT: 0
	.section	.text._ZN12_GLOBAL__N_127rocblas_gemm_batched_kernelI19rocblas_complex_numIfELi16ELi16ELi64ELi64ELi4ELi64ELi4ELi4ELi64ELc67ELc84EKS2_S3_S2_EEvlllT_PT11_llS6_llS4_PT12_llPT13_lli,"axG",@progbits,_ZN12_GLOBAL__N_127rocblas_gemm_batched_kernelI19rocblas_complex_numIfELi16ELi16ELi64ELi64ELi4ELi64ELi4ELi4ELi64ELc67ELc84EKS2_S3_S2_EEvlllT_PT11_llS6_llS4_PT12_llPT13_lli,comdat
	.globl	_ZN12_GLOBAL__N_127rocblas_gemm_batched_kernelI19rocblas_complex_numIfELi16ELi16ELi64ELi64ELi4ELi64ELi4ELi4ELi64ELc67ELc84EKS2_S3_S2_EEvlllT_PT11_llS6_llS4_PT12_llPT13_lli ; -- Begin function _ZN12_GLOBAL__N_127rocblas_gemm_batched_kernelI19rocblas_complex_numIfELi16ELi16ELi64ELi64ELi4ELi64ELi4ELi4ELi64ELc67ELc84EKS2_S3_S2_EEvlllT_PT11_llS6_llS4_PT12_llPT13_lli
	.p2align	8
	.type	_ZN12_GLOBAL__N_127rocblas_gemm_batched_kernelI19rocblas_complex_numIfELi16ELi16ELi64ELi64ELi4ELi64ELi4ELi4ELi64ELc67ELc84EKS2_S3_S2_EEvlllT_PT11_llS6_llS4_PT12_llPT13_lli,@function
_ZN12_GLOBAL__N_127rocblas_gemm_batched_kernelI19rocblas_complex_numIfELi16ELi16ELi64ELi64ELi4ELi64ELi4ELi4ELi64ELc67ELc84EKS2_S3_S2_EEvlllT_PT11_llS6_llS4_PT12_llPT13_lli: ; @_ZN12_GLOBAL__N_127rocblas_gemm_batched_kernelI19rocblas_complex_numIfELi16ELi16ELi64ELi64ELi4ELi64ELi4ELi4ELi64ELc67ELc84EKS2_S3_S2_EEvlllT_PT11_llS6_llS4_PT12_llPT13_lli
; %bb.0:
	s_load_dwordx16 s[12:27], s[4:5], 0x10
	s_load_dwordx2 s[10:11], s[4:5], 0x50
	s_mov_b32 s0, s7
	s_ashr_i32 s1, s0, 31
	s_ashr_i32 s7, s6, 31
	s_lshl_b64 s[28:29], s[0:1], 6
	s_waitcnt lgkmcnt(0)
	v_cmp_lt_i64_e64 s[0:1], s[12:13], 1
	v_bfe_u32 v45, v0, 10, 10
	v_and_b32_e32 v44, 0x3ff, v0
	s_lshl_b64 s[6:7], s[6:7], 6
	s_and_b64 vcc, exec, s[0:1]
	s_cbranch_vccnz .LBB95_3
; %bb.1:
	v_lshl_add_u32 v4, v45, 4, v44
	v_lshrrev_b32_e32 v5, 2, v4
	v_mov_b32_e32 v1, s29
	v_add_co_u32_e32 v0, vcc, s28, v5
	v_addc_co_u32_e32 v1, vcc, 0, v1, vcc
	v_and_b32_e32 v6, 3, v44
	v_mad_u64_u32 v[0:1], s[0:1], v6, s24, v[0:1]
	v_mov_b32_e32 v2, v1
	v_mad_u64_u32 v[2:3], s[0:1], v6, s25, v[2:3]
	v_mov_b32_e32 v1, v2
	v_and_b32_e32 v2, 63, v4
	v_lshrrev_b32_e32 v4, 6, v4
	v_lshlrev_b32_e32 v3, 3, v2
	v_lshl_or_b32 v52, v4, 9, v3
	v_lshlrev_b32_e32 v3, 3, v6
	v_lshl_or_b32 v3, v5, 5, v3
	v_add_u32_e32 v53, 0x800, v3
	v_mov_b32_e32 v3, 0x800
	v_lshl_add_u32 v55, v45, 5, v3
	v_mov_b32_e32 v3, s7
	v_add_co_u32_e32 v2, vcc, s6, v2
	v_addc_co_u32_e32 v3, vcc, 0, v3, vcc
	v_mul_lo_u32 v5, s19, v2
	v_mul_lo_u32 v6, s18, v3
	v_mad_u64_u32 v[2:3], s[0:1], s18, v2, 0
	s_mul_i32 s0, s21, s8
	s_mul_hi_u32 s1, s20, s8
	v_add3_u32 v3, v3, v6, v5
	s_add_i32 s1, s1, s0
	s_mul_i32 s0, s20, s8
	v_lshlrev_b64 v[2:3], 3, v[2:3]
	s_lshl_b64 s[0:1], s[0:1], 3
	v_mov_b32_e32 v5, s1
	v_add_co_u32_e32 v2, vcc, s0, v2
	v_addc_co_u32_e32 v3, vcc, v3, v5, vcc
	v_lshlrev_b32_e32 v4, 3, v4
	v_add_co_u32_e32 v2, vcc, v2, v4
	v_addc_co_u32_e32 v3, vcc, 0, v3, vcc
	s_mul_i32 s0, s27, s8
	s_mul_hi_u32 s1, s26, s8
	v_mov_b32_e32 v4, s17
	v_add_co_u32_e32 v2, vcc, s16, v2
	s_add_i32 s1, s1, s0
	s_mul_i32 s0, s26, s8
	v_addc_co_u32_e32 v3, vcc, v3, v4, vcc
	s_lshl_b64 s[0:1], s[0:1], 3
	v_add_co_u32_e32 v38, vcc, 4, v2
	s_add_u32 s0, s22, s0
	v_addc_co_u32_e32 v39, vcc, 0, v3, vcc
	v_lshlrev_b64 v[0:1], 3, v[0:1]
	s_addc_u32 s1, s23, s1
	v_mov_b32_e32 v2, s1
	v_add_co_u32_e32 v40, vcc, s0, v0
	s_lshl_b64 s[0:1], s[24:25], 5
	v_mov_b32_e32 v46, 0
	v_lshlrev_b32_e32 v54, 3, v44
	v_addc_co_u32_e32 v41, vcc, v2, v1, vcc
	s_mov_b64 s[2:3], 0
	v_mov_b32_e32 v56, s1
	v_pk_mov_b32 v[42:43], s[12:13], s[12:13] op_sel:[0,1]
	v_mov_b32_e32 v47, 0
	v_mov_b32_e32 v49, 0
	;; [unrolled: 1-line block ×31, first 2 shown]
.LBB95_2:                               ; =>This Inner Loop Header: Depth=1
	global_load_dwordx2 v[0:1], v[38:39], off offset:-4
	v_add_co_u32_e32 v38, vcc, 32, v38
	v_addc_co_u32_e32 v39, vcc, 0, v39, vcc
	s_add_u32 s2, s2, 4
	s_addc_u32 s3, s3, 0
	s_waitcnt vmcnt(0)
	v_xor_b32_e32 v1, 0x80000000, v1
	ds_write_b64 v52, v[0:1]
	global_load_dwordx2 v[0:1], v[40:41], off
	v_add_co_u32_e32 v40, vcc, s0, v40
	v_addc_co_u32_e32 v41, vcc, v41, v56, vcc
	v_cmp_lt_i64_e32 vcc, s[2:3], v[42:43]
	s_and_b64 vcc, exec, vcc
	s_waitcnt vmcnt(0)
	ds_write_b64 v53, v[0:1]
	s_waitcnt lgkmcnt(0)
	s_barrier
	ds_read_b128 v[0:3], v55
	ds_read_b128 v[32:35], v55 offset:16
	ds_read2_b64 v[8:11], v54 offset1:16
	ds_read2_b64 v[12:15], v54 offset0:32 offset1:48
	s_waitcnt lgkmcnt(1)
	v_mul_f32_e32 v4, v1, v9
	v_fma_f32 v4, v0, v8, -v4
	v_mul_f32_e32 v5, v0, v9
	v_add_f32_e32 v20, v79, v4
	v_mul_f32_e32 v4, v1, v11
	v_fmac_f32_e32 v5, v1, v8
	v_fma_f32 v4, v0, v10, -v4
	v_add_f32_e32 v21, v80, v5
	v_mul_f32_e32 v5, v0, v11
	v_add_f32_e32 v22, v77, v4
	s_waitcnt lgkmcnt(0)
	v_mul_f32_e32 v4, v1, v13
	v_fmac_f32_e32 v5, v1, v10
	v_fma_f32 v4, v0, v12, -v4
	v_add_f32_e32 v23, v78, v5
	v_mul_f32_e32 v5, v0, v13
	v_add_f32_e32 v75, v75, v4
	v_mul_f32_e32 v4, v1, v15
	v_fmac_f32_e32 v5, v1, v12
	v_fma_f32 v4, v0, v14, -v4
	v_mul_f32_e32 v0, v0, v15
	v_add_f32_e32 v76, v76, v5
	v_fmac_f32_e32 v0, v1, v14
	v_add_f32_e32 v1, v73, v4
	ds_read_b128 v[4:7], v55 offset:512
	ds_read_b128 v[80:83], v55 offset:1040
	v_add_f32_e32 v0, v74, v0
	s_waitcnt lgkmcnt(1)
	v_mul_f32_e32 v16, v5, v9
	v_fma_f32 v16, v4, v8, -v16
	v_mul_f32_e32 v17, v4, v9
	v_add_f32_e32 v71, v71, v16
	v_mul_f32_e32 v16, v5, v11
	v_fmac_f32_e32 v17, v5, v8
	v_fma_f32 v16, v4, v10, -v16
	v_add_f32_e32 v72, v72, v17
	v_mul_f32_e32 v17, v4, v11
	v_add_f32_e32 v69, v69, v16
	v_mul_f32_e32 v16, v5, v13
	v_fmac_f32_e32 v17, v5, v10
	v_fma_f32 v16, v4, v12, -v16
	v_add_f32_e32 v70, v70, v17
	v_mul_f32_e32 v17, v4, v13
	v_add_f32_e32 v67, v67, v16
	v_mul_f32_e32 v16, v5, v15
	v_fmac_f32_e32 v17, v5, v12
	v_fma_f32 v16, v4, v14, -v16
	v_mul_f32_e32 v4, v4, v15
	v_add_f32_e32 v68, v68, v17
	v_fmac_f32_e32 v4, v5, v14
	v_add_f32_e32 v5, v65, v16
	ds_read_b128 v[16:19], v55 offset:1024
	v_add_f32_e32 v4, v66, v4
	s_waitcnt lgkmcnt(0)
	v_mul_f32_e32 v24, v17, v9
	v_fma_f32 v24, v16, v8, -v24
	v_mul_f32_e32 v25, v16, v9
	v_add_f32_e32 v63, v63, v24
	v_mul_f32_e32 v24, v17, v11
	v_fmac_f32_e32 v25, v17, v8
	v_fma_f32 v24, v16, v10, -v24
	v_add_f32_e32 v64, v64, v25
	v_mul_f32_e32 v25, v16, v11
	v_add_f32_e32 v61, v61, v24
	v_mul_f32_e32 v24, v17, v13
	v_fmac_f32_e32 v25, v17, v10
	v_fma_f32 v24, v16, v12, -v24
	v_add_f32_e32 v62, v62, v25
	v_mul_f32_e32 v25, v16, v13
	v_add_f32_e32 v59, v59, v24
	v_mul_f32_e32 v24, v17, v15
	v_fmac_f32_e32 v25, v17, v12
	v_fma_f32 v24, v16, v14, -v24
	v_mul_f32_e32 v16, v16, v15
	v_add_f32_e32 v60, v60, v25
	v_fmac_f32_e32 v16, v17, v14
	v_add_f32_e32 v17, v57, v24
	ds_read2_b64 v[24:27], v54 offset0:64 offset1:80
	v_add_f32_e32 v16, v58, v16
	s_waitcnt lgkmcnt(0)
	v_mul_f32_e32 v28, v3, v25
	v_mul_f32_e32 v29, v2, v25
	v_fma_f32 v28, v2, v24, -v28
	v_fmac_f32_e32 v29, v3, v24
	v_add_f32_e32 v20, v20, v28
	v_add_f32_e32 v21, v21, v29
	v_mul_f32_e32 v28, v3, v27
	v_mul_f32_e32 v29, v2, v27
	v_fma_f32 v28, v2, v26, -v28
	v_fmac_f32_e32 v29, v3, v26
	v_add_f32_e32 v22, v22, v28
	v_add_f32_e32 v23, v23, v29
	ds_read2_b64 v[28:31], v54 offset0:96 offset1:112
	s_waitcnt lgkmcnt(0)
	v_mul_f32_e32 v57, v3, v29
	v_mul_f32_e32 v65, v3, v31
	v_fma_f32 v57, v2, v28, -v57
	v_mul_f32_e32 v58, v2, v29
	v_fma_f32 v65, v2, v30, -v65
	v_mul_f32_e32 v2, v2, v31
	v_fmac_f32_e32 v2, v3, v30
	v_add_f32_e32 v65, v1, v65
	v_add_f32_e32 v66, v0, v2
	v_mul_f32_e32 v0, v7, v25
	v_mul_f32_e32 v1, v6, v25
	v_fma_f32 v0, v6, v24, -v0
	v_fmac_f32_e32 v1, v7, v24
	v_add_f32_e32 v71, v71, v0
	v_add_f32_e32 v72, v72, v1
	v_mul_f32_e32 v0, v7, v27
	v_mul_f32_e32 v1, v6, v27
	v_fma_f32 v0, v6, v26, -v0
	;; [unrolled: 6-line block ×6, first 2 shown]
	v_fmac_f32_e32 v1, v19, v26
	ds_read2_b64 v[4:7], v54 offset0:128 offset1:144
	v_add_f32_e32 v57, v75, v57
	v_add_f32_e32 v75, v61, v0
	;; [unrolled: 1-line block ×3, first 2 shown]
	v_mul_f32_e32 v0, v19, v29
	v_mul_f32_e32 v1, v18, v29
	v_fmac_f32_e32 v58, v3, v28
	v_fma_f32 v0, v18, v28, -v0
	v_fmac_f32_e32 v1, v19, v28
	v_add_f32_e32 v58, v76, v58
	v_add_f32_e32 v76, v59, v0
	;; [unrolled: 1-line block ×3, first 2 shown]
	v_mul_f32_e32 v0, v19, v31
	v_mul_f32_e32 v1, v18, v31
	v_fma_f32 v0, v18, v30, -v0
	v_fmac_f32_e32 v1, v19, v30
	v_add_f32_e32 v17, v17, v0
	v_add_f32_e32 v16, v16, v1
	s_waitcnt lgkmcnt(0)
	v_mul_f32_e32 v0, v33, v5
	v_mul_f32_e32 v1, v32, v5
	v_fma_f32 v0, v32, v4, -v0
	v_fmac_f32_e32 v1, v33, v4
	v_add_f32_e32 v18, v20, v0
	v_add_f32_e32 v19, v21, v1
	v_mul_f32_e32 v0, v33, v7
	v_mul_f32_e32 v1, v32, v7
	v_fma_f32 v0, v32, v6, -v0
	v_fmac_f32_e32 v1, v33, v6
	v_add_f32_e32 v78, v22, v0
	v_add_f32_e32 v84, v23, v1
	ds_read2_b64 v[0:3], v54 offset0:160 offset1:176
	s_waitcnt lgkmcnt(0)
	v_mul_f32_e32 v21, v32, v1
	v_fmac_f32_e32 v21, v33, v0
	v_add_f32_e32 v85, v58, v21
	ds_read_b128 v[58:61], v55 offset:528
	v_mul_f32_e32 v20, v33, v1
	v_fma_f32 v20, v32, v0, -v20
	v_add_f32_e32 v57, v57, v20
	v_mul_f32_e32 v20, v33, v3
	v_mul_f32_e32 v21, v32, v3
	v_fma_f32 v20, v32, v2, -v20
	v_fmac_f32_e32 v21, v33, v2
	v_add_f32_e32 v32, v65, v20
	v_add_f32_e32 v33, v66, v21
	s_waitcnt lgkmcnt(0)
	v_mul_f32_e32 v20, v59, v5
	v_mul_f32_e32 v21, v58, v5
	v_fma_f32 v20, v58, v4, -v20
	v_fmac_f32_e32 v21, v59, v4
	v_add_f32_e32 v65, v71, v20
	v_add_f32_e32 v66, v72, v21
	v_mul_f32_e32 v20, v59, v7
	v_mul_f32_e32 v21, v58, v7
	v_fma_f32 v20, v58, v6, -v20
	v_fmac_f32_e32 v21, v59, v6
	v_add_f32_e32 v69, v69, v20
	v_add_f32_e32 v70, v70, v21
	;; [unrolled: 6-line block ×8, first 2 shown]
	ds_read2_b64 v[20:23], v54 offset0:192 offset1:208
	s_waitcnt lgkmcnt(0)
	v_mul_f32_e32 v16, v35, v21
	v_mul_f32_e32 v17, v34, v21
	v_fma_f32 v16, v34, v20, -v16
	v_fmac_f32_e32 v17, v35, v20
	v_add_f32_e32 v79, v18, v16
	v_add_f32_e32 v80, v19, v17
	v_mul_f32_e32 v16, v35, v23
	v_mul_f32_e32 v17, v34, v23
	v_fma_f32 v16, v34, v22, -v16
	v_fmac_f32_e32 v17, v35, v22
	v_add_f32_e32 v77, v78, v16
	v_add_f32_e32 v78, v84, v17
	ds_read2_b64 v[16:19], v54 offset0:224 offset1:240
	s_waitcnt lgkmcnt(0)
	v_mul_f32_e32 v71, v35, v17
	v_fma_f32 v71, v34, v16, -v71
	v_add_f32_e32 v75, v57, v71
	v_mul_f32_e32 v57, v35, v19
	v_mul_f32_e32 v72, v34, v17
	v_fma_f32 v57, v34, v18, -v57
	v_mul_f32_e32 v34, v34, v19
	v_fmac_f32_e32 v34, v35, v18
	v_add_f32_e32 v73, v32, v57
	v_add_f32_e32 v74, v33, v34
	v_mul_f32_e32 v32, v61, v21
	v_mul_f32_e32 v33, v60, v21
	v_fmac_f32_e32 v72, v35, v16
	v_fma_f32 v32, v60, v20, -v32
	v_fmac_f32_e32 v33, v61, v20
	v_add_f32_e32 v76, v85, v72
	v_add_f32_e32 v71, v65, v32
	;; [unrolled: 1-line block ×3, first 2 shown]
	v_mul_f32_e32 v32, v61, v23
	v_mul_f32_e32 v33, v60, v23
	v_fma_f32 v32, v60, v22, -v32
	v_fmac_f32_e32 v33, v61, v22
	v_add_f32_e32 v69, v69, v32
	v_add_f32_e32 v70, v70, v33
	v_mul_f32_e32 v32, v61, v17
	v_mul_f32_e32 v33, v60, v17
	v_fma_f32 v32, v60, v16, -v32
	v_fmac_f32_e32 v33, v61, v16
	v_add_f32_e32 v67, v67, v32
	v_add_f32_e32 v68, v68, v33
	;; [unrolled: 6-line block ×7, first 2 shown]
	ds_read_b128 v[32:35], v55 offset:1536
	s_waitcnt lgkmcnt(0)
	v_mul_f32_e32 v81, v33, v9
	v_mul_f32_e32 v9, v32, v9
	v_fmac_f32_e32 v9, v33, v8
	v_fma_f32 v81, v32, v8, -v81
	v_add_f32_e32 v51, v51, v9
	v_mul_f32_e32 v8, v33, v11
	v_mul_f32_e32 v9, v32, v11
	v_fma_f32 v8, v32, v10, -v8
	v_fmac_f32_e32 v9, v33, v10
	v_add_f32_e32 v48, v48, v8
	v_add_f32_e32 v49, v49, v9
	v_mul_f32_e32 v8, v33, v13
	v_mul_f32_e32 v9, v32, v13
	v_fma_f32 v8, v32, v12, -v8
	v_fmac_f32_e32 v9, v33, v12
	v_add_f32_e32 v12, v47, v8
	v_add_f32_e32 v13, v46, v9
	v_pk_mul_f32 v[8:9], v[32:33], v[14:15] op_sel:[0,1]
	v_pk_fma_f32 v[10:11], v[32:33], v[14:15], v[8:9] op_sel:[0,0,1] op_sel_hi:[1,1,0] neg_lo:[0,0,1] neg_hi:[0,0,1]
	v_pk_fma_f32 v[8:9], v[32:33], v[14:15], v[8:9] op_sel:[0,0,1] op_sel_hi:[1,0,0]
	v_mov_b32_e32 v11, v9
	v_pk_add_f32 v[8:9], v[36:37], v[10:11]
	v_mul_f32_e32 v10, v35, v25
	v_mul_f32_e32 v11, v34, v25
	v_add_f32_e32 v50, v50, v81
	v_fma_f32 v10, v34, v24, -v10
	v_fmac_f32_e32 v11, v35, v24
	v_add_f32_e32 v32, v50, v10
	v_add_f32_e32 v33, v51, v11
	v_mul_f32_e32 v10, v35, v27
	v_mul_f32_e32 v11, v34, v27
	v_fma_f32 v10, v34, v26, -v10
	v_fmac_f32_e32 v11, v35, v26
	v_add_f32_e32 v24, v48, v10
	v_add_f32_e32 v25, v49, v11
	v_mul_f32_e32 v10, v35, v29
	v_mul_f32_e32 v11, v34, v29
	v_fma_f32 v10, v34, v28, -v10
	v_fmac_f32_e32 v11, v35, v28
	v_add_f32_e32 v14, v12, v10
	v_add_f32_e32 v15, v13, v11
	v_pk_mul_f32 v[10:11], v[34:35], v[30:31] op_sel:[0,1]
	v_pk_fma_f32 v[12:13], v[34:35], v[30:31], v[10:11] op_sel:[0,0,1] op_sel_hi:[1,1,0] neg_lo:[0,0,1] neg_hi:[0,0,1]
	v_pk_fma_f32 v[10:11], v[34:35], v[30:31], v[10:11] op_sel:[0,0,1] op_sel_hi:[1,0,0]
	v_mov_b32_e32 v13, v11
	v_pk_add_f32 v[12:13], v[8:9], v[12:13]
	ds_read_b128 v[8:11], v55 offset:1552
	s_waitcnt lgkmcnt(0)
	s_barrier
	v_mul_f32_e32 v26, v9, v5
	v_mul_f32_e32 v5, v8, v5
	v_fma_f32 v26, v8, v4, -v26
	v_fmac_f32_e32 v5, v9, v4
	v_mul_f32_e32 v4, v9, v7
	v_add_f32_e32 v27, v33, v5
	v_fma_f32 v4, v8, v6, -v4
	v_mul_f32_e32 v5, v8, v7
	v_fmac_f32_e32 v5, v9, v6
	v_add_f32_e32 v6, v24, v4
	v_mul_f32_e32 v4, v9, v1
	v_mul_f32_e32 v1, v8, v1
	v_fmac_f32_e32 v1, v9, v0
	v_fma_f32 v4, v8, v0, -v4
	v_add_f32_e32 v15, v15, v1
	v_pk_mul_f32 v[0:1], v[8:9], v[2:3] op_sel:[0,1]
	v_add_f32_e32 v7, v25, v5
	v_add_f32_e32 v14, v14, v4
	v_pk_fma_f32 v[4:5], v[8:9], v[2:3], v[0:1] op_sel:[0,0,1] op_sel_hi:[1,1,0] neg_lo:[0,0,1] neg_hi:[0,0,1]
	v_pk_fma_f32 v[0:1], v[8:9], v[2:3], v[0:1] op_sel:[0,0,1] op_sel_hi:[1,0,0]
	v_mul_f32_e32 v2, v11, v21
	v_mul_f32_e32 v3, v10, v21
	v_add_f32_e32 v26, v32, v26
	v_fma_f32 v2, v10, v20, -v2
	v_fmac_f32_e32 v3, v11, v20
	v_add_f32_e32 v50, v26, v2
	v_add_f32_e32 v51, v27, v3
	v_mul_f32_e32 v2, v11, v23
	v_mul_f32_e32 v3, v10, v23
	v_fma_f32 v2, v10, v22, -v2
	v_fmac_f32_e32 v3, v11, v22
	v_add_f32_e32 v48, v6, v2
	v_add_f32_e32 v49, v7, v3
	v_mul_f32_e32 v2, v11, v17
	v_mul_f32_e32 v3, v10, v17
	v_fma_f32 v2, v10, v16, -v2
	v_fmac_f32_e32 v3, v11, v16
	v_mov_b32_e32 v5, v1
	v_add_f32_e32 v47, v14, v2
	v_add_f32_e32 v46, v15, v3
	v_pk_mul_f32 v[2:3], v[10:11], v[18:19] op_sel:[0,1]
	v_pk_add_f32 v[0:1], v[12:13], v[4:5]
	v_pk_fma_f32 v[4:5], v[10:11], v[18:19], v[2:3] op_sel:[0,0,1] op_sel_hi:[1,1,0] neg_lo:[0,0,1] neg_hi:[0,0,1]
	v_pk_fma_f32 v[2:3], v[10:11], v[18:19], v[2:3] op_sel:[0,0,1] op_sel_hi:[1,0,0]
	v_mov_b32_e32 v5, v3
	v_pk_add_f32 v[36:37], v[0:1], v[4:5]
	s_cbranch_vccnz .LBB95_2
	s_branch .LBB95_4
.LBB95_3:
	v_mov_b32_e32 v37, 0
	v_mov_b32_e32 v36, v37
	;; [unrolled: 1-line block ×32, first 2 shown]
.LBB95_4:
	s_load_dwordx4 s[0:3], s[4:5], 0x78
	s_load_dwordx8 s[16:23], s[4:5], 0x58
	v_mov_b32_e32 v0, s29
	v_add_co_u32_e32 v4, vcc, s28, v45
	s_waitcnt lgkmcnt(0)
	s_mul_i32 s3, s8, s3
	s_mul_hi_u32 s4, s8, s2
	s_mul_i32 s2, s8, s2
	s_add_i32 s3, s4, s3
	s_lshl_b64 s[2:3], s[2:3], 3
	s_add_u32 s9, s22, s2
	s_addc_u32 s12, s23, s3
	v_addc_co_u32_e32 v5, vcc, 0, v0, vcc
	s_or_b32 s2, s10, s11
	s_bitset0_b32 s2, 31
	v_mov_b32_e32 v1, s7
	v_add_co_u32_e32 v0, vcc, s6, v44
	s_cmp_lg_u32 s2, 0
	v_addc_co_u32_e32 v1, vcc, 0, v1, vcc
	s_mov_b32 s2, s15
	s_mov_b32 s3, s14
	s_cbranch_scc1 .LBB95_6
; %bb.5:
	v_mul_lo_u32 v6, v5, s0
	v_mul_lo_u32 v7, v4, s1
	v_mad_u64_u32 v[2:3], s[4:5], v4, s0, 0
	v_add3_u32 v3, v3, v7, v6
	v_lshlrev_b64 v[2:3], 3, v[2:3]
	v_mov_b32_e32 v6, s12
	v_add_co_u32_e32 v8, vcc, s9, v2
	v_addc_co_u32_e32 v9, vcc, v6, v3, vcc
	v_lshlrev_b64 v[6:7], 3, v[0:1]
	v_mul_f32_e32 v2, s15, v80
	v_mul_f32_e32 v3, s14, v80
	v_add_co_u32_e32 v6, vcc, v8, v6
	v_fma_f32 v2, v79, s14, -v2
	v_fmac_f32_e32 v3, s15, v79
	v_addc_co_u32_e32 v7, vcc, v9, v7, vcc
	global_store_dwordx2 v[6:7], v[2:3], off
	v_mul_f32_e32 v2, s15, v78
	v_mul_f32_e32 v3, s14, v78
	v_fma_f32 v2, v77, s14, -v2
	v_fmac_f32_e32 v3, s15, v77
	global_store_dwordx2 v[6:7], v[2:3], off offset:128
	v_mul_f32_e32 v2, s15, v76
	v_mul_f32_e32 v3, s14, v76
	v_fma_f32 v2, v75, s14, -v2
	v_fmac_f32_e32 v3, s15, v75
	global_store_dwordx2 v[6:7], v[2:3], off offset:256
	v_mul_f32_e32 v2, s15, v74
	v_mul_f32_e32 v3, s14, v74
	v_fma_f32 v2, v73, s14, -v2
	v_fmac_f32_e32 v3, s15, v73
	s_lshl_b64 s[4:5], s[0:1], 7
	global_store_dwordx2 v[6:7], v[2:3], off offset:384
	v_mul_f32_e32 v2, s15, v72
	v_mul_f32_e32 v3, s14, v72
	v_mov_b32_e32 v9, s5
	v_add_co_u32_e32 v6, vcc, s4, v6
	v_fma_f32 v2, v71, s14, -v2
	v_fmac_f32_e32 v3, s15, v71
	v_addc_co_u32_e32 v7, vcc, v7, v9, vcc
	global_store_dwordx2 v[6:7], v[2:3], off
	v_mul_f32_e32 v2, s15, v70
	v_mul_f32_e32 v3, s14, v70
	v_fma_f32 v2, v69, s14, -v2
	v_fmac_f32_e32 v3, s15, v69
	global_store_dwordx2 v[6:7], v[2:3], off offset:128
	v_mul_f32_e32 v2, s15, v68
	v_mul_f32_e32 v3, s14, v68
	v_fma_f32 v2, v67, s14, -v2
	v_fmac_f32_e32 v3, s15, v67
	global_store_dwordx2 v[6:7], v[2:3], off offset:256
	;; [unrolled: 5-line block ×3, first 2 shown]
	v_mul_f32_e32 v2, s15, v64
	v_mul_f32_e32 v3, s14, v64
	v_add_co_u32_e32 v6, vcc, s4, v6
	v_fma_f32 v2, v63, s14, -v2
	v_fmac_f32_e32 v3, s15, v63
	v_addc_co_u32_e32 v7, vcc, v7, v9, vcc
	global_store_dwordx2 v[6:7], v[2:3], off
	v_mul_f32_e32 v2, s15, v62
	v_mul_f32_e32 v3, s14, v62
	v_fma_f32 v2, v61, s14, -v2
	v_fmac_f32_e32 v3, s15, v61
	global_store_dwordx2 v[6:7], v[2:3], off offset:128
	v_mul_f32_e32 v2, s15, v60
	v_mul_f32_e32 v3, s14, v60
	v_fma_f32 v2, v59, s14, -v2
	v_fmac_f32_e32 v3, s15, v59
	global_store_dwordx2 v[6:7], v[2:3], off offset:256
	;; [unrolled: 5-line block ×3, first 2 shown]
	v_mul_f32_e32 v2, s15, v51
	v_mul_f32_e32 v3, s14, v51
	v_add_co_u32_e32 v8, vcc, s4, v6
	v_fma_f32 v2, v50, s14, -v2
	v_fmac_f32_e32 v3, s15, v50
	v_addc_co_u32_e32 v9, vcc, v7, v9, vcc
	global_store_dwordx2 v[8:9], v[2:3], off
	v_mul_f32_e32 v2, s15, v49
	v_mul_f32_e32 v3, s14, v49
	v_fma_f32 v2, v48, s14, -v2
	v_fmac_f32_e32 v3, s15, v48
	global_store_dwordx2 v[8:9], v[2:3], off offset:128
	v_mul_f32_e32 v2, s15, v46
	v_mul_f32_e32 v3, s14, v46
	v_fma_f32 v2, v47, s14, -v2
	v_fmac_f32_e32 v3, s15, v47
	global_store_dwordx2 v[8:9], v[2:3], off offset:256
	v_mul_f32_e32 v2, s3, v36
	v_fma_f32 v7, -v37, s2, v2
	v_pk_mul_f32 v[2:3], v[36:37], s[2:3]
	v_add_f32_e32 v6, v2, v3
	v_add_co_u32_e32 v2, vcc, 0x180, v8
	v_addc_co_u32_e32 v3, vcc, 0, v9, vcc
	global_store_dword v[8:9], v7, off offset:384
	s_cbranch_execz .LBB95_7
	s_branch .LBB95_8
.LBB95_6:
                                        ; implicit-def: $vgpr6
                                        ; implicit-def: $vgpr2_vgpr3
.LBB95_7:
	s_mul_i32 s4, s8, s21
	s_mul_hi_u32 s5, s8, s20
	s_add_i32 s5, s5, s4
	s_mul_i32 s4, s8, s20
	s_lshl_b64 s[4:5], s[4:5], 3
	s_add_u32 s6, s16, s4
	s_addc_u32 s7, s17, s5
	v_mul_lo_u32 v6, v5, s18
	v_mul_lo_u32 v7, v4, s19
	v_mad_u64_u32 v[2:3], s[4:5], v4, s18, 0
	v_add3_u32 v3, v3, v7, v6
	v_lshlrev_b64 v[2:3], 3, v[2:3]
	v_mov_b32_e32 v6, s7
	v_add_co_u32_e32 v2, vcc, s6, v2
	v_addc_co_u32_e32 v3, vcc, v6, v3, vcc
	v_lshlrev_b64 v[0:1], 3, v[0:1]
	v_add_co_u32_e32 v2, vcc, v2, v0
	v_addc_co_u32_e32 v3, vcc, v3, v1, vcc
	global_load_dwordx2 v[6:7], v[2:3], off
	v_mul_lo_u32 v8, v5, s0
	v_mul_lo_u32 v9, v4, s1
	v_mad_u64_u32 v[4:5], s[4:5], v4, s0, 0
	v_add3_u32 v5, v5, v9, v8
	v_lshlrev_b64 v[4:5], 3, v[4:5]
	v_mov_b32_e32 v10, s12
	v_add_co_u32_e32 v4, vcc, s9, v4
	v_addc_co_u32_e32 v5, vcc, v10, v5, vcc
	v_add_co_u32_e32 v0, vcc, v4, v0
	v_mul_f32_e32 v11, s15, v80
	v_mul_f32_e32 v12, s14, v80
	v_addc_co_u32_e32 v1, vcc, v5, v1, vcc
	v_fma_f32 v8, v79, s14, -v11
	v_fmac_f32_e32 v12, s15, v79
	s_lshl_b64 s[4:5], s[18:19], 7
	s_lshl_b64 s[0:1], s[0:1], 7
	s_waitcnt vmcnt(0)
	v_mul_f32_e32 v4, s11, v7
	v_mul_f32_e32 v5, s10, v7
	v_fma_f32 v4, v6, s10, -v4
	v_fmac_f32_e32 v5, s11, v6
	v_add_f32_e32 v4, v8, v4
	v_add_f32_e32 v5, v12, v5
	global_store_dwordx2 v[0:1], v[4:5], off
	global_load_dwordx2 v[4:5], v[2:3], off offset:128
	v_mul_f32_e32 v6, s15, v78
	v_mul_f32_e32 v7, s14, v78
	v_fma_f32 v6, v77, s14, -v6
	v_fmac_f32_e32 v7, s15, v77
	s_waitcnt vmcnt(0)
	v_mul_f32_e32 v8, s11, v5
	v_mul_f32_e32 v5, s10, v5
	v_fma_f32 v8, v4, s10, -v8
	v_fmac_f32_e32 v5, s11, v4
	v_add_f32_e32 v4, v6, v8
	v_add_f32_e32 v5, v7, v5
	global_store_dwordx2 v[0:1], v[4:5], off offset:128
	global_load_dwordx2 v[4:5], v[2:3], off offset:256
	v_mul_f32_e32 v6, s15, v76
	v_mul_f32_e32 v7, s14, v76
	v_fma_f32 v6, v75, s14, -v6
	v_fmac_f32_e32 v7, s15, v75
	s_waitcnt vmcnt(0)
	v_mul_f32_e32 v8, s11, v5
	v_mul_f32_e32 v5, s10, v5
	v_fma_f32 v8, v4, s10, -v8
	v_fmac_f32_e32 v5, s11, v4
	v_add_f32_e32 v4, v6, v8
	v_add_f32_e32 v5, v7, v5
	global_store_dwordx2 v[0:1], v[4:5], off offset:256
	global_load_dwordx2 v[4:5], v[2:3], off offset:384
	v_mul_f32_e32 v6, s15, v74
	v_mul_f32_e32 v7, s14, v74
	v_fma_f32 v6, v73, s14, -v6
	v_fmac_f32_e32 v7, s15, v73
	v_mov_b32_e32 v8, s5
	v_add_co_u32_e32 v2, vcc, s4, v2
	v_addc_co_u32_e32 v3, vcc, v3, v8, vcc
	s_waitcnt vmcnt(0)
	v_mul_f32_e32 v9, s11, v5
	v_mul_f32_e32 v5, s10, v5
	v_fma_f32 v9, v4, s10, -v9
	v_fmac_f32_e32 v5, s11, v4
	v_add_f32_e32 v4, v6, v9
	v_add_f32_e32 v5, v7, v5
	global_store_dwordx2 v[0:1], v[4:5], off offset:384
	global_load_dwordx2 v[4:5], v[2:3], off
	v_mul_f32_e32 v6, s15, v72
	v_mul_f32_e32 v7, s14, v72
	v_fma_f32 v6, v71, s14, -v6
	v_fmac_f32_e32 v7, s15, v71
	v_mov_b32_e32 v9, s1
	v_add_co_u32_e32 v0, vcc, s0, v0
	v_addc_co_u32_e32 v1, vcc, v1, v9, vcc
	s_waitcnt vmcnt(0)
	v_mul_f32_e32 v10, s11, v5
	v_mul_f32_e32 v5, s10, v5
	v_fma_f32 v10, v4, s10, -v10
	v_fmac_f32_e32 v5, s11, v4
	v_add_f32_e32 v4, v6, v10
	v_add_f32_e32 v5, v7, v5
	global_store_dwordx2 v[0:1], v[4:5], off
	global_load_dwordx2 v[4:5], v[2:3], off offset:128
	v_mul_f32_e32 v6, s15, v70
	v_mul_f32_e32 v7, s14, v70
	v_fma_f32 v6, v69, s14, -v6
	v_fmac_f32_e32 v7, s15, v69
	s_waitcnt vmcnt(0)
	v_mul_f32_e32 v10, s11, v5
	v_mul_f32_e32 v5, s10, v5
	v_fma_f32 v10, v4, s10, -v10
	v_fmac_f32_e32 v5, s11, v4
	v_add_f32_e32 v4, v6, v10
	v_add_f32_e32 v5, v7, v5
	global_store_dwordx2 v[0:1], v[4:5], off offset:128
	global_load_dwordx2 v[4:5], v[2:3], off offset:256
	v_mul_f32_e32 v6, s15, v68
	v_mul_f32_e32 v7, s14, v68
	v_fma_f32 v6, v67, s14, -v6
	v_fmac_f32_e32 v7, s15, v67
	s_waitcnt vmcnt(0)
	v_mul_f32_e32 v10, s11, v5
	v_mul_f32_e32 v5, s10, v5
	v_fma_f32 v10, v4, s10, -v10
	v_fmac_f32_e32 v5, s11, v4
	v_add_f32_e32 v4, v6, v10
	v_add_f32_e32 v5, v7, v5
	global_store_dwordx2 v[0:1], v[4:5], off offset:256
	global_load_dwordx2 v[4:5], v[2:3], off offset:384
	v_mul_f32_e32 v6, s15, v66
	v_mul_f32_e32 v7, s14, v66
	v_fma_f32 v6, v65, s14, -v6
	v_fmac_f32_e32 v7, s15, v65
	v_add_co_u32_e32 v2, vcc, s4, v2
	v_addc_co_u32_e32 v3, vcc, v3, v8, vcc
	s_waitcnt vmcnt(0)
	v_mul_f32_e32 v10, s11, v5
	v_mul_f32_e32 v5, s10, v5
	v_fma_f32 v10, v4, s10, -v10
	v_fmac_f32_e32 v5, s11, v4
	v_add_f32_e32 v4, v6, v10
	v_add_f32_e32 v5, v7, v5
	global_store_dwordx2 v[0:1], v[4:5], off offset:384
	global_load_dwordx2 v[4:5], v[2:3], off
	v_mul_f32_e32 v6, s15, v64
	v_mul_f32_e32 v7, s14, v64
	v_fma_f32 v6, v63, s14, -v6
	v_fmac_f32_e32 v7, s15, v63
	v_add_co_u32_e32 v0, vcc, s0, v0
	v_addc_co_u32_e32 v1, vcc, v1, v9, vcc
	s_waitcnt vmcnt(0)
	v_mul_f32_e32 v10, s11, v5
	v_mul_f32_e32 v5, s10, v5
	v_fma_f32 v10, v4, s10, -v10
	v_fmac_f32_e32 v5, s11, v4
	v_add_f32_e32 v4, v6, v10
	v_add_f32_e32 v5, v7, v5
	global_store_dwordx2 v[0:1], v[4:5], off
	global_load_dwordx2 v[4:5], v[2:3], off offset:128
	v_mul_f32_e32 v6, s15, v62
	v_mul_f32_e32 v7, s14, v62
	v_fma_f32 v6, v61, s14, -v6
	v_fmac_f32_e32 v7, s15, v61
	s_waitcnt vmcnt(0)
	v_mul_f32_e32 v10, s11, v5
	v_mul_f32_e32 v5, s10, v5
	v_fma_f32 v10, v4, s10, -v10
	v_fmac_f32_e32 v5, s11, v4
	v_add_f32_e32 v4, v6, v10
	v_add_f32_e32 v5, v7, v5
	global_store_dwordx2 v[0:1], v[4:5], off offset:128
	global_load_dwordx2 v[4:5], v[2:3], off offset:256
	v_mul_f32_e32 v6, s15, v60
	v_mul_f32_e32 v7, s14, v60
	v_fma_f32 v6, v59, s14, -v6
	v_fmac_f32_e32 v7, s15, v59
	s_waitcnt vmcnt(0)
	v_mul_f32_e32 v10, s11, v5
	v_mul_f32_e32 v5, s10, v5
	v_fma_f32 v10, v4, s10, -v10
	v_fmac_f32_e32 v5, s11, v4
	v_add_f32_e32 v4, v6, v10
	v_add_f32_e32 v5, v7, v5
	global_store_dwordx2 v[0:1], v[4:5], off offset:256
	global_load_dwordx2 v[4:5], v[2:3], off offset:384
	v_add_co_u32_e32 v2, vcc, s4, v2
	v_mul_f32_e32 v6, s15, v58
	v_mul_f32_e32 v7, s14, v58
	v_addc_co_u32_e32 v3, vcc, v3, v8, vcc
	v_fma_f32 v6, v57, s14, -v6
	v_fmac_f32_e32 v7, s15, v57
	s_waitcnt vmcnt(0)
	v_mul_f32_e32 v8, s11, v5
	v_mul_f32_e32 v5, s10, v5
	v_fma_f32 v8, v4, s10, -v8
	v_fmac_f32_e32 v5, s11, v4
	v_add_f32_e32 v4, v6, v8
	v_add_f32_e32 v5, v7, v5
	global_store_dwordx2 v[0:1], v[4:5], off offset:384
	global_load_dwordx2 v[4:5], v[2:3], off
	v_mul_f32_e32 v6, s15, v51
	v_mul_f32_e32 v7, s14, v51
	v_fma_f32 v6, v50, s14, -v6
	v_fmac_f32_e32 v7, s15, v50
	v_add_co_u32_e32 v0, vcc, s0, v0
	v_addc_co_u32_e32 v1, vcc, v1, v9, vcc
	s_waitcnt vmcnt(0)
	v_mul_f32_e32 v8, s11, v5
	v_mul_f32_e32 v5, s10, v5
	v_fma_f32 v8, v4, s10, -v8
	v_fmac_f32_e32 v5, s11, v4
	v_add_f32_e32 v4, v6, v8
	v_add_f32_e32 v5, v7, v5
	global_store_dwordx2 v[0:1], v[4:5], off
	global_load_dwordx2 v[4:5], v[2:3], off offset:128
	v_mul_f32_e32 v6, s15, v49
	v_mul_f32_e32 v7, s14, v49
	v_fma_f32 v6, v48, s14, -v6
	v_fmac_f32_e32 v7, s15, v48
	s_waitcnt vmcnt(0)
	v_mul_f32_e32 v8, s11, v5
	v_mul_f32_e32 v5, s10, v5
	v_fma_f32 v8, v4, s10, -v8
	v_fmac_f32_e32 v5, s11, v4
	v_add_f32_e32 v4, v6, v8
	v_add_f32_e32 v5, v7, v5
	global_store_dwordx2 v[0:1], v[4:5], off offset:128
	global_load_dwordx2 v[4:5], v[2:3], off offset:256
	v_mul_f32_e32 v6, s15, v46
	v_mul_f32_e32 v7, s14, v46
	v_fma_f32 v6, v47, s14, -v6
	v_fmac_f32_e32 v7, s15, v47
	s_waitcnt vmcnt(0)
	v_mul_f32_e32 v8, s11, v5
	v_mul_f32_e32 v5, s10, v5
	v_fma_f32 v8, v4, s10, -v8
	v_fmac_f32_e32 v5, s11, v4
	v_add_f32_e32 v4, v6, v8
	v_add_f32_e32 v5, v7, v5
	global_store_dwordx2 v[0:1], v[4:5], off offset:256
	global_load_dwordx2 v[4:5], v[2:3], off offset:384
	v_mul_f32_e32 v6, s3, v36
	v_pk_mul_f32 v[2:3], v[36:37], s[2:3]
	v_fma_f32 v8, -v37, s2, v6
	v_add_f32_e32 v3, v2, v3
	v_add_co_u32_e32 v2, vcc, 0x180, v0
	s_waitcnt vmcnt(0)
	v_pk_mul_f32 v[6:7], v[4:5], s[10:11] op_sel:[0,1] op_sel_hi:[1,0]
	v_mul_f32_e32 v4, s10, v4
	v_fma_f32 v4, -v5, s11, v4
	v_add_f32_e32 v5, v6, v7
	v_add_f32_e32 v4, v8, v4
	;; [unrolled: 1-line block ×3, first 2 shown]
	v_addc_co_u32_e32 v3, vcc, 0, v1, vcc
	global_store_dword v[0:1], v4, off offset:384
.LBB95_8:
	global_store_dword v[2:3], v6, off offset:4
	s_endpgm
	.section	.rodata,"a",@progbits
	.p2align	6, 0x0
	.amdhsa_kernel _ZN12_GLOBAL__N_127rocblas_gemm_batched_kernelI19rocblas_complex_numIfELi16ELi16ELi64ELi64ELi4ELi64ELi4ELi4ELi64ELc67ELc84EKS2_S3_S2_EEvlllT_PT11_llS6_llS4_PT12_llPT13_lli
		.amdhsa_group_segment_fixed_size 4096
		.amdhsa_private_segment_fixed_size 0
		.amdhsa_kernarg_size 140
		.amdhsa_user_sgpr_count 6
		.amdhsa_user_sgpr_private_segment_buffer 1
		.amdhsa_user_sgpr_dispatch_ptr 0
		.amdhsa_user_sgpr_queue_ptr 0
		.amdhsa_user_sgpr_kernarg_segment_ptr 1
		.amdhsa_user_sgpr_dispatch_id 0
		.amdhsa_user_sgpr_flat_scratch_init 0
		.amdhsa_user_sgpr_kernarg_preload_length 0
		.amdhsa_user_sgpr_kernarg_preload_offset 0
		.amdhsa_user_sgpr_private_segment_size 0
		.amdhsa_uses_dynamic_stack 0
		.amdhsa_system_sgpr_private_segment_wavefront_offset 0
		.amdhsa_system_sgpr_workgroup_id_x 1
		.amdhsa_system_sgpr_workgroup_id_y 1
		.amdhsa_system_sgpr_workgroup_id_z 1
		.amdhsa_system_sgpr_workgroup_info 0
		.amdhsa_system_vgpr_workitem_id 1
		.amdhsa_next_free_vgpr 90
		.amdhsa_next_free_sgpr 30
		.amdhsa_accum_offset 92
		.amdhsa_reserve_vcc 1
		.amdhsa_reserve_flat_scratch 0
		.amdhsa_float_round_mode_32 0
		.amdhsa_float_round_mode_16_64 0
		.amdhsa_float_denorm_mode_32 3
		.amdhsa_float_denorm_mode_16_64 3
		.amdhsa_dx10_clamp 1
		.amdhsa_ieee_mode 1
		.amdhsa_fp16_overflow 0
		.amdhsa_tg_split 0
		.amdhsa_exception_fp_ieee_invalid_op 0
		.amdhsa_exception_fp_denorm_src 0
		.amdhsa_exception_fp_ieee_div_zero 0
		.amdhsa_exception_fp_ieee_overflow 0
		.amdhsa_exception_fp_ieee_underflow 0
		.amdhsa_exception_fp_ieee_inexact 0
		.amdhsa_exception_int_div_zero 0
	.end_amdhsa_kernel
	.section	.text._ZN12_GLOBAL__N_127rocblas_gemm_batched_kernelI19rocblas_complex_numIfELi16ELi16ELi64ELi64ELi4ELi64ELi4ELi4ELi64ELc67ELc84EKS2_S3_S2_EEvlllT_PT11_llS6_llS4_PT12_llPT13_lli,"axG",@progbits,_ZN12_GLOBAL__N_127rocblas_gemm_batched_kernelI19rocblas_complex_numIfELi16ELi16ELi64ELi64ELi4ELi64ELi4ELi4ELi64ELc67ELc84EKS2_S3_S2_EEvlllT_PT11_llS6_llS4_PT12_llPT13_lli,comdat
.Lfunc_end95:
	.size	_ZN12_GLOBAL__N_127rocblas_gemm_batched_kernelI19rocblas_complex_numIfELi16ELi16ELi64ELi64ELi4ELi64ELi4ELi4ELi64ELc67ELc84EKS2_S3_S2_EEvlllT_PT11_llS6_llS4_PT12_llPT13_lli, .Lfunc_end95-_ZN12_GLOBAL__N_127rocblas_gemm_batched_kernelI19rocblas_complex_numIfELi16ELi16ELi64ELi64ELi4ELi64ELi4ELi4ELi64ELc67ELc84EKS2_S3_S2_EEvlllT_PT11_llS6_llS4_PT12_llPT13_lli
                                        ; -- End function
	.section	.AMDGPU.csdata,"",@progbits
; Kernel info:
; codeLenInByte = 4736
; NumSgprs: 34
; NumVgprs: 90
; NumAgprs: 0
; TotalNumVgprs: 90
; ScratchSize: 0
; MemoryBound: 0
; FloatMode: 240
; IeeeMode: 1
; LDSByteSize: 4096 bytes/workgroup (compile time only)
; SGPRBlocks: 4
; VGPRBlocks: 11
; NumSGPRsForWavesPerEU: 34
; NumVGPRsForWavesPerEU: 90
; AccumOffset: 92
; Occupancy: 5
; WaveLimiterHint : 1
; COMPUTE_PGM_RSRC2:SCRATCH_EN: 0
; COMPUTE_PGM_RSRC2:USER_SGPR: 6
; COMPUTE_PGM_RSRC2:TRAP_HANDLER: 0
; COMPUTE_PGM_RSRC2:TGID_X_EN: 1
; COMPUTE_PGM_RSRC2:TGID_Y_EN: 1
; COMPUTE_PGM_RSRC2:TGID_Z_EN: 1
; COMPUTE_PGM_RSRC2:TIDIG_COMP_CNT: 1
; COMPUTE_PGM_RSRC3_GFX90A:ACCUM_OFFSET: 22
; COMPUTE_PGM_RSRC3_GFX90A:TG_SPLIT: 0
	.section	.text._ZN12_GLOBAL__N_127rocblas_gemm_batched_kernelI19rocblas_complex_numIfELi16ELi16ELi64ELi64ELi4ELi64ELi4ELi4ELi64ELc78ELc67EKS2_S3_S2_EEvlllT_PT11_llS6_llS4_PT12_llPT13_lli,"axG",@progbits,_ZN12_GLOBAL__N_127rocblas_gemm_batched_kernelI19rocblas_complex_numIfELi16ELi16ELi64ELi64ELi4ELi64ELi4ELi4ELi64ELc78ELc67EKS2_S3_S2_EEvlllT_PT11_llS6_llS4_PT12_llPT13_lli,comdat
	.globl	_ZN12_GLOBAL__N_127rocblas_gemm_batched_kernelI19rocblas_complex_numIfELi16ELi16ELi64ELi64ELi4ELi64ELi4ELi4ELi64ELc78ELc67EKS2_S3_S2_EEvlllT_PT11_llS6_llS4_PT12_llPT13_lli ; -- Begin function _ZN12_GLOBAL__N_127rocblas_gemm_batched_kernelI19rocblas_complex_numIfELi16ELi16ELi64ELi64ELi4ELi64ELi4ELi4ELi64ELc78ELc67EKS2_S3_S2_EEvlllT_PT11_llS6_llS4_PT12_llPT13_lli
	.p2align	8
	.type	_ZN12_GLOBAL__N_127rocblas_gemm_batched_kernelI19rocblas_complex_numIfELi16ELi16ELi64ELi64ELi4ELi64ELi4ELi4ELi64ELc78ELc67EKS2_S3_S2_EEvlllT_PT11_llS6_llS4_PT12_llPT13_lli,@function
_ZN12_GLOBAL__N_127rocblas_gemm_batched_kernelI19rocblas_complex_numIfELi16ELi16ELi64ELi64ELi4ELi64ELi4ELi4ELi64ELc78ELc67EKS2_S3_S2_EEvlllT_PT11_llS6_llS4_PT12_llPT13_lli: ; @_ZN12_GLOBAL__N_127rocblas_gemm_batched_kernelI19rocblas_complex_numIfELi16ELi16ELi64ELi64ELi4ELi64ELi4ELi4ELi64ELc78ELc67EKS2_S3_S2_EEvlllT_PT11_llS6_llS4_PT12_llPT13_lli
; %bb.0:
	s_load_dwordx16 s[12:27], s[4:5], 0x10
	s_load_dwordx2 s[10:11], s[4:5], 0x50
	s_mov_b32 s0, s7
	s_ashr_i32 s1, s0, 31
	s_ashr_i32 s7, s6, 31
	s_lshl_b64 s[28:29], s[0:1], 6
	s_waitcnt lgkmcnt(0)
	v_cmp_lt_i64_e64 s[0:1], s[12:13], 1
	v_bfe_u32 v45, v0, 10, 10
	v_and_b32_e32 v44, 0x3ff, v0
	s_lshl_b64 s[6:7], s[6:7], 6
	s_and_b64 vcc, exec, s[0:1]
	s_cbranch_vccnz .LBB96_3
; %bb.1:
	v_lshl_add_u32 v4, v45, 4, v44
	v_lshrrev_b32_e32 v5, 2, v4
	v_mov_b32_e32 v1, s29
	v_add_co_u32_e32 v0, vcc, s28, v5
	v_addc_co_u32_e32 v1, vcc, 0, v1, vcc
	v_and_b32_e32 v6, 3, v44
	v_mad_u64_u32 v[0:1], s[0:1], v6, s24, v[0:1]
	v_mov_b32_e32 v2, v1
	v_mad_u64_u32 v[2:3], s[0:1], v6, s25, v[2:3]
	v_and_b32_e32 v7, 63, v4
	v_mov_b32_e32 v1, v2
	v_lshrrev_b32_e32 v8, 6, v4
	v_lshlrev_b32_e32 v2, 3, v7
	v_lshl_or_b32 v52, v8, 9, v2
	v_lshlrev_b32_e32 v2, 3, v6
	v_lshl_or_b32 v2, v5, 5, v2
	v_add_u32_e32 v53, 0x800, v2
	v_mov_b32_e32 v2, 0x800
	v_lshl_add_u32 v55, v45, 5, v2
	v_pk_mov_b32 v[2:3], s[6:7], s[6:7] op_sel:[0,1]
	v_mad_u64_u32 v[2:3], s[2:3], v8, s18, v[2:3]
	s_mul_i32 s0, s21, s8
	s_mul_hi_u32 s1, s20, s8
	v_mov_b32_e32 v4, v3
	s_add_i32 s1, s1, s0
	s_mul_i32 s0, s20, s8
	v_mad_u64_u32 v[4:5], s[2:3], v8, s19, v[4:5]
	s_lshl_b64 s[0:1], s[0:1], 3
	v_mov_b32_e32 v3, v4
	v_add_co_u32_e32 v2, vcc, v2, v7
	v_addc_co_u32_e32 v3, vcc, 0, v3, vcc
	s_add_u32 s0, s16, s0
	s_mul_i32 s2, s27, s8
	s_mul_hi_u32 s3, s26, s8
	v_lshlrev_b64 v[2:3], 3, v[2:3]
	s_addc_u32 s1, s17, s1
	s_add_i32 s3, s3, s2
	s_mul_i32 s2, s26, s8
	v_mov_b32_e32 v4, s1
	v_add_co_u32_e32 v38, vcc, s0, v2
	s_lshl_b64 s[0:1], s[18:19], 5
	s_lshl_b64 s[2:3], s[2:3], 3
	s_add_u32 s2, s22, s2
	v_addc_co_u32_e32 v39, vcc, v4, v3, vcc
	v_lshlrev_b64 v[0:1], 3, v[0:1]
	s_addc_u32 s3, s23, s3
	v_mov_b32_e32 v2, s3
	v_add_co_u32_e32 v0, vcc, s2, v0
	v_addc_co_u32_e32 v1, vcc, v2, v1, vcc
	v_add_co_u32_e32 v40, vcc, 4, v0
	s_lshl_b64 s[2:3], s[24:25], 5
	v_mov_b32_e32 v46, 0
	v_lshlrev_b32_e32 v54, 3, v44
	v_addc_co_u32_e32 v41, vcc, 0, v1, vcc
	s_mov_b64 s[16:17], 0
	v_mov_b32_e32 v56, s1
	v_mov_b32_e32 v57, s3
	v_pk_mov_b32 v[42:43], s[12:13], s[12:13] op_sel:[0,1]
	v_mov_b32_e32 v47, 0
	v_mov_b32_e32 v49, 0
	;; [unrolled: 1-line block ×31, first 2 shown]
.LBB96_2:                               ; =>This Inner Loop Header: Depth=1
	global_load_dwordx2 v[0:1], v[38:39], off
	v_add_co_u32_e32 v38, vcc, s0, v38
	v_addc_co_u32_e32 v39, vcc, v39, v56, vcc
	s_add_u32 s16, s16, 4
	s_addc_u32 s17, s17, 0
	s_waitcnt vmcnt(0)
	ds_write_b64 v52, v[0:1]
	global_load_dwordx2 v[0:1], v[40:41], off offset:-4
	v_add_co_u32_e32 v40, vcc, s2, v40
	v_addc_co_u32_e32 v41, vcc, v41, v57, vcc
	v_cmp_lt_i64_e32 vcc, s[16:17], v[42:43]
	s_and_b64 vcc, exec, vcc
	s_waitcnt vmcnt(0)
	v_xor_b32_e32 v1, 0x80000000, v1
	ds_write_b64 v53, v[0:1]
	s_waitcnt lgkmcnt(0)
	s_barrier
	ds_read_b128 v[0:3], v55
	ds_read_b128 v[32:35], v55 offset:16
	ds_read2_b64 v[8:11], v54 offset1:16
	ds_read2_b64 v[12:15], v54 offset0:32 offset1:48
	s_waitcnt lgkmcnt(1)
	v_mul_f32_e32 v4, v1, v9
	v_fma_f32 v4, v0, v8, -v4
	v_mul_f32_e32 v5, v0, v9
	v_add_f32_e32 v20, v80, v4
	v_mul_f32_e32 v4, v1, v11
	v_fmac_f32_e32 v5, v1, v8
	v_fma_f32 v4, v0, v10, -v4
	v_add_f32_e32 v21, v81, v5
	v_mul_f32_e32 v5, v0, v11
	v_add_f32_e32 v22, v78, v4
	s_waitcnt lgkmcnt(0)
	v_mul_f32_e32 v4, v1, v13
	v_fmac_f32_e32 v5, v1, v10
	v_fma_f32 v4, v0, v12, -v4
	v_add_f32_e32 v23, v79, v5
	v_mul_f32_e32 v5, v0, v13
	v_add_f32_e32 v76, v76, v4
	v_mul_f32_e32 v4, v1, v15
	v_fmac_f32_e32 v5, v1, v12
	v_fma_f32 v4, v0, v14, -v4
	v_mul_f32_e32 v0, v0, v15
	v_add_f32_e32 v77, v77, v5
	v_fmac_f32_e32 v0, v1, v14
	v_add_f32_e32 v1, v74, v4
	ds_read_b128 v[4:7], v55 offset:512
	ds_read_b128 v[80:83], v55 offset:1040
	v_add_f32_e32 v0, v75, v0
	s_waitcnt lgkmcnt(1)
	v_mul_f32_e32 v16, v5, v9
	v_fma_f32 v16, v4, v8, -v16
	v_mul_f32_e32 v17, v4, v9
	v_add_f32_e32 v72, v72, v16
	v_mul_f32_e32 v16, v5, v11
	v_fmac_f32_e32 v17, v5, v8
	v_fma_f32 v16, v4, v10, -v16
	v_add_f32_e32 v73, v73, v17
	v_mul_f32_e32 v17, v4, v11
	v_add_f32_e32 v70, v70, v16
	v_mul_f32_e32 v16, v5, v13
	v_fmac_f32_e32 v17, v5, v10
	v_fma_f32 v16, v4, v12, -v16
	v_add_f32_e32 v71, v71, v17
	v_mul_f32_e32 v17, v4, v13
	v_add_f32_e32 v68, v68, v16
	v_mul_f32_e32 v16, v5, v15
	v_fmac_f32_e32 v17, v5, v12
	v_fma_f32 v16, v4, v14, -v16
	v_mul_f32_e32 v4, v4, v15
	v_add_f32_e32 v69, v69, v17
	v_fmac_f32_e32 v4, v5, v14
	v_add_f32_e32 v5, v66, v16
	ds_read_b128 v[16:19], v55 offset:1024
	v_add_f32_e32 v4, v67, v4
	s_waitcnt lgkmcnt(0)
	v_mul_f32_e32 v24, v17, v9
	v_fma_f32 v24, v16, v8, -v24
	v_mul_f32_e32 v25, v16, v9
	v_add_f32_e32 v64, v64, v24
	v_mul_f32_e32 v24, v17, v11
	v_fmac_f32_e32 v25, v17, v8
	v_fma_f32 v24, v16, v10, -v24
	v_add_f32_e32 v65, v65, v25
	v_mul_f32_e32 v25, v16, v11
	v_add_f32_e32 v62, v62, v24
	v_mul_f32_e32 v24, v17, v13
	v_fmac_f32_e32 v25, v17, v10
	v_fma_f32 v24, v16, v12, -v24
	v_add_f32_e32 v63, v63, v25
	v_mul_f32_e32 v25, v16, v13
	v_add_f32_e32 v60, v60, v24
	v_mul_f32_e32 v24, v17, v15
	v_fmac_f32_e32 v25, v17, v12
	v_fma_f32 v24, v16, v14, -v24
	v_mul_f32_e32 v16, v16, v15
	v_add_f32_e32 v61, v61, v25
	v_fmac_f32_e32 v16, v17, v14
	v_add_f32_e32 v17, v58, v24
	ds_read2_b64 v[24:27], v54 offset0:64 offset1:80
	v_add_f32_e32 v16, v59, v16
	s_waitcnt lgkmcnt(0)
	v_mul_f32_e32 v28, v3, v25
	v_mul_f32_e32 v29, v2, v25
	v_fma_f32 v28, v2, v24, -v28
	v_fmac_f32_e32 v29, v3, v24
	v_add_f32_e32 v20, v20, v28
	v_add_f32_e32 v21, v21, v29
	v_mul_f32_e32 v28, v3, v27
	v_mul_f32_e32 v29, v2, v27
	v_fma_f32 v28, v2, v26, -v28
	v_fmac_f32_e32 v29, v3, v26
	v_add_f32_e32 v22, v22, v28
	v_add_f32_e32 v23, v23, v29
	ds_read2_b64 v[28:31], v54 offset0:96 offset1:112
	s_waitcnt lgkmcnt(0)
	v_mul_f32_e32 v58, v3, v29
	v_mul_f32_e32 v66, v3, v31
	v_fma_f32 v58, v2, v28, -v58
	v_mul_f32_e32 v59, v2, v29
	v_fma_f32 v66, v2, v30, -v66
	v_mul_f32_e32 v2, v2, v31
	v_fmac_f32_e32 v2, v3, v30
	v_add_f32_e32 v66, v1, v66
	v_add_f32_e32 v67, v0, v2
	v_mul_f32_e32 v0, v7, v25
	v_mul_f32_e32 v1, v6, v25
	v_fma_f32 v0, v6, v24, -v0
	v_fmac_f32_e32 v1, v7, v24
	v_add_f32_e32 v72, v72, v0
	v_add_f32_e32 v73, v73, v1
	v_mul_f32_e32 v0, v7, v27
	v_mul_f32_e32 v1, v6, v27
	v_fma_f32 v0, v6, v26, -v0
	;; [unrolled: 6-line block ×6, first 2 shown]
	v_fmac_f32_e32 v1, v19, v26
	ds_read2_b64 v[4:7], v54 offset0:128 offset1:144
	v_add_f32_e32 v62, v62, v0
	v_add_f32_e32 v63, v63, v1
	v_mul_f32_e32 v0, v19, v29
	v_mul_f32_e32 v1, v18, v29
	v_fmac_f32_e32 v59, v3, v28
	v_fma_f32 v0, v18, v28, -v0
	v_fmac_f32_e32 v1, v19, v28
	v_add_f32_e32 v58, v76, v58
	v_add_f32_e32 v59, v77, v59
	;; [unrolled: 1-line block ×4, first 2 shown]
	v_mul_f32_e32 v0, v19, v31
	v_mul_f32_e32 v1, v18, v31
	v_fma_f32 v0, v18, v30, -v0
	v_fmac_f32_e32 v1, v19, v30
	v_add_f32_e32 v17, v17, v0
	v_add_f32_e32 v16, v16, v1
	s_waitcnt lgkmcnt(0)
	v_mul_f32_e32 v0, v33, v5
	v_mul_f32_e32 v1, v32, v5
	v_fma_f32 v0, v32, v4, -v0
	v_fmac_f32_e32 v1, v33, v4
	v_add_f32_e32 v18, v20, v0
	v_add_f32_e32 v19, v21, v1
	v_mul_f32_e32 v0, v33, v7
	v_mul_f32_e32 v1, v32, v7
	v_fma_f32 v0, v32, v6, -v0
	v_fmac_f32_e32 v1, v33, v6
	v_add_f32_e32 v78, v22, v0
	v_add_f32_e32 v79, v23, v1
	ds_read2_b64 v[0:3], v54 offset0:160 offset1:176
	s_waitcnt lgkmcnt(0)
	v_mul_f32_e32 v20, v33, v1
	v_mul_f32_e32 v21, v32, v1
	v_fma_f32 v20, v32, v0, -v20
	v_fmac_f32_e32 v21, v33, v0
	v_add_f32_e32 v84, v58, v20
	v_add_f32_e32 v85, v59, v21
	ds_read_b128 v[58:61], v55 offset:528
	v_mul_f32_e32 v20, v33, v3
	v_mul_f32_e32 v21, v32, v3
	v_fma_f32 v20, v32, v2, -v20
	v_fmac_f32_e32 v21, v33, v2
	v_add_f32_e32 v32, v66, v20
	v_add_f32_e32 v33, v67, v21
	s_waitcnt lgkmcnt(0)
	v_mul_f32_e32 v20, v59, v5
	v_mul_f32_e32 v21, v58, v5
	v_fma_f32 v20, v58, v4, -v20
	v_fmac_f32_e32 v21, v59, v4
	v_add_f32_e32 v66, v72, v20
	v_add_f32_e32 v67, v73, v21
	v_mul_f32_e32 v20, v59, v7
	v_mul_f32_e32 v21, v58, v7
	v_fma_f32 v20, v58, v6, -v20
	v_fmac_f32_e32 v21, v59, v6
	v_add_f32_e32 v70, v70, v20
	v_add_f32_e32 v71, v71, v21
	;; [unrolled: 6-line block ×8, first 2 shown]
	ds_read2_b64 v[20:23], v54 offset0:192 offset1:208
	s_waitcnt lgkmcnt(0)
	v_mul_f32_e32 v16, v35, v21
	v_mul_f32_e32 v17, v34, v21
	v_fma_f32 v16, v34, v20, -v16
	v_fmac_f32_e32 v17, v35, v20
	v_add_f32_e32 v80, v18, v16
	v_add_f32_e32 v81, v19, v17
	v_mul_f32_e32 v16, v35, v23
	v_mul_f32_e32 v17, v34, v23
	v_fma_f32 v16, v34, v22, -v16
	v_fmac_f32_e32 v17, v35, v22
	v_add_f32_e32 v78, v78, v16
	v_add_f32_e32 v79, v79, v17
	ds_read2_b64 v[16:19], v54 offset0:224 offset1:240
	s_waitcnt lgkmcnt(0)
	v_mul_f32_e32 v72, v35, v17
	v_fma_f32 v72, v34, v16, -v72
	v_add_f32_e32 v76, v84, v72
	v_mul_f32_e32 v72, v35, v19
	v_mul_f32_e32 v73, v34, v17
	v_fma_f32 v72, v34, v18, -v72
	v_mul_f32_e32 v34, v34, v19
	v_fmac_f32_e32 v34, v35, v18
	v_add_f32_e32 v74, v32, v72
	v_add_f32_e32 v75, v33, v34
	v_mul_f32_e32 v32, v61, v21
	v_mul_f32_e32 v33, v60, v21
	v_fmac_f32_e32 v73, v35, v16
	v_fma_f32 v32, v60, v20, -v32
	v_fmac_f32_e32 v33, v61, v20
	v_add_f32_e32 v77, v85, v73
	v_add_f32_e32 v72, v66, v32
	v_add_f32_e32 v73, v67, v33
	v_mul_f32_e32 v32, v61, v23
	v_mul_f32_e32 v33, v60, v23
	v_fma_f32 v32, v60, v22, -v32
	v_fmac_f32_e32 v33, v61, v22
	v_add_f32_e32 v70, v70, v32
	v_add_f32_e32 v71, v71, v33
	v_mul_f32_e32 v32, v61, v17
	v_mul_f32_e32 v33, v60, v17
	v_fma_f32 v32, v60, v16, -v32
	v_fmac_f32_e32 v33, v61, v16
	v_add_f32_e32 v68, v68, v32
	v_add_f32_e32 v69, v69, v33
	;; [unrolled: 6-line block ×7, first 2 shown]
	ds_read_b128 v[32:35], v55 offset:1536
	s_waitcnt lgkmcnt(0)
	v_mul_f32_e32 v82, v33, v9
	v_mul_f32_e32 v9, v32, v9
	v_fmac_f32_e32 v9, v33, v8
	v_fma_f32 v82, v32, v8, -v82
	v_add_f32_e32 v51, v51, v9
	v_mul_f32_e32 v8, v33, v11
	v_mul_f32_e32 v9, v32, v11
	v_fma_f32 v8, v32, v10, -v8
	v_fmac_f32_e32 v9, v33, v10
	v_add_f32_e32 v48, v48, v8
	v_add_f32_e32 v49, v49, v9
	v_mul_f32_e32 v8, v33, v13
	v_mul_f32_e32 v9, v32, v13
	v_fma_f32 v8, v32, v12, -v8
	v_fmac_f32_e32 v9, v33, v12
	v_add_f32_e32 v12, v47, v8
	v_add_f32_e32 v13, v46, v9
	v_pk_mul_f32 v[8:9], v[32:33], v[14:15] op_sel:[0,1]
	v_pk_fma_f32 v[10:11], v[32:33], v[14:15], v[8:9] op_sel:[0,0,1] op_sel_hi:[1,1,0] neg_lo:[0,0,1] neg_hi:[0,0,1]
	v_pk_fma_f32 v[8:9], v[32:33], v[14:15], v[8:9] op_sel:[0,0,1] op_sel_hi:[1,0,0]
	v_mov_b32_e32 v11, v9
	v_pk_add_f32 v[8:9], v[36:37], v[10:11]
	v_mul_f32_e32 v10, v35, v25
	v_mul_f32_e32 v11, v34, v25
	v_add_f32_e32 v50, v50, v82
	v_fma_f32 v10, v34, v24, -v10
	v_fmac_f32_e32 v11, v35, v24
	v_add_f32_e32 v32, v50, v10
	v_add_f32_e32 v33, v51, v11
	v_mul_f32_e32 v10, v35, v27
	v_mul_f32_e32 v11, v34, v27
	v_fma_f32 v10, v34, v26, -v10
	v_fmac_f32_e32 v11, v35, v26
	v_add_f32_e32 v24, v48, v10
	v_add_f32_e32 v25, v49, v11
	v_mul_f32_e32 v10, v35, v29
	v_mul_f32_e32 v11, v34, v29
	v_fma_f32 v10, v34, v28, -v10
	v_fmac_f32_e32 v11, v35, v28
	v_add_f32_e32 v14, v12, v10
	v_add_f32_e32 v15, v13, v11
	v_pk_mul_f32 v[10:11], v[34:35], v[30:31] op_sel:[0,1]
	v_pk_fma_f32 v[12:13], v[34:35], v[30:31], v[10:11] op_sel:[0,0,1] op_sel_hi:[1,1,0] neg_lo:[0,0,1] neg_hi:[0,0,1]
	v_pk_fma_f32 v[10:11], v[34:35], v[30:31], v[10:11] op_sel:[0,0,1] op_sel_hi:[1,0,0]
	v_mov_b32_e32 v13, v11
	v_pk_add_f32 v[12:13], v[8:9], v[12:13]
	ds_read_b128 v[8:11], v55 offset:1552
	s_waitcnt lgkmcnt(0)
	s_barrier
	v_mul_f32_e32 v26, v9, v5
	v_mul_f32_e32 v5, v8, v5
	v_fma_f32 v26, v8, v4, -v26
	v_fmac_f32_e32 v5, v9, v4
	v_mul_f32_e32 v4, v9, v7
	v_add_f32_e32 v27, v33, v5
	v_fma_f32 v4, v8, v6, -v4
	v_mul_f32_e32 v5, v8, v7
	v_fmac_f32_e32 v5, v9, v6
	v_add_f32_e32 v6, v24, v4
	v_mul_f32_e32 v4, v9, v1
	v_mul_f32_e32 v1, v8, v1
	v_fmac_f32_e32 v1, v9, v0
	v_fma_f32 v4, v8, v0, -v4
	v_add_f32_e32 v15, v15, v1
	v_pk_mul_f32 v[0:1], v[8:9], v[2:3] op_sel:[0,1]
	v_add_f32_e32 v7, v25, v5
	v_add_f32_e32 v14, v14, v4
	v_pk_fma_f32 v[4:5], v[8:9], v[2:3], v[0:1] op_sel:[0,0,1] op_sel_hi:[1,1,0] neg_lo:[0,0,1] neg_hi:[0,0,1]
	v_pk_fma_f32 v[0:1], v[8:9], v[2:3], v[0:1] op_sel:[0,0,1] op_sel_hi:[1,0,0]
	v_mul_f32_e32 v2, v11, v21
	v_mul_f32_e32 v3, v10, v21
	v_add_f32_e32 v26, v32, v26
	v_fma_f32 v2, v10, v20, -v2
	v_fmac_f32_e32 v3, v11, v20
	v_add_f32_e32 v50, v26, v2
	v_add_f32_e32 v51, v27, v3
	v_mul_f32_e32 v2, v11, v23
	v_mul_f32_e32 v3, v10, v23
	v_fma_f32 v2, v10, v22, -v2
	v_fmac_f32_e32 v3, v11, v22
	v_add_f32_e32 v48, v6, v2
	v_add_f32_e32 v49, v7, v3
	v_mul_f32_e32 v2, v11, v17
	v_mul_f32_e32 v3, v10, v17
	v_fma_f32 v2, v10, v16, -v2
	v_fmac_f32_e32 v3, v11, v16
	v_mov_b32_e32 v5, v1
	v_add_f32_e32 v47, v14, v2
	v_add_f32_e32 v46, v15, v3
	v_pk_mul_f32 v[2:3], v[10:11], v[18:19] op_sel:[0,1]
	v_pk_add_f32 v[0:1], v[12:13], v[4:5]
	v_pk_fma_f32 v[4:5], v[10:11], v[18:19], v[2:3] op_sel:[0,0,1] op_sel_hi:[1,1,0] neg_lo:[0,0,1] neg_hi:[0,0,1]
	v_pk_fma_f32 v[2:3], v[10:11], v[18:19], v[2:3] op_sel:[0,0,1] op_sel_hi:[1,0,0]
	v_mov_b32_e32 v5, v3
	v_pk_add_f32 v[36:37], v[0:1], v[4:5]
	s_cbranch_vccnz .LBB96_2
	s_branch .LBB96_4
.LBB96_3:
	v_mov_b32_e32 v37, 0
	v_mov_b32_e32 v36, v37
	;; [unrolled: 1-line block ×32, first 2 shown]
.LBB96_4:
	s_load_dwordx4 s[0:3], s[4:5], 0x78
	s_load_dwordx8 s[16:23], s[4:5], 0x58
	v_mov_b32_e32 v0, s29
	v_add_co_u32_e32 v4, vcc, s28, v45
	s_waitcnt lgkmcnt(0)
	s_mul_i32 s3, s8, s3
	s_mul_hi_u32 s4, s8, s2
	s_mul_i32 s2, s8, s2
	s_add_i32 s3, s4, s3
	s_lshl_b64 s[2:3], s[2:3], 3
	s_add_u32 s9, s22, s2
	s_addc_u32 s12, s23, s3
	v_addc_co_u32_e32 v5, vcc, 0, v0, vcc
	s_or_b32 s2, s10, s11
	s_bitset0_b32 s2, 31
	v_mov_b32_e32 v1, s7
	v_add_co_u32_e32 v0, vcc, s6, v44
	s_cmp_lg_u32 s2, 0
	v_addc_co_u32_e32 v1, vcc, 0, v1, vcc
	s_mov_b32 s2, s15
	s_mov_b32 s3, s14
	s_cbranch_scc1 .LBB96_6
; %bb.5:
	v_mul_lo_u32 v6, v5, s0
	v_mul_lo_u32 v7, v4, s1
	v_mad_u64_u32 v[2:3], s[4:5], v4, s0, 0
	v_add3_u32 v3, v3, v7, v6
	v_lshlrev_b64 v[2:3], 3, v[2:3]
	v_mov_b32_e32 v6, s12
	v_add_co_u32_e32 v8, vcc, s9, v2
	v_addc_co_u32_e32 v9, vcc, v6, v3, vcc
	v_lshlrev_b64 v[6:7], 3, v[0:1]
	v_mul_f32_e32 v2, s15, v81
	v_mul_f32_e32 v3, s14, v81
	v_add_co_u32_e32 v6, vcc, v8, v6
	v_fma_f32 v2, v80, s14, -v2
	v_fmac_f32_e32 v3, s15, v80
	v_addc_co_u32_e32 v7, vcc, v9, v7, vcc
	global_store_dwordx2 v[6:7], v[2:3], off
	v_mul_f32_e32 v2, s15, v79
	v_mul_f32_e32 v3, s14, v79
	v_fma_f32 v2, v78, s14, -v2
	v_fmac_f32_e32 v3, s15, v78
	global_store_dwordx2 v[6:7], v[2:3], off offset:128
	v_mul_f32_e32 v2, s15, v77
	v_mul_f32_e32 v3, s14, v77
	v_fma_f32 v2, v76, s14, -v2
	v_fmac_f32_e32 v3, s15, v76
	global_store_dwordx2 v[6:7], v[2:3], off offset:256
	v_mul_f32_e32 v2, s15, v75
	v_mul_f32_e32 v3, s14, v75
	v_fma_f32 v2, v74, s14, -v2
	v_fmac_f32_e32 v3, s15, v74
	s_lshl_b64 s[4:5], s[0:1], 7
	global_store_dwordx2 v[6:7], v[2:3], off offset:384
	v_mul_f32_e32 v2, s15, v73
	v_mul_f32_e32 v3, s14, v73
	v_mov_b32_e32 v9, s5
	v_add_co_u32_e32 v6, vcc, s4, v6
	v_fma_f32 v2, v72, s14, -v2
	v_fmac_f32_e32 v3, s15, v72
	v_addc_co_u32_e32 v7, vcc, v7, v9, vcc
	global_store_dwordx2 v[6:7], v[2:3], off
	v_mul_f32_e32 v2, s15, v71
	v_mul_f32_e32 v3, s14, v71
	v_fma_f32 v2, v70, s14, -v2
	v_fmac_f32_e32 v3, s15, v70
	global_store_dwordx2 v[6:7], v[2:3], off offset:128
	v_mul_f32_e32 v2, s15, v69
	v_mul_f32_e32 v3, s14, v69
	v_fma_f32 v2, v68, s14, -v2
	v_fmac_f32_e32 v3, s15, v68
	global_store_dwordx2 v[6:7], v[2:3], off offset:256
	;; [unrolled: 5-line block ×3, first 2 shown]
	v_mul_f32_e32 v2, s15, v65
	v_mul_f32_e32 v3, s14, v65
	v_add_co_u32_e32 v6, vcc, s4, v6
	v_fma_f32 v2, v64, s14, -v2
	v_fmac_f32_e32 v3, s15, v64
	v_addc_co_u32_e32 v7, vcc, v7, v9, vcc
	global_store_dwordx2 v[6:7], v[2:3], off
	v_mul_f32_e32 v2, s15, v63
	v_mul_f32_e32 v3, s14, v63
	v_fma_f32 v2, v62, s14, -v2
	v_fmac_f32_e32 v3, s15, v62
	global_store_dwordx2 v[6:7], v[2:3], off offset:128
	v_mul_f32_e32 v2, s15, v61
	v_mul_f32_e32 v3, s14, v61
	v_fma_f32 v2, v60, s14, -v2
	v_fmac_f32_e32 v3, s15, v60
	global_store_dwordx2 v[6:7], v[2:3], off offset:256
	v_mul_f32_e32 v2, s15, v59
	v_mul_f32_e32 v3, s14, v59
	v_fma_f32 v2, v58, s14, -v2
	v_fmac_f32_e32 v3, s15, v58
	global_store_dwordx2 v[6:7], v[2:3], off offset:384
	v_mul_f32_e32 v2, s15, v51
	v_mul_f32_e32 v3, s14, v51
	v_add_co_u32_e32 v8, vcc, s4, v6
	v_fma_f32 v2, v50, s14, -v2
	v_fmac_f32_e32 v3, s15, v50
	v_addc_co_u32_e32 v9, vcc, v7, v9, vcc
	global_store_dwordx2 v[8:9], v[2:3], off
	v_mul_f32_e32 v2, s15, v49
	v_mul_f32_e32 v3, s14, v49
	v_fma_f32 v2, v48, s14, -v2
	v_fmac_f32_e32 v3, s15, v48
	global_store_dwordx2 v[8:9], v[2:3], off offset:128
	v_mul_f32_e32 v2, s15, v46
	v_mul_f32_e32 v3, s14, v46
	v_fma_f32 v2, v47, s14, -v2
	v_fmac_f32_e32 v3, s15, v47
	global_store_dwordx2 v[8:9], v[2:3], off offset:256
	v_mul_f32_e32 v2, s3, v36
	v_fma_f32 v7, -v37, s2, v2
	v_pk_mul_f32 v[2:3], v[36:37], s[2:3]
	v_add_f32_e32 v6, v2, v3
	v_add_co_u32_e32 v2, vcc, 0x180, v8
	v_addc_co_u32_e32 v3, vcc, 0, v9, vcc
	global_store_dword v[8:9], v7, off offset:384
	s_cbranch_execz .LBB96_7
	s_branch .LBB96_8
.LBB96_6:
                                        ; implicit-def: $vgpr6
                                        ; implicit-def: $vgpr2_vgpr3
.LBB96_7:
	s_mul_i32 s4, s8, s21
	s_mul_hi_u32 s5, s8, s20
	s_add_i32 s5, s5, s4
	s_mul_i32 s4, s8, s20
	s_lshl_b64 s[4:5], s[4:5], 3
	s_add_u32 s6, s16, s4
	s_addc_u32 s7, s17, s5
	v_mul_lo_u32 v6, v5, s18
	v_mul_lo_u32 v7, v4, s19
	v_mad_u64_u32 v[2:3], s[4:5], v4, s18, 0
	v_add3_u32 v3, v3, v7, v6
	v_lshlrev_b64 v[2:3], 3, v[2:3]
	v_mov_b32_e32 v6, s7
	v_add_co_u32_e32 v2, vcc, s6, v2
	v_addc_co_u32_e32 v3, vcc, v6, v3, vcc
	v_lshlrev_b64 v[0:1], 3, v[0:1]
	v_add_co_u32_e32 v2, vcc, v2, v0
	v_addc_co_u32_e32 v3, vcc, v3, v1, vcc
	global_load_dwordx2 v[6:7], v[2:3], off
	v_mul_lo_u32 v8, v5, s0
	v_mul_lo_u32 v9, v4, s1
	v_mad_u64_u32 v[4:5], s[4:5], v4, s0, 0
	v_add3_u32 v5, v5, v9, v8
	v_lshlrev_b64 v[4:5], 3, v[4:5]
	v_mov_b32_e32 v10, s12
	v_add_co_u32_e32 v4, vcc, s9, v4
	v_addc_co_u32_e32 v5, vcc, v10, v5, vcc
	v_add_co_u32_e32 v0, vcc, v4, v0
	v_mul_f32_e32 v11, s15, v81
	v_mul_f32_e32 v12, s14, v81
	v_addc_co_u32_e32 v1, vcc, v5, v1, vcc
	v_fma_f32 v8, v80, s14, -v11
	v_fmac_f32_e32 v12, s15, v80
	s_lshl_b64 s[4:5], s[18:19], 7
	s_lshl_b64 s[0:1], s[0:1], 7
	s_waitcnt vmcnt(0)
	v_mul_f32_e32 v4, s11, v7
	v_mul_f32_e32 v5, s10, v7
	v_fma_f32 v4, v6, s10, -v4
	v_fmac_f32_e32 v5, s11, v6
	v_add_f32_e32 v4, v8, v4
	v_add_f32_e32 v5, v12, v5
	global_store_dwordx2 v[0:1], v[4:5], off
	global_load_dwordx2 v[4:5], v[2:3], off offset:128
	v_mul_f32_e32 v6, s15, v79
	v_mul_f32_e32 v7, s14, v79
	v_fma_f32 v6, v78, s14, -v6
	v_fmac_f32_e32 v7, s15, v78
	s_waitcnt vmcnt(0)
	v_mul_f32_e32 v8, s11, v5
	v_mul_f32_e32 v5, s10, v5
	v_fma_f32 v8, v4, s10, -v8
	v_fmac_f32_e32 v5, s11, v4
	v_add_f32_e32 v4, v6, v8
	v_add_f32_e32 v5, v7, v5
	global_store_dwordx2 v[0:1], v[4:5], off offset:128
	global_load_dwordx2 v[4:5], v[2:3], off offset:256
	v_mul_f32_e32 v6, s15, v77
	v_mul_f32_e32 v7, s14, v77
	v_fma_f32 v6, v76, s14, -v6
	v_fmac_f32_e32 v7, s15, v76
	s_waitcnt vmcnt(0)
	v_mul_f32_e32 v8, s11, v5
	v_mul_f32_e32 v5, s10, v5
	v_fma_f32 v8, v4, s10, -v8
	v_fmac_f32_e32 v5, s11, v4
	v_add_f32_e32 v4, v6, v8
	v_add_f32_e32 v5, v7, v5
	global_store_dwordx2 v[0:1], v[4:5], off offset:256
	global_load_dwordx2 v[4:5], v[2:3], off offset:384
	v_mul_f32_e32 v6, s15, v75
	v_mul_f32_e32 v7, s14, v75
	v_fma_f32 v6, v74, s14, -v6
	v_fmac_f32_e32 v7, s15, v74
	v_mov_b32_e32 v8, s5
	v_add_co_u32_e32 v2, vcc, s4, v2
	v_addc_co_u32_e32 v3, vcc, v3, v8, vcc
	s_waitcnt vmcnt(0)
	v_mul_f32_e32 v9, s11, v5
	v_mul_f32_e32 v5, s10, v5
	v_fma_f32 v9, v4, s10, -v9
	v_fmac_f32_e32 v5, s11, v4
	v_add_f32_e32 v4, v6, v9
	v_add_f32_e32 v5, v7, v5
	global_store_dwordx2 v[0:1], v[4:5], off offset:384
	global_load_dwordx2 v[4:5], v[2:3], off
	v_mul_f32_e32 v6, s15, v73
	v_mul_f32_e32 v7, s14, v73
	v_fma_f32 v6, v72, s14, -v6
	v_fmac_f32_e32 v7, s15, v72
	v_mov_b32_e32 v9, s1
	v_add_co_u32_e32 v0, vcc, s0, v0
	v_addc_co_u32_e32 v1, vcc, v1, v9, vcc
	s_waitcnt vmcnt(0)
	v_mul_f32_e32 v10, s11, v5
	v_mul_f32_e32 v5, s10, v5
	v_fma_f32 v10, v4, s10, -v10
	v_fmac_f32_e32 v5, s11, v4
	v_add_f32_e32 v4, v6, v10
	v_add_f32_e32 v5, v7, v5
	global_store_dwordx2 v[0:1], v[4:5], off
	global_load_dwordx2 v[4:5], v[2:3], off offset:128
	v_mul_f32_e32 v6, s15, v71
	v_mul_f32_e32 v7, s14, v71
	v_fma_f32 v6, v70, s14, -v6
	v_fmac_f32_e32 v7, s15, v70
	s_waitcnt vmcnt(0)
	v_mul_f32_e32 v10, s11, v5
	v_mul_f32_e32 v5, s10, v5
	v_fma_f32 v10, v4, s10, -v10
	v_fmac_f32_e32 v5, s11, v4
	v_add_f32_e32 v4, v6, v10
	v_add_f32_e32 v5, v7, v5
	global_store_dwordx2 v[0:1], v[4:5], off offset:128
	global_load_dwordx2 v[4:5], v[2:3], off offset:256
	v_mul_f32_e32 v6, s15, v69
	v_mul_f32_e32 v7, s14, v69
	v_fma_f32 v6, v68, s14, -v6
	v_fmac_f32_e32 v7, s15, v68
	s_waitcnt vmcnt(0)
	v_mul_f32_e32 v10, s11, v5
	v_mul_f32_e32 v5, s10, v5
	v_fma_f32 v10, v4, s10, -v10
	v_fmac_f32_e32 v5, s11, v4
	v_add_f32_e32 v4, v6, v10
	v_add_f32_e32 v5, v7, v5
	global_store_dwordx2 v[0:1], v[4:5], off offset:256
	global_load_dwordx2 v[4:5], v[2:3], off offset:384
	v_mul_f32_e32 v6, s15, v67
	v_mul_f32_e32 v7, s14, v67
	v_fma_f32 v6, v66, s14, -v6
	v_fmac_f32_e32 v7, s15, v66
	v_add_co_u32_e32 v2, vcc, s4, v2
	v_addc_co_u32_e32 v3, vcc, v3, v8, vcc
	s_waitcnt vmcnt(0)
	v_mul_f32_e32 v10, s11, v5
	v_mul_f32_e32 v5, s10, v5
	v_fma_f32 v10, v4, s10, -v10
	v_fmac_f32_e32 v5, s11, v4
	v_add_f32_e32 v4, v6, v10
	v_add_f32_e32 v5, v7, v5
	global_store_dwordx2 v[0:1], v[4:5], off offset:384
	global_load_dwordx2 v[4:5], v[2:3], off
	v_mul_f32_e32 v6, s15, v65
	v_mul_f32_e32 v7, s14, v65
	v_fma_f32 v6, v64, s14, -v6
	v_fmac_f32_e32 v7, s15, v64
	v_add_co_u32_e32 v0, vcc, s0, v0
	v_addc_co_u32_e32 v1, vcc, v1, v9, vcc
	s_waitcnt vmcnt(0)
	v_mul_f32_e32 v10, s11, v5
	v_mul_f32_e32 v5, s10, v5
	v_fma_f32 v10, v4, s10, -v10
	v_fmac_f32_e32 v5, s11, v4
	v_add_f32_e32 v4, v6, v10
	v_add_f32_e32 v5, v7, v5
	global_store_dwordx2 v[0:1], v[4:5], off
	global_load_dwordx2 v[4:5], v[2:3], off offset:128
	v_mul_f32_e32 v6, s15, v63
	v_mul_f32_e32 v7, s14, v63
	v_fma_f32 v6, v62, s14, -v6
	v_fmac_f32_e32 v7, s15, v62
	s_waitcnt vmcnt(0)
	v_mul_f32_e32 v10, s11, v5
	v_mul_f32_e32 v5, s10, v5
	v_fma_f32 v10, v4, s10, -v10
	v_fmac_f32_e32 v5, s11, v4
	v_add_f32_e32 v4, v6, v10
	v_add_f32_e32 v5, v7, v5
	global_store_dwordx2 v[0:1], v[4:5], off offset:128
	global_load_dwordx2 v[4:5], v[2:3], off offset:256
	v_mul_f32_e32 v6, s15, v61
	v_mul_f32_e32 v7, s14, v61
	v_fma_f32 v6, v60, s14, -v6
	v_fmac_f32_e32 v7, s15, v60
	s_waitcnt vmcnt(0)
	v_mul_f32_e32 v10, s11, v5
	v_mul_f32_e32 v5, s10, v5
	v_fma_f32 v10, v4, s10, -v10
	v_fmac_f32_e32 v5, s11, v4
	v_add_f32_e32 v4, v6, v10
	v_add_f32_e32 v5, v7, v5
	global_store_dwordx2 v[0:1], v[4:5], off offset:256
	global_load_dwordx2 v[4:5], v[2:3], off offset:384
	v_add_co_u32_e32 v2, vcc, s4, v2
	v_mul_f32_e32 v6, s15, v59
	v_mul_f32_e32 v7, s14, v59
	v_addc_co_u32_e32 v3, vcc, v3, v8, vcc
	v_fma_f32 v6, v58, s14, -v6
	v_fmac_f32_e32 v7, s15, v58
	s_waitcnt vmcnt(0)
	v_mul_f32_e32 v8, s11, v5
	v_mul_f32_e32 v5, s10, v5
	v_fma_f32 v8, v4, s10, -v8
	v_fmac_f32_e32 v5, s11, v4
	v_add_f32_e32 v4, v6, v8
	v_add_f32_e32 v5, v7, v5
	global_store_dwordx2 v[0:1], v[4:5], off offset:384
	global_load_dwordx2 v[4:5], v[2:3], off
	v_mul_f32_e32 v6, s15, v51
	v_mul_f32_e32 v7, s14, v51
	v_fma_f32 v6, v50, s14, -v6
	v_fmac_f32_e32 v7, s15, v50
	v_add_co_u32_e32 v0, vcc, s0, v0
	v_addc_co_u32_e32 v1, vcc, v1, v9, vcc
	s_waitcnt vmcnt(0)
	v_mul_f32_e32 v8, s11, v5
	v_mul_f32_e32 v5, s10, v5
	v_fma_f32 v8, v4, s10, -v8
	v_fmac_f32_e32 v5, s11, v4
	v_add_f32_e32 v4, v6, v8
	v_add_f32_e32 v5, v7, v5
	global_store_dwordx2 v[0:1], v[4:5], off
	global_load_dwordx2 v[4:5], v[2:3], off offset:128
	v_mul_f32_e32 v6, s15, v49
	v_mul_f32_e32 v7, s14, v49
	v_fma_f32 v6, v48, s14, -v6
	v_fmac_f32_e32 v7, s15, v48
	s_waitcnt vmcnt(0)
	v_mul_f32_e32 v8, s11, v5
	v_mul_f32_e32 v5, s10, v5
	v_fma_f32 v8, v4, s10, -v8
	v_fmac_f32_e32 v5, s11, v4
	v_add_f32_e32 v4, v6, v8
	v_add_f32_e32 v5, v7, v5
	global_store_dwordx2 v[0:1], v[4:5], off offset:128
	global_load_dwordx2 v[4:5], v[2:3], off offset:256
	v_mul_f32_e32 v6, s15, v46
	v_mul_f32_e32 v7, s14, v46
	v_fma_f32 v6, v47, s14, -v6
	v_fmac_f32_e32 v7, s15, v47
	s_waitcnt vmcnt(0)
	v_mul_f32_e32 v8, s11, v5
	v_mul_f32_e32 v5, s10, v5
	v_fma_f32 v8, v4, s10, -v8
	v_fmac_f32_e32 v5, s11, v4
	v_add_f32_e32 v4, v6, v8
	v_add_f32_e32 v5, v7, v5
	global_store_dwordx2 v[0:1], v[4:5], off offset:256
	global_load_dwordx2 v[4:5], v[2:3], off offset:384
	v_mul_f32_e32 v6, s3, v36
	v_pk_mul_f32 v[2:3], v[36:37], s[2:3]
	v_fma_f32 v8, -v37, s2, v6
	v_add_f32_e32 v3, v2, v3
	v_add_co_u32_e32 v2, vcc, 0x180, v0
	s_waitcnt vmcnt(0)
	v_pk_mul_f32 v[6:7], v[4:5], s[10:11] op_sel:[0,1] op_sel_hi:[1,0]
	v_mul_f32_e32 v4, s10, v4
	v_fma_f32 v4, -v5, s11, v4
	v_add_f32_e32 v5, v6, v7
	v_add_f32_e32 v4, v8, v4
	;; [unrolled: 1-line block ×3, first 2 shown]
	v_addc_co_u32_e32 v3, vcc, 0, v1, vcc
	global_store_dword v[0:1], v4, off offset:384
.LBB96_8:
	global_store_dword v[2:3], v6, off offset:4
	s_endpgm
	.section	.rodata,"a",@progbits
	.p2align	6, 0x0
	.amdhsa_kernel _ZN12_GLOBAL__N_127rocblas_gemm_batched_kernelI19rocblas_complex_numIfELi16ELi16ELi64ELi64ELi4ELi64ELi4ELi4ELi64ELc78ELc67EKS2_S3_S2_EEvlllT_PT11_llS6_llS4_PT12_llPT13_lli
		.amdhsa_group_segment_fixed_size 4096
		.amdhsa_private_segment_fixed_size 0
		.amdhsa_kernarg_size 140
		.amdhsa_user_sgpr_count 6
		.amdhsa_user_sgpr_private_segment_buffer 1
		.amdhsa_user_sgpr_dispatch_ptr 0
		.amdhsa_user_sgpr_queue_ptr 0
		.amdhsa_user_sgpr_kernarg_segment_ptr 1
		.amdhsa_user_sgpr_dispatch_id 0
		.amdhsa_user_sgpr_flat_scratch_init 0
		.amdhsa_user_sgpr_kernarg_preload_length 0
		.amdhsa_user_sgpr_kernarg_preload_offset 0
		.amdhsa_user_sgpr_private_segment_size 0
		.amdhsa_uses_dynamic_stack 0
		.amdhsa_system_sgpr_private_segment_wavefront_offset 0
		.amdhsa_system_sgpr_workgroup_id_x 1
		.amdhsa_system_sgpr_workgroup_id_y 1
		.amdhsa_system_sgpr_workgroup_id_z 1
		.amdhsa_system_sgpr_workgroup_info 0
		.amdhsa_system_vgpr_workitem_id 1
		.amdhsa_next_free_vgpr 90
		.amdhsa_next_free_sgpr 30
		.amdhsa_accum_offset 92
		.amdhsa_reserve_vcc 1
		.amdhsa_reserve_flat_scratch 0
		.amdhsa_float_round_mode_32 0
		.amdhsa_float_round_mode_16_64 0
		.amdhsa_float_denorm_mode_32 3
		.amdhsa_float_denorm_mode_16_64 3
		.amdhsa_dx10_clamp 1
		.amdhsa_ieee_mode 1
		.amdhsa_fp16_overflow 0
		.amdhsa_tg_split 0
		.amdhsa_exception_fp_ieee_invalid_op 0
		.amdhsa_exception_fp_denorm_src 0
		.amdhsa_exception_fp_ieee_div_zero 0
		.amdhsa_exception_fp_ieee_overflow 0
		.amdhsa_exception_fp_ieee_underflow 0
		.amdhsa_exception_fp_ieee_inexact 0
		.amdhsa_exception_int_div_zero 0
	.end_amdhsa_kernel
	.section	.text._ZN12_GLOBAL__N_127rocblas_gemm_batched_kernelI19rocblas_complex_numIfELi16ELi16ELi64ELi64ELi4ELi64ELi4ELi4ELi64ELc78ELc67EKS2_S3_S2_EEvlllT_PT11_llS6_llS4_PT12_llPT13_lli,"axG",@progbits,_ZN12_GLOBAL__N_127rocblas_gemm_batched_kernelI19rocblas_complex_numIfELi16ELi16ELi64ELi64ELi4ELi64ELi4ELi4ELi64ELc78ELc67EKS2_S3_S2_EEvlllT_PT11_llS6_llS4_PT12_llPT13_lli,comdat
.Lfunc_end96:
	.size	_ZN12_GLOBAL__N_127rocblas_gemm_batched_kernelI19rocblas_complex_numIfELi16ELi16ELi64ELi64ELi4ELi64ELi4ELi4ELi64ELc78ELc67EKS2_S3_S2_EEvlllT_PT11_llS6_llS4_PT12_llPT13_lli, .Lfunc_end96-_ZN12_GLOBAL__N_127rocblas_gemm_batched_kernelI19rocblas_complex_numIfELi16ELi16ELi64ELi64ELi4ELi64ELi4ELi4ELi64ELc78ELc67EKS2_S3_S2_EEvlllT_PT11_llS6_llS4_PT12_llPT13_lli
                                        ; -- End function
	.section	.AMDGPU.csdata,"",@progbits
; Kernel info:
; codeLenInByte = 4724
; NumSgprs: 34
; NumVgprs: 90
; NumAgprs: 0
; TotalNumVgprs: 90
; ScratchSize: 0
; MemoryBound: 0
; FloatMode: 240
; IeeeMode: 1
; LDSByteSize: 4096 bytes/workgroup (compile time only)
; SGPRBlocks: 4
; VGPRBlocks: 11
; NumSGPRsForWavesPerEU: 34
; NumVGPRsForWavesPerEU: 90
; AccumOffset: 92
; Occupancy: 5
; WaveLimiterHint : 1
; COMPUTE_PGM_RSRC2:SCRATCH_EN: 0
; COMPUTE_PGM_RSRC2:USER_SGPR: 6
; COMPUTE_PGM_RSRC2:TRAP_HANDLER: 0
; COMPUTE_PGM_RSRC2:TGID_X_EN: 1
; COMPUTE_PGM_RSRC2:TGID_Y_EN: 1
; COMPUTE_PGM_RSRC2:TGID_Z_EN: 1
; COMPUTE_PGM_RSRC2:TIDIG_COMP_CNT: 1
; COMPUTE_PGM_RSRC3_GFX90A:ACCUM_OFFSET: 22
; COMPUTE_PGM_RSRC3_GFX90A:TG_SPLIT: 0
	.section	.text._ZN12_GLOBAL__N_127rocblas_gemm_batched_kernelI19rocblas_complex_numIfELi16ELi16ELi64ELi64ELi4ELi64ELi4ELi4ELi64ELc84ELc67EKS2_S3_S2_EEvlllT_PT11_llS6_llS4_PT12_llPT13_lli,"axG",@progbits,_ZN12_GLOBAL__N_127rocblas_gemm_batched_kernelI19rocblas_complex_numIfELi16ELi16ELi64ELi64ELi4ELi64ELi4ELi4ELi64ELc84ELc67EKS2_S3_S2_EEvlllT_PT11_llS6_llS4_PT12_llPT13_lli,comdat
	.globl	_ZN12_GLOBAL__N_127rocblas_gemm_batched_kernelI19rocblas_complex_numIfELi16ELi16ELi64ELi64ELi4ELi64ELi4ELi4ELi64ELc84ELc67EKS2_S3_S2_EEvlllT_PT11_llS6_llS4_PT12_llPT13_lli ; -- Begin function _ZN12_GLOBAL__N_127rocblas_gemm_batched_kernelI19rocblas_complex_numIfELi16ELi16ELi64ELi64ELi4ELi64ELi4ELi4ELi64ELc84ELc67EKS2_S3_S2_EEvlllT_PT11_llS6_llS4_PT12_llPT13_lli
	.p2align	8
	.type	_ZN12_GLOBAL__N_127rocblas_gemm_batched_kernelI19rocblas_complex_numIfELi16ELi16ELi64ELi64ELi4ELi64ELi4ELi4ELi64ELc84ELc67EKS2_S3_S2_EEvlllT_PT11_llS6_llS4_PT12_llPT13_lli,@function
_ZN12_GLOBAL__N_127rocblas_gemm_batched_kernelI19rocblas_complex_numIfELi16ELi16ELi64ELi64ELi4ELi64ELi4ELi4ELi64ELc84ELc67EKS2_S3_S2_EEvlllT_PT11_llS6_llS4_PT12_llPT13_lli: ; @_ZN12_GLOBAL__N_127rocblas_gemm_batched_kernelI19rocblas_complex_numIfELi16ELi16ELi64ELi64ELi4ELi64ELi4ELi4ELi64ELc84ELc67EKS2_S3_S2_EEvlllT_PT11_llS6_llS4_PT12_llPT13_lli
; %bb.0:
	s_load_dwordx16 s[12:27], s[4:5], 0x10
	s_load_dwordx2 s[10:11], s[4:5], 0x50
	s_mov_b32 s0, s7
	s_ashr_i32 s1, s0, 31
	s_ashr_i32 s7, s6, 31
	s_lshl_b64 s[28:29], s[0:1], 6
	s_waitcnt lgkmcnt(0)
	v_cmp_lt_i64_e64 s[0:1], s[12:13], 1
	v_bfe_u32 v45, v0, 10, 10
	v_and_b32_e32 v44, 0x3ff, v0
	s_lshl_b64 s[6:7], s[6:7], 6
	s_and_b64 vcc, exec, s[0:1]
	s_cbranch_vccnz .LBB97_3
; %bb.1:
	v_lshl_add_u32 v4, v45, 4, v44
	v_lshrrev_b32_e32 v5, 2, v4
	v_mov_b32_e32 v1, s29
	v_add_co_u32_e32 v0, vcc, s28, v5
	v_addc_co_u32_e32 v1, vcc, 0, v1, vcc
	v_and_b32_e32 v6, 3, v44
	v_mad_u64_u32 v[0:1], s[0:1], v6, s24, v[0:1]
	v_mov_b32_e32 v2, v1
	v_mad_u64_u32 v[2:3], s[0:1], v6, s25, v[2:3]
	v_mov_b32_e32 v1, v2
	v_and_b32_e32 v2, 63, v4
	v_lshrrev_b32_e32 v4, 6, v4
	v_lshlrev_b32_e32 v3, 3, v2
	v_lshl_or_b32 v52, v4, 9, v3
	v_lshlrev_b32_e32 v3, 3, v6
	v_lshl_or_b32 v3, v5, 5, v3
	v_add_u32_e32 v53, 0x800, v3
	v_mov_b32_e32 v3, 0x800
	v_lshl_add_u32 v55, v45, 5, v3
	v_mov_b32_e32 v3, s7
	v_add_co_u32_e32 v2, vcc, s6, v2
	v_addc_co_u32_e32 v3, vcc, 0, v3, vcc
	v_mul_lo_u32 v5, s19, v2
	v_mul_lo_u32 v6, s18, v3
	v_mad_u64_u32 v[2:3], s[0:1], s18, v2, 0
	s_mul_i32 s0, s21, s8
	s_mul_hi_u32 s1, s20, s8
	v_add3_u32 v3, v3, v6, v5
	s_add_i32 s1, s1, s0
	s_mul_i32 s0, s20, s8
	v_lshlrev_b64 v[2:3], 3, v[2:3]
	s_lshl_b64 s[0:1], s[0:1], 3
	v_mov_b32_e32 v5, s1
	v_add_co_u32_e32 v2, vcc, s0, v2
	v_addc_co_u32_e32 v3, vcc, v3, v5, vcc
	v_lshlrev_b32_e32 v4, 3, v4
	s_mul_i32 s0, s27, s8
	s_mul_hi_u32 s1, s26, s8
	v_add_co_u32_e32 v2, vcc, v2, v4
	s_add_i32 s1, s1, s0
	s_mul_i32 s0, s26, s8
	v_addc_co_u32_e32 v3, vcc, 0, v3, vcc
	s_lshl_b64 s[0:1], s[0:1], 3
	v_mov_b32_e32 v4, s17
	v_add_co_u32_e32 v38, vcc, s16, v2
	s_add_u32 s0, s22, s0
	v_addc_co_u32_e32 v39, vcc, v4, v3, vcc
	v_lshlrev_b64 v[0:1], 3, v[0:1]
	s_addc_u32 s1, s23, s1
	v_mov_b32_e32 v2, s1
	v_add_co_u32_e32 v0, vcc, s0, v0
	v_addc_co_u32_e32 v1, vcc, v2, v1, vcc
	v_add_co_u32_e32 v40, vcc, 4, v0
	s_lshl_b64 s[0:1], s[24:25], 5
	v_mov_b32_e32 v46, 0
	v_lshlrev_b32_e32 v54, 3, v44
	v_addc_co_u32_e32 v41, vcc, 0, v1, vcc
	s_mov_b64 s[2:3], 0
	v_mov_b32_e32 v56, s1
	v_pk_mov_b32 v[42:43], s[12:13], s[12:13] op_sel:[0,1]
	v_mov_b32_e32 v47, 0
	v_mov_b32_e32 v49, 0
	;; [unrolled: 1-line block ×31, first 2 shown]
.LBB97_2:                               ; =>This Inner Loop Header: Depth=1
	global_load_dwordx2 v[0:1], v[38:39], off
	v_add_co_u32_e32 v38, vcc, 32, v38
	v_addc_co_u32_e32 v39, vcc, 0, v39, vcc
	s_add_u32 s2, s2, 4
	s_addc_u32 s3, s3, 0
	s_waitcnt vmcnt(0)
	ds_write_b64 v52, v[0:1]
	global_load_dwordx2 v[0:1], v[40:41], off offset:-4
	v_add_co_u32_e32 v40, vcc, s0, v40
	v_addc_co_u32_e32 v41, vcc, v41, v56, vcc
	v_cmp_lt_i64_e32 vcc, s[2:3], v[42:43]
	s_and_b64 vcc, exec, vcc
	s_waitcnt vmcnt(0)
	v_xor_b32_e32 v1, 0x80000000, v1
	ds_write_b64 v53, v[0:1]
	s_waitcnt lgkmcnt(0)
	s_barrier
	ds_read_b128 v[0:3], v55
	ds_read_b128 v[32:35], v55 offset:16
	ds_read2_b64 v[8:11], v54 offset1:16
	ds_read2_b64 v[12:15], v54 offset0:32 offset1:48
	s_waitcnt lgkmcnt(1)
	v_mul_f32_e32 v4, v1, v9
	v_fma_f32 v4, v0, v8, -v4
	v_mul_f32_e32 v5, v0, v9
	v_add_f32_e32 v20, v79, v4
	v_mul_f32_e32 v4, v1, v11
	v_fmac_f32_e32 v5, v1, v8
	v_fma_f32 v4, v0, v10, -v4
	v_add_f32_e32 v21, v80, v5
	v_mul_f32_e32 v5, v0, v11
	v_add_f32_e32 v22, v77, v4
	s_waitcnt lgkmcnt(0)
	v_mul_f32_e32 v4, v1, v13
	v_fmac_f32_e32 v5, v1, v10
	v_fma_f32 v4, v0, v12, -v4
	v_add_f32_e32 v23, v78, v5
	v_mul_f32_e32 v5, v0, v13
	v_add_f32_e32 v75, v75, v4
	v_mul_f32_e32 v4, v1, v15
	v_fmac_f32_e32 v5, v1, v12
	v_fma_f32 v4, v0, v14, -v4
	v_mul_f32_e32 v0, v0, v15
	v_add_f32_e32 v76, v76, v5
	v_fmac_f32_e32 v0, v1, v14
	v_add_f32_e32 v1, v73, v4
	ds_read_b128 v[4:7], v55 offset:512
	ds_read_b128 v[80:83], v55 offset:1040
	v_add_f32_e32 v0, v74, v0
	s_waitcnt lgkmcnt(1)
	v_mul_f32_e32 v16, v5, v9
	v_fma_f32 v16, v4, v8, -v16
	v_mul_f32_e32 v17, v4, v9
	v_add_f32_e32 v71, v71, v16
	v_mul_f32_e32 v16, v5, v11
	v_fmac_f32_e32 v17, v5, v8
	v_fma_f32 v16, v4, v10, -v16
	v_add_f32_e32 v72, v72, v17
	v_mul_f32_e32 v17, v4, v11
	v_add_f32_e32 v69, v69, v16
	v_mul_f32_e32 v16, v5, v13
	v_fmac_f32_e32 v17, v5, v10
	v_fma_f32 v16, v4, v12, -v16
	v_add_f32_e32 v70, v70, v17
	v_mul_f32_e32 v17, v4, v13
	v_add_f32_e32 v67, v67, v16
	v_mul_f32_e32 v16, v5, v15
	v_fmac_f32_e32 v17, v5, v12
	v_fma_f32 v16, v4, v14, -v16
	v_mul_f32_e32 v4, v4, v15
	v_add_f32_e32 v68, v68, v17
	v_fmac_f32_e32 v4, v5, v14
	v_add_f32_e32 v5, v65, v16
	ds_read_b128 v[16:19], v55 offset:1024
	v_add_f32_e32 v4, v66, v4
	s_waitcnt lgkmcnt(0)
	v_mul_f32_e32 v24, v17, v9
	v_fma_f32 v24, v16, v8, -v24
	v_mul_f32_e32 v25, v16, v9
	v_add_f32_e32 v63, v63, v24
	v_mul_f32_e32 v24, v17, v11
	v_fmac_f32_e32 v25, v17, v8
	v_fma_f32 v24, v16, v10, -v24
	v_add_f32_e32 v64, v64, v25
	v_mul_f32_e32 v25, v16, v11
	v_add_f32_e32 v61, v61, v24
	v_mul_f32_e32 v24, v17, v13
	v_fmac_f32_e32 v25, v17, v10
	v_fma_f32 v24, v16, v12, -v24
	v_add_f32_e32 v62, v62, v25
	v_mul_f32_e32 v25, v16, v13
	v_add_f32_e32 v59, v59, v24
	v_mul_f32_e32 v24, v17, v15
	v_fmac_f32_e32 v25, v17, v12
	v_fma_f32 v24, v16, v14, -v24
	v_mul_f32_e32 v16, v16, v15
	v_add_f32_e32 v60, v60, v25
	v_fmac_f32_e32 v16, v17, v14
	v_add_f32_e32 v17, v57, v24
	ds_read2_b64 v[24:27], v54 offset0:64 offset1:80
	v_add_f32_e32 v16, v58, v16
	s_waitcnt lgkmcnt(0)
	v_mul_f32_e32 v28, v3, v25
	v_mul_f32_e32 v29, v2, v25
	v_fma_f32 v28, v2, v24, -v28
	v_fmac_f32_e32 v29, v3, v24
	v_add_f32_e32 v20, v20, v28
	v_add_f32_e32 v21, v21, v29
	v_mul_f32_e32 v28, v3, v27
	v_mul_f32_e32 v29, v2, v27
	v_fma_f32 v28, v2, v26, -v28
	v_fmac_f32_e32 v29, v3, v26
	v_add_f32_e32 v22, v22, v28
	v_add_f32_e32 v23, v23, v29
	ds_read2_b64 v[28:31], v54 offset0:96 offset1:112
	s_waitcnt lgkmcnt(0)
	v_mul_f32_e32 v57, v3, v29
	v_mul_f32_e32 v65, v3, v31
	v_fma_f32 v57, v2, v28, -v57
	v_mul_f32_e32 v58, v2, v29
	v_fma_f32 v65, v2, v30, -v65
	v_mul_f32_e32 v2, v2, v31
	v_fmac_f32_e32 v2, v3, v30
	v_add_f32_e32 v65, v1, v65
	v_add_f32_e32 v66, v0, v2
	v_mul_f32_e32 v0, v7, v25
	v_mul_f32_e32 v1, v6, v25
	v_fma_f32 v0, v6, v24, -v0
	v_fmac_f32_e32 v1, v7, v24
	v_add_f32_e32 v71, v71, v0
	v_add_f32_e32 v72, v72, v1
	v_mul_f32_e32 v0, v7, v27
	v_mul_f32_e32 v1, v6, v27
	v_fma_f32 v0, v6, v26, -v0
	;; [unrolled: 6-line block ×6, first 2 shown]
	v_fmac_f32_e32 v1, v19, v26
	ds_read2_b64 v[4:7], v54 offset0:128 offset1:144
	v_add_f32_e32 v57, v75, v57
	v_add_f32_e32 v75, v61, v0
	;; [unrolled: 1-line block ×3, first 2 shown]
	v_mul_f32_e32 v0, v19, v29
	v_mul_f32_e32 v1, v18, v29
	v_fmac_f32_e32 v58, v3, v28
	v_fma_f32 v0, v18, v28, -v0
	v_fmac_f32_e32 v1, v19, v28
	v_add_f32_e32 v58, v76, v58
	v_add_f32_e32 v76, v59, v0
	;; [unrolled: 1-line block ×3, first 2 shown]
	v_mul_f32_e32 v0, v19, v31
	v_mul_f32_e32 v1, v18, v31
	v_fma_f32 v0, v18, v30, -v0
	v_fmac_f32_e32 v1, v19, v30
	v_add_f32_e32 v17, v17, v0
	v_add_f32_e32 v16, v16, v1
	s_waitcnt lgkmcnt(0)
	v_mul_f32_e32 v0, v33, v5
	v_mul_f32_e32 v1, v32, v5
	v_fma_f32 v0, v32, v4, -v0
	v_fmac_f32_e32 v1, v33, v4
	v_add_f32_e32 v18, v20, v0
	v_add_f32_e32 v19, v21, v1
	v_mul_f32_e32 v0, v33, v7
	v_mul_f32_e32 v1, v32, v7
	v_fma_f32 v0, v32, v6, -v0
	v_fmac_f32_e32 v1, v33, v6
	v_add_f32_e32 v78, v22, v0
	v_add_f32_e32 v84, v23, v1
	ds_read2_b64 v[0:3], v54 offset0:160 offset1:176
	s_waitcnt lgkmcnt(0)
	v_mul_f32_e32 v21, v32, v1
	v_fmac_f32_e32 v21, v33, v0
	v_add_f32_e32 v85, v58, v21
	ds_read_b128 v[58:61], v55 offset:528
	v_mul_f32_e32 v20, v33, v1
	v_fma_f32 v20, v32, v0, -v20
	v_add_f32_e32 v57, v57, v20
	v_mul_f32_e32 v20, v33, v3
	v_mul_f32_e32 v21, v32, v3
	v_fma_f32 v20, v32, v2, -v20
	v_fmac_f32_e32 v21, v33, v2
	v_add_f32_e32 v32, v65, v20
	v_add_f32_e32 v33, v66, v21
	s_waitcnt lgkmcnt(0)
	v_mul_f32_e32 v20, v59, v5
	v_mul_f32_e32 v21, v58, v5
	v_fma_f32 v20, v58, v4, -v20
	v_fmac_f32_e32 v21, v59, v4
	v_add_f32_e32 v65, v71, v20
	v_add_f32_e32 v66, v72, v21
	v_mul_f32_e32 v20, v59, v7
	v_mul_f32_e32 v21, v58, v7
	v_fma_f32 v20, v58, v6, -v20
	v_fmac_f32_e32 v21, v59, v6
	v_add_f32_e32 v69, v69, v20
	v_add_f32_e32 v70, v70, v21
	;; [unrolled: 6-line block ×8, first 2 shown]
	ds_read2_b64 v[20:23], v54 offset0:192 offset1:208
	s_waitcnt lgkmcnt(0)
	v_mul_f32_e32 v16, v35, v21
	v_mul_f32_e32 v17, v34, v21
	v_fma_f32 v16, v34, v20, -v16
	v_fmac_f32_e32 v17, v35, v20
	v_add_f32_e32 v79, v18, v16
	v_add_f32_e32 v80, v19, v17
	v_mul_f32_e32 v16, v35, v23
	v_mul_f32_e32 v17, v34, v23
	v_fma_f32 v16, v34, v22, -v16
	v_fmac_f32_e32 v17, v35, v22
	v_add_f32_e32 v77, v78, v16
	v_add_f32_e32 v78, v84, v17
	ds_read2_b64 v[16:19], v54 offset0:224 offset1:240
	s_waitcnt lgkmcnt(0)
	v_mul_f32_e32 v71, v35, v17
	v_fma_f32 v71, v34, v16, -v71
	v_add_f32_e32 v75, v57, v71
	v_mul_f32_e32 v57, v35, v19
	v_mul_f32_e32 v72, v34, v17
	v_fma_f32 v57, v34, v18, -v57
	v_mul_f32_e32 v34, v34, v19
	v_fmac_f32_e32 v34, v35, v18
	v_add_f32_e32 v73, v32, v57
	v_add_f32_e32 v74, v33, v34
	v_mul_f32_e32 v32, v61, v21
	v_mul_f32_e32 v33, v60, v21
	v_fmac_f32_e32 v72, v35, v16
	v_fma_f32 v32, v60, v20, -v32
	v_fmac_f32_e32 v33, v61, v20
	v_add_f32_e32 v76, v85, v72
	v_add_f32_e32 v71, v65, v32
	;; [unrolled: 1-line block ×3, first 2 shown]
	v_mul_f32_e32 v32, v61, v23
	v_mul_f32_e32 v33, v60, v23
	v_fma_f32 v32, v60, v22, -v32
	v_fmac_f32_e32 v33, v61, v22
	v_add_f32_e32 v69, v69, v32
	v_add_f32_e32 v70, v70, v33
	v_mul_f32_e32 v32, v61, v17
	v_mul_f32_e32 v33, v60, v17
	v_fma_f32 v32, v60, v16, -v32
	v_fmac_f32_e32 v33, v61, v16
	v_add_f32_e32 v67, v67, v32
	v_add_f32_e32 v68, v68, v33
	;; [unrolled: 6-line block ×7, first 2 shown]
	ds_read_b128 v[32:35], v55 offset:1536
	s_waitcnt lgkmcnt(0)
	v_mul_f32_e32 v81, v33, v9
	v_mul_f32_e32 v9, v32, v9
	v_fmac_f32_e32 v9, v33, v8
	v_fma_f32 v81, v32, v8, -v81
	v_add_f32_e32 v51, v51, v9
	v_mul_f32_e32 v8, v33, v11
	v_mul_f32_e32 v9, v32, v11
	v_fma_f32 v8, v32, v10, -v8
	v_fmac_f32_e32 v9, v33, v10
	v_add_f32_e32 v48, v48, v8
	v_add_f32_e32 v49, v49, v9
	v_mul_f32_e32 v8, v33, v13
	v_mul_f32_e32 v9, v32, v13
	v_fma_f32 v8, v32, v12, -v8
	v_fmac_f32_e32 v9, v33, v12
	v_add_f32_e32 v12, v47, v8
	v_add_f32_e32 v13, v46, v9
	v_pk_mul_f32 v[8:9], v[32:33], v[14:15] op_sel:[0,1]
	v_pk_fma_f32 v[10:11], v[32:33], v[14:15], v[8:9] op_sel:[0,0,1] op_sel_hi:[1,1,0] neg_lo:[0,0,1] neg_hi:[0,0,1]
	v_pk_fma_f32 v[8:9], v[32:33], v[14:15], v[8:9] op_sel:[0,0,1] op_sel_hi:[1,0,0]
	v_mov_b32_e32 v11, v9
	v_pk_add_f32 v[8:9], v[36:37], v[10:11]
	v_mul_f32_e32 v10, v35, v25
	v_mul_f32_e32 v11, v34, v25
	v_add_f32_e32 v50, v50, v81
	v_fma_f32 v10, v34, v24, -v10
	v_fmac_f32_e32 v11, v35, v24
	v_add_f32_e32 v32, v50, v10
	v_add_f32_e32 v33, v51, v11
	v_mul_f32_e32 v10, v35, v27
	v_mul_f32_e32 v11, v34, v27
	v_fma_f32 v10, v34, v26, -v10
	v_fmac_f32_e32 v11, v35, v26
	v_add_f32_e32 v24, v48, v10
	v_add_f32_e32 v25, v49, v11
	v_mul_f32_e32 v10, v35, v29
	v_mul_f32_e32 v11, v34, v29
	v_fma_f32 v10, v34, v28, -v10
	v_fmac_f32_e32 v11, v35, v28
	v_add_f32_e32 v14, v12, v10
	v_add_f32_e32 v15, v13, v11
	v_pk_mul_f32 v[10:11], v[34:35], v[30:31] op_sel:[0,1]
	v_pk_fma_f32 v[12:13], v[34:35], v[30:31], v[10:11] op_sel:[0,0,1] op_sel_hi:[1,1,0] neg_lo:[0,0,1] neg_hi:[0,0,1]
	v_pk_fma_f32 v[10:11], v[34:35], v[30:31], v[10:11] op_sel:[0,0,1] op_sel_hi:[1,0,0]
	v_mov_b32_e32 v13, v11
	v_pk_add_f32 v[12:13], v[8:9], v[12:13]
	ds_read_b128 v[8:11], v55 offset:1552
	s_waitcnt lgkmcnt(0)
	s_barrier
	v_mul_f32_e32 v26, v9, v5
	v_mul_f32_e32 v5, v8, v5
	v_fma_f32 v26, v8, v4, -v26
	v_fmac_f32_e32 v5, v9, v4
	v_mul_f32_e32 v4, v9, v7
	v_add_f32_e32 v27, v33, v5
	v_fma_f32 v4, v8, v6, -v4
	v_mul_f32_e32 v5, v8, v7
	v_fmac_f32_e32 v5, v9, v6
	v_add_f32_e32 v6, v24, v4
	v_mul_f32_e32 v4, v9, v1
	v_mul_f32_e32 v1, v8, v1
	v_fmac_f32_e32 v1, v9, v0
	v_fma_f32 v4, v8, v0, -v4
	v_add_f32_e32 v15, v15, v1
	v_pk_mul_f32 v[0:1], v[8:9], v[2:3] op_sel:[0,1]
	v_add_f32_e32 v7, v25, v5
	v_add_f32_e32 v14, v14, v4
	v_pk_fma_f32 v[4:5], v[8:9], v[2:3], v[0:1] op_sel:[0,0,1] op_sel_hi:[1,1,0] neg_lo:[0,0,1] neg_hi:[0,0,1]
	v_pk_fma_f32 v[0:1], v[8:9], v[2:3], v[0:1] op_sel:[0,0,1] op_sel_hi:[1,0,0]
	v_mul_f32_e32 v2, v11, v21
	v_mul_f32_e32 v3, v10, v21
	v_add_f32_e32 v26, v32, v26
	v_fma_f32 v2, v10, v20, -v2
	v_fmac_f32_e32 v3, v11, v20
	v_add_f32_e32 v50, v26, v2
	v_add_f32_e32 v51, v27, v3
	v_mul_f32_e32 v2, v11, v23
	v_mul_f32_e32 v3, v10, v23
	v_fma_f32 v2, v10, v22, -v2
	v_fmac_f32_e32 v3, v11, v22
	v_add_f32_e32 v48, v6, v2
	v_add_f32_e32 v49, v7, v3
	v_mul_f32_e32 v2, v11, v17
	v_mul_f32_e32 v3, v10, v17
	v_fma_f32 v2, v10, v16, -v2
	v_fmac_f32_e32 v3, v11, v16
	v_mov_b32_e32 v5, v1
	v_add_f32_e32 v47, v14, v2
	v_add_f32_e32 v46, v15, v3
	v_pk_mul_f32 v[2:3], v[10:11], v[18:19] op_sel:[0,1]
	v_pk_add_f32 v[0:1], v[12:13], v[4:5]
	v_pk_fma_f32 v[4:5], v[10:11], v[18:19], v[2:3] op_sel:[0,0,1] op_sel_hi:[1,1,0] neg_lo:[0,0,1] neg_hi:[0,0,1]
	v_pk_fma_f32 v[2:3], v[10:11], v[18:19], v[2:3] op_sel:[0,0,1] op_sel_hi:[1,0,0]
	v_mov_b32_e32 v5, v3
	v_pk_add_f32 v[36:37], v[0:1], v[4:5]
	s_cbranch_vccnz .LBB97_2
	s_branch .LBB97_4
.LBB97_3:
	v_mov_b32_e32 v37, 0
	v_mov_b32_e32 v36, v37
	;; [unrolled: 1-line block ×32, first 2 shown]
.LBB97_4:
	s_load_dwordx4 s[0:3], s[4:5], 0x78
	s_load_dwordx8 s[16:23], s[4:5], 0x58
	v_mov_b32_e32 v0, s29
	v_add_co_u32_e32 v4, vcc, s28, v45
	s_waitcnt lgkmcnt(0)
	s_mul_i32 s3, s8, s3
	s_mul_hi_u32 s4, s8, s2
	s_mul_i32 s2, s8, s2
	s_add_i32 s3, s4, s3
	s_lshl_b64 s[2:3], s[2:3], 3
	s_add_u32 s9, s22, s2
	s_addc_u32 s12, s23, s3
	v_addc_co_u32_e32 v5, vcc, 0, v0, vcc
	s_or_b32 s2, s10, s11
	s_bitset0_b32 s2, 31
	v_mov_b32_e32 v1, s7
	v_add_co_u32_e32 v0, vcc, s6, v44
	s_cmp_lg_u32 s2, 0
	v_addc_co_u32_e32 v1, vcc, 0, v1, vcc
	s_mov_b32 s2, s15
	s_mov_b32 s3, s14
	s_cbranch_scc1 .LBB97_6
; %bb.5:
	v_mul_lo_u32 v6, v5, s0
	v_mul_lo_u32 v7, v4, s1
	v_mad_u64_u32 v[2:3], s[4:5], v4, s0, 0
	v_add3_u32 v3, v3, v7, v6
	v_lshlrev_b64 v[2:3], 3, v[2:3]
	v_mov_b32_e32 v6, s12
	v_add_co_u32_e32 v8, vcc, s9, v2
	v_addc_co_u32_e32 v9, vcc, v6, v3, vcc
	v_lshlrev_b64 v[6:7], 3, v[0:1]
	v_mul_f32_e32 v2, s15, v80
	v_mul_f32_e32 v3, s14, v80
	v_add_co_u32_e32 v6, vcc, v8, v6
	v_fma_f32 v2, v79, s14, -v2
	v_fmac_f32_e32 v3, s15, v79
	v_addc_co_u32_e32 v7, vcc, v9, v7, vcc
	global_store_dwordx2 v[6:7], v[2:3], off
	v_mul_f32_e32 v2, s15, v78
	v_mul_f32_e32 v3, s14, v78
	v_fma_f32 v2, v77, s14, -v2
	v_fmac_f32_e32 v3, s15, v77
	global_store_dwordx2 v[6:7], v[2:3], off offset:128
	v_mul_f32_e32 v2, s15, v76
	v_mul_f32_e32 v3, s14, v76
	v_fma_f32 v2, v75, s14, -v2
	v_fmac_f32_e32 v3, s15, v75
	global_store_dwordx2 v[6:7], v[2:3], off offset:256
	v_mul_f32_e32 v2, s15, v74
	v_mul_f32_e32 v3, s14, v74
	v_fma_f32 v2, v73, s14, -v2
	v_fmac_f32_e32 v3, s15, v73
	s_lshl_b64 s[4:5], s[0:1], 7
	global_store_dwordx2 v[6:7], v[2:3], off offset:384
	v_mul_f32_e32 v2, s15, v72
	v_mul_f32_e32 v3, s14, v72
	v_mov_b32_e32 v9, s5
	v_add_co_u32_e32 v6, vcc, s4, v6
	v_fma_f32 v2, v71, s14, -v2
	v_fmac_f32_e32 v3, s15, v71
	v_addc_co_u32_e32 v7, vcc, v7, v9, vcc
	global_store_dwordx2 v[6:7], v[2:3], off
	v_mul_f32_e32 v2, s15, v70
	v_mul_f32_e32 v3, s14, v70
	v_fma_f32 v2, v69, s14, -v2
	v_fmac_f32_e32 v3, s15, v69
	global_store_dwordx2 v[6:7], v[2:3], off offset:128
	v_mul_f32_e32 v2, s15, v68
	v_mul_f32_e32 v3, s14, v68
	v_fma_f32 v2, v67, s14, -v2
	v_fmac_f32_e32 v3, s15, v67
	global_store_dwordx2 v[6:7], v[2:3], off offset:256
	;; [unrolled: 5-line block ×3, first 2 shown]
	v_mul_f32_e32 v2, s15, v64
	v_mul_f32_e32 v3, s14, v64
	v_add_co_u32_e32 v6, vcc, s4, v6
	v_fma_f32 v2, v63, s14, -v2
	v_fmac_f32_e32 v3, s15, v63
	v_addc_co_u32_e32 v7, vcc, v7, v9, vcc
	global_store_dwordx2 v[6:7], v[2:3], off
	v_mul_f32_e32 v2, s15, v62
	v_mul_f32_e32 v3, s14, v62
	v_fma_f32 v2, v61, s14, -v2
	v_fmac_f32_e32 v3, s15, v61
	global_store_dwordx2 v[6:7], v[2:3], off offset:128
	v_mul_f32_e32 v2, s15, v60
	v_mul_f32_e32 v3, s14, v60
	v_fma_f32 v2, v59, s14, -v2
	v_fmac_f32_e32 v3, s15, v59
	global_store_dwordx2 v[6:7], v[2:3], off offset:256
	;; [unrolled: 5-line block ×3, first 2 shown]
	v_mul_f32_e32 v2, s15, v51
	v_mul_f32_e32 v3, s14, v51
	v_add_co_u32_e32 v8, vcc, s4, v6
	v_fma_f32 v2, v50, s14, -v2
	v_fmac_f32_e32 v3, s15, v50
	v_addc_co_u32_e32 v9, vcc, v7, v9, vcc
	global_store_dwordx2 v[8:9], v[2:3], off
	v_mul_f32_e32 v2, s15, v49
	v_mul_f32_e32 v3, s14, v49
	v_fma_f32 v2, v48, s14, -v2
	v_fmac_f32_e32 v3, s15, v48
	global_store_dwordx2 v[8:9], v[2:3], off offset:128
	v_mul_f32_e32 v2, s15, v46
	v_mul_f32_e32 v3, s14, v46
	v_fma_f32 v2, v47, s14, -v2
	v_fmac_f32_e32 v3, s15, v47
	global_store_dwordx2 v[8:9], v[2:3], off offset:256
	v_mul_f32_e32 v2, s3, v36
	v_fma_f32 v7, -v37, s2, v2
	v_pk_mul_f32 v[2:3], v[36:37], s[2:3]
	v_add_f32_e32 v6, v2, v3
	v_add_co_u32_e32 v2, vcc, 0x180, v8
	v_addc_co_u32_e32 v3, vcc, 0, v9, vcc
	global_store_dword v[8:9], v7, off offset:384
	s_cbranch_execz .LBB97_7
	s_branch .LBB97_8
.LBB97_6:
                                        ; implicit-def: $vgpr6
                                        ; implicit-def: $vgpr2_vgpr3
.LBB97_7:
	s_mul_i32 s4, s8, s21
	s_mul_hi_u32 s5, s8, s20
	s_add_i32 s5, s5, s4
	s_mul_i32 s4, s8, s20
	s_lshl_b64 s[4:5], s[4:5], 3
	s_add_u32 s6, s16, s4
	s_addc_u32 s7, s17, s5
	v_mul_lo_u32 v6, v5, s18
	v_mul_lo_u32 v7, v4, s19
	v_mad_u64_u32 v[2:3], s[4:5], v4, s18, 0
	v_add3_u32 v3, v3, v7, v6
	v_lshlrev_b64 v[2:3], 3, v[2:3]
	v_mov_b32_e32 v6, s7
	v_add_co_u32_e32 v2, vcc, s6, v2
	v_addc_co_u32_e32 v3, vcc, v6, v3, vcc
	v_lshlrev_b64 v[0:1], 3, v[0:1]
	v_add_co_u32_e32 v2, vcc, v2, v0
	v_addc_co_u32_e32 v3, vcc, v3, v1, vcc
	global_load_dwordx2 v[6:7], v[2:3], off
	v_mul_lo_u32 v8, v5, s0
	v_mul_lo_u32 v9, v4, s1
	v_mad_u64_u32 v[4:5], s[4:5], v4, s0, 0
	v_add3_u32 v5, v5, v9, v8
	v_lshlrev_b64 v[4:5], 3, v[4:5]
	v_mov_b32_e32 v10, s12
	v_add_co_u32_e32 v4, vcc, s9, v4
	v_addc_co_u32_e32 v5, vcc, v10, v5, vcc
	v_add_co_u32_e32 v0, vcc, v4, v0
	v_mul_f32_e32 v11, s15, v80
	v_mul_f32_e32 v12, s14, v80
	v_addc_co_u32_e32 v1, vcc, v5, v1, vcc
	v_fma_f32 v8, v79, s14, -v11
	v_fmac_f32_e32 v12, s15, v79
	s_lshl_b64 s[4:5], s[18:19], 7
	s_lshl_b64 s[0:1], s[0:1], 7
	s_waitcnt vmcnt(0)
	v_mul_f32_e32 v4, s11, v7
	v_mul_f32_e32 v5, s10, v7
	v_fma_f32 v4, v6, s10, -v4
	v_fmac_f32_e32 v5, s11, v6
	v_add_f32_e32 v4, v8, v4
	v_add_f32_e32 v5, v12, v5
	global_store_dwordx2 v[0:1], v[4:5], off
	global_load_dwordx2 v[4:5], v[2:3], off offset:128
	v_mul_f32_e32 v6, s15, v78
	v_mul_f32_e32 v7, s14, v78
	v_fma_f32 v6, v77, s14, -v6
	v_fmac_f32_e32 v7, s15, v77
	s_waitcnt vmcnt(0)
	v_mul_f32_e32 v8, s11, v5
	v_mul_f32_e32 v5, s10, v5
	v_fma_f32 v8, v4, s10, -v8
	v_fmac_f32_e32 v5, s11, v4
	v_add_f32_e32 v4, v6, v8
	v_add_f32_e32 v5, v7, v5
	global_store_dwordx2 v[0:1], v[4:5], off offset:128
	global_load_dwordx2 v[4:5], v[2:3], off offset:256
	v_mul_f32_e32 v6, s15, v76
	v_mul_f32_e32 v7, s14, v76
	v_fma_f32 v6, v75, s14, -v6
	v_fmac_f32_e32 v7, s15, v75
	s_waitcnt vmcnt(0)
	v_mul_f32_e32 v8, s11, v5
	v_mul_f32_e32 v5, s10, v5
	v_fma_f32 v8, v4, s10, -v8
	v_fmac_f32_e32 v5, s11, v4
	v_add_f32_e32 v4, v6, v8
	v_add_f32_e32 v5, v7, v5
	global_store_dwordx2 v[0:1], v[4:5], off offset:256
	global_load_dwordx2 v[4:5], v[2:3], off offset:384
	v_mul_f32_e32 v6, s15, v74
	v_mul_f32_e32 v7, s14, v74
	v_fma_f32 v6, v73, s14, -v6
	v_fmac_f32_e32 v7, s15, v73
	v_mov_b32_e32 v8, s5
	v_add_co_u32_e32 v2, vcc, s4, v2
	v_addc_co_u32_e32 v3, vcc, v3, v8, vcc
	s_waitcnt vmcnt(0)
	v_mul_f32_e32 v9, s11, v5
	v_mul_f32_e32 v5, s10, v5
	v_fma_f32 v9, v4, s10, -v9
	v_fmac_f32_e32 v5, s11, v4
	v_add_f32_e32 v4, v6, v9
	v_add_f32_e32 v5, v7, v5
	global_store_dwordx2 v[0:1], v[4:5], off offset:384
	global_load_dwordx2 v[4:5], v[2:3], off
	v_mul_f32_e32 v6, s15, v72
	v_mul_f32_e32 v7, s14, v72
	v_fma_f32 v6, v71, s14, -v6
	v_fmac_f32_e32 v7, s15, v71
	v_mov_b32_e32 v9, s1
	v_add_co_u32_e32 v0, vcc, s0, v0
	v_addc_co_u32_e32 v1, vcc, v1, v9, vcc
	s_waitcnt vmcnt(0)
	v_mul_f32_e32 v10, s11, v5
	v_mul_f32_e32 v5, s10, v5
	v_fma_f32 v10, v4, s10, -v10
	v_fmac_f32_e32 v5, s11, v4
	v_add_f32_e32 v4, v6, v10
	v_add_f32_e32 v5, v7, v5
	global_store_dwordx2 v[0:1], v[4:5], off
	global_load_dwordx2 v[4:5], v[2:3], off offset:128
	v_mul_f32_e32 v6, s15, v70
	v_mul_f32_e32 v7, s14, v70
	v_fma_f32 v6, v69, s14, -v6
	v_fmac_f32_e32 v7, s15, v69
	s_waitcnt vmcnt(0)
	v_mul_f32_e32 v10, s11, v5
	v_mul_f32_e32 v5, s10, v5
	v_fma_f32 v10, v4, s10, -v10
	v_fmac_f32_e32 v5, s11, v4
	v_add_f32_e32 v4, v6, v10
	v_add_f32_e32 v5, v7, v5
	global_store_dwordx2 v[0:1], v[4:5], off offset:128
	global_load_dwordx2 v[4:5], v[2:3], off offset:256
	v_mul_f32_e32 v6, s15, v68
	v_mul_f32_e32 v7, s14, v68
	v_fma_f32 v6, v67, s14, -v6
	v_fmac_f32_e32 v7, s15, v67
	s_waitcnt vmcnt(0)
	v_mul_f32_e32 v10, s11, v5
	v_mul_f32_e32 v5, s10, v5
	v_fma_f32 v10, v4, s10, -v10
	v_fmac_f32_e32 v5, s11, v4
	v_add_f32_e32 v4, v6, v10
	v_add_f32_e32 v5, v7, v5
	global_store_dwordx2 v[0:1], v[4:5], off offset:256
	global_load_dwordx2 v[4:5], v[2:3], off offset:384
	v_mul_f32_e32 v6, s15, v66
	v_mul_f32_e32 v7, s14, v66
	v_fma_f32 v6, v65, s14, -v6
	v_fmac_f32_e32 v7, s15, v65
	v_add_co_u32_e32 v2, vcc, s4, v2
	v_addc_co_u32_e32 v3, vcc, v3, v8, vcc
	s_waitcnt vmcnt(0)
	v_mul_f32_e32 v10, s11, v5
	v_mul_f32_e32 v5, s10, v5
	v_fma_f32 v10, v4, s10, -v10
	v_fmac_f32_e32 v5, s11, v4
	v_add_f32_e32 v4, v6, v10
	v_add_f32_e32 v5, v7, v5
	global_store_dwordx2 v[0:1], v[4:5], off offset:384
	global_load_dwordx2 v[4:5], v[2:3], off
	v_mul_f32_e32 v6, s15, v64
	v_mul_f32_e32 v7, s14, v64
	v_fma_f32 v6, v63, s14, -v6
	v_fmac_f32_e32 v7, s15, v63
	v_add_co_u32_e32 v0, vcc, s0, v0
	v_addc_co_u32_e32 v1, vcc, v1, v9, vcc
	s_waitcnt vmcnt(0)
	v_mul_f32_e32 v10, s11, v5
	v_mul_f32_e32 v5, s10, v5
	v_fma_f32 v10, v4, s10, -v10
	v_fmac_f32_e32 v5, s11, v4
	v_add_f32_e32 v4, v6, v10
	v_add_f32_e32 v5, v7, v5
	global_store_dwordx2 v[0:1], v[4:5], off
	global_load_dwordx2 v[4:5], v[2:3], off offset:128
	v_mul_f32_e32 v6, s15, v62
	v_mul_f32_e32 v7, s14, v62
	v_fma_f32 v6, v61, s14, -v6
	v_fmac_f32_e32 v7, s15, v61
	s_waitcnt vmcnt(0)
	v_mul_f32_e32 v10, s11, v5
	v_mul_f32_e32 v5, s10, v5
	v_fma_f32 v10, v4, s10, -v10
	v_fmac_f32_e32 v5, s11, v4
	v_add_f32_e32 v4, v6, v10
	v_add_f32_e32 v5, v7, v5
	global_store_dwordx2 v[0:1], v[4:5], off offset:128
	global_load_dwordx2 v[4:5], v[2:3], off offset:256
	v_mul_f32_e32 v6, s15, v60
	v_mul_f32_e32 v7, s14, v60
	v_fma_f32 v6, v59, s14, -v6
	v_fmac_f32_e32 v7, s15, v59
	s_waitcnt vmcnt(0)
	v_mul_f32_e32 v10, s11, v5
	v_mul_f32_e32 v5, s10, v5
	v_fma_f32 v10, v4, s10, -v10
	v_fmac_f32_e32 v5, s11, v4
	v_add_f32_e32 v4, v6, v10
	v_add_f32_e32 v5, v7, v5
	global_store_dwordx2 v[0:1], v[4:5], off offset:256
	global_load_dwordx2 v[4:5], v[2:3], off offset:384
	v_add_co_u32_e32 v2, vcc, s4, v2
	v_mul_f32_e32 v6, s15, v58
	v_mul_f32_e32 v7, s14, v58
	v_addc_co_u32_e32 v3, vcc, v3, v8, vcc
	v_fma_f32 v6, v57, s14, -v6
	v_fmac_f32_e32 v7, s15, v57
	s_waitcnt vmcnt(0)
	v_mul_f32_e32 v8, s11, v5
	v_mul_f32_e32 v5, s10, v5
	v_fma_f32 v8, v4, s10, -v8
	v_fmac_f32_e32 v5, s11, v4
	v_add_f32_e32 v4, v6, v8
	v_add_f32_e32 v5, v7, v5
	global_store_dwordx2 v[0:1], v[4:5], off offset:384
	global_load_dwordx2 v[4:5], v[2:3], off
	v_mul_f32_e32 v6, s15, v51
	v_mul_f32_e32 v7, s14, v51
	v_fma_f32 v6, v50, s14, -v6
	v_fmac_f32_e32 v7, s15, v50
	v_add_co_u32_e32 v0, vcc, s0, v0
	v_addc_co_u32_e32 v1, vcc, v1, v9, vcc
	s_waitcnt vmcnt(0)
	v_mul_f32_e32 v8, s11, v5
	v_mul_f32_e32 v5, s10, v5
	v_fma_f32 v8, v4, s10, -v8
	v_fmac_f32_e32 v5, s11, v4
	v_add_f32_e32 v4, v6, v8
	v_add_f32_e32 v5, v7, v5
	global_store_dwordx2 v[0:1], v[4:5], off
	global_load_dwordx2 v[4:5], v[2:3], off offset:128
	v_mul_f32_e32 v6, s15, v49
	v_mul_f32_e32 v7, s14, v49
	v_fma_f32 v6, v48, s14, -v6
	v_fmac_f32_e32 v7, s15, v48
	s_waitcnt vmcnt(0)
	v_mul_f32_e32 v8, s11, v5
	v_mul_f32_e32 v5, s10, v5
	v_fma_f32 v8, v4, s10, -v8
	v_fmac_f32_e32 v5, s11, v4
	v_add_f32_e32 v4, v6, v8
	v_add_f32_e32 v5, v7, v5
	global_store_dwordx2 v[0:1], v[4:5], off offset:128
	global_load_dwordx2 v[4:5], v[2:3], off offset:256
	v_mul_f32_e32 v6, s15, v46
	v_mul_f32_e32 v7, s14, v46
	v_fma_f32 v6, v47, s14, -v6
	v_fmac_f32_e32 v7, s15, v47
	s_waitcnt vmcnt(0)
	v_mul_f32_e32 v8, s11, v5
	v_mul_f32_e32 v5, s10, v5
	v_fma_f32 v8, v4, s10, -v8
	v_fmac_f32_e32 v5, s11, v4
	v_add_f32_e32 v4, v6, v8
	v_add_f32_e32 v5, v7, v5
	global_store_dwordx2 v[0:1], v[4:5], off offset:256
	global_load_dwordx2 v[4:5], v[2:3], off offset:384
	v_mul_f32_e32 v6, s3, v36
	v_pk_mul_f32 v[2:3], v[36:37], s[2:3]
	v_fma_f32 v8, -v37, s2, v6
	v_add_f32_e32 v3, v2, v3
	v_add_co_u32_e32 v2, vcc, 0x180, v0
	s_waitcnt vmcnt(0)
	v_pk_mul_f32 v[6:7], v[4:5], s[10:11] op_sel:[0,1] op_sel_hi:[1,0]
	v_mul_f32_e32 v4, s10, v4
	v_fma_f32 v4, -v5, s11, v4
	v_add_f32_e32 v5, v6, v7
	v_add_f32_e32 v4, v8, v4
	;; [unrolled: 1-line block ×3, first 2 shown]
	v_addc_co_u32_e32 v3, vcc, 0, v1, vcc
	global_store_dword v[0:1], v4, off offset:384
.LBB97_8:
	global_store_dword v[2:3], v6, off offset:4
	s_endpgm
	.section	.rodata,"a",@progbits
	.p2align	6, 0x0
	.amdhsa_kernel _ZN12_GLOBAL__N_127rocblas_gemm_batched_kernelI19rocblas_complex_numIfELi16ELi16ELi64ELi64ELi4ELi64ELi4ELi4ELi64ELc84ELc67EKS2_S3_S2_EEvlllT_PT11_llS6_llS4_PT12_llPT13_lli
		.amdhsa_group_segment_fixed_size 4096
		.amdhsa_private_segment_fixed_size 0
		.amdhsa_kernarg_size 140
		.amdhsa_user_sgpr_count 6
		.amdhsa_user_sgpr_private_segment_buffer 1
		.amdhsa_user_sgpr_dispatch_ptr 0
		.amdhsa_user_sgpr_queue_ptr 0
		.amdhsa_user_sgpr_kernarg_segment_ptr 1
		.amdhsa_user_sgpr_dispatch_id 0
		.amdhsa_user_sgpr_flat_scratch_init 0
		.amdhsa_user_sgpr_kernarg_preload_length 0
		.amdhsa_user_sgpr_kernarg_preload_offset 0
		.amdhsa_user_sgpr_private_segment_size 0
		.amdhsa_uses_dynamic_stack 0
		.amdhsa_system_sgpr_private_segment_wavefront_offset 0
		.amdhsa_system_sgpr_workgroup_id_x 1
		.amdhsa_system_sgpr_workgroup_id_y 1
		.amdhsa_system_sgpr_workgroup_id_z 1
		.amdhsa_system_sgpr_workgroup_info 0
		.amdhsa_system_vgpr_workitem_id 1
		.amdhsa_next_free_vgpr 90
		.amdhsa_next_free_sgpr 30
		.amdhsa_accum_offset 92
		.amdhsa_reserve_vcc 1
		.amdhsa_reserve_flat_scratch 0
		.amdhsa_float_round_mode_32 0
		.amdhsa_float_round_mode_16_64 0
		.amdhsa_float_denorm_mode_32 3
		.amdhsa_float_denorm_mode_16_64 3
		.amdhsa_dx10_clamp 1
		.amdhsa_ieee_mode 1
		.amdhsa_fp16_overflow 0
		.amdhsa_tg_split 0
		.amdhsa_exception_fp_ieee_invalid_op 0
		.amdhsa_exception_fp_denorm_src 0
		.amdhsa_exception_fp_ieee_div_zero 0
		.amdhsa_exception_fp_ieee_overflow 0
		.amdhsa_exception_fp_ieee_underflow 0
		.amdhsa_exception_fp_ieee_inexact 0
		.amdhsa_exception_int_div_zero 0
	.end_amdhsa_kernel
	.section	.text._ZN12_GLOBAL__N_127rocblas_gemm_batched_kernelI19rocblas_complex_numIfELi16ELi16ELi64ELi64ELi4ELi64ELi4ELi4ELi64ELc84ELc67EKS2_S3_S2_EEvlllT_PT11_llS6_llS4_PT12_llPT13_lli,"axG",@progbits,_ZN12_GLOBAL__N_127rocblas_gemm_batched_kernelI19rocblas_complex_numIfELi16ELi16ELi64ELi64ELi4ELi64ELi4ELi4ELi64ELc84ELc67EKS2_S3_S2_EEvlllT_PT11_llS6_llS4_PT12_llPT13_lli,comdat
.Lfunc_end97:
	.size	_ZN12_GLOBAL__N_127rocblas_gemm_batched_kernelI19rocblas_complex_numIfELi16ELi16ELi64ELi64ELi4ELi64ELi4ELi4ELi64ELc84ELc67EKS2_S3_S2_EEvlllT_PT11_llS6_llS4_PT12_llPT13_lli, .Lfunc_end97-_ZN12_GLOBAL__N_127rocblas_gemm_batched_kernelI19rocblas_complex_numIfELi16ELi16ELi64ELi64ELi4ELi64ELi4ELi4ELi64ELc84ELc67EKS2_S3_S2_EEvlllT_PT11_llS6_llS4_PT12_llPT13_lli
                                        ; -- End function
	.section	.AMDGPU.csdata,"",@progbits
; Kernel info:
; codeLenInByte = 4736
; NumSgprs: 34
; NumVgprs: 90
; NumAgprs: 0
; TotalNumVgprs: 90
; ScratchSize: 0
; MemoryBound: 0
; FloatMode: 240
; IeeeMode: 1
; LDSByteSize: 4096 bytes/workgroup (compile time only)
; SGPRBlocks: 4
; VGPRBlocks: 11
; NumSGPRsForWavesPerEU: 34
; NumVGPRsForWavesPerEU: 90
; AccumOffset: 92
; Occupancy: 5
; WaveLimiterHint : 1
; COMPUTE_PGM_RSRC2:SCRATCH_EN: 0
; COMPUTE_PGM_RSRC2:USER_SGPR: 6
; COMPUTE_PGM_RSRC2:TRAP_HANDLER: 0
; COMPUTE_PGM_RSRC2:TGID_X_EN: 1
; COMPUTE_PGM_RSRC2:TGID_Y_EN: 1
; COMPUTE_PGM_RSRC2:TGID_Z_EN: 1
; COMPUTE_PGM_RSRC2:TIDIG_COMP_CNT: 1
; COMPUTE_PGM_RSRC3_GFX90A:ACCUM_OFFSET: 22
; COMPUTE_PGM_RSRC3_GFX90A:TG_SPLIT: 0
	.section	.text._ZN12_GLOBAL__N_127rocblas_gemm_batched_kernelI19rocblas_complex_numIfELi16ELi16ELi32ELi32ELi8ELi32ELi8ELi8ELi32ELc78ELc78EKS2_S3_S2_EEvlllT_PT11_llS6_llS4_PT12_llPT13_lli,"axG",@progbits,_ZN12_GLOBAL__N_127rocblas_gemm_batched_kernelI19rocblas_complex_numIfELi16ELi16ELi32ELi32ELi8ELi32ELi8ELi8ELi32ELc78ELc78EKS2_S3_S2_EEvlllT_PT11_llS6_llS4_PT12_llPT13_lli,comdat
	.globl	_ZN12_GLOBAL__N_127rocblas_gemm_batched_kernelI19rocblas_complex_numIfELi16ELi16ELi32ELi32ELi8ELi32ELi8ELi8ELi32ELc78ELc78EKS2_S3_S2_EEvlllT_PT11_llS6_llS4_PT12_llPT13_lli ; -- Begin function _ZN12_GLOBAL__N_127rocblas_gemm_batched_kernelI19rocblas_complex_numIfELi16ELi16ELi32ELi32ELi8ELi32ELi8ELi8ELi32ELc78ELc78EKS2_S3_S2_EEvlllT_PT11_llS6_llS4_PT12_llPT13_lli
	.p2align	8
	.type	_ZN12_GLOBAL__N_127rocblas_gemm_batched_kernelI19rocblas_complex_numIfELi16ELi16ELi32ELi32ELi8ELi32ELi8ELi8ELi32ELc78ELc78EKS2_S3_S2_EEvlllT_PT11_llS6_llS4_PT12_llPT13_lli,@function
_ZN12_GLOBAL__N_127rocblas_gemm_batched_kernelI19rocblas_complex_numIfELi16ELi16ELi32ELi32ELi8ELi32ELi8ELi8ELi32ELc78ELc78EKS2_S3_S2_EEvlllT_PT11_llS6_llS4_PT12_llPT13_lli: ; @_ZN12_GLOBAL__N_127rocblas_gemm_batched_kernelI19rocblas_complex_numIfELi16ELi16ELi32ELi32ELi8ELi32ELi8ELi8ELi32ELc78ELc78EKS2_S3_S2_EEvlllT_PT11_llS6_llS4_PT12_llPT13_lli
; %bb.0:
	s_load_dwordx16 s[12:27], s[4:5], 0x10
	s_load_dwordx2 s[10:11], s[4:5], 0x50
	s_mov_b32 s0, s7
	s_ashr_i32 s1, s0, 31
	s_ashr_i32 s7, s6, 31
	s_lshl_b64 s[28:29], s[0:1], 5
	s_waitcnt lgkmcnt(0)
	v_cmp_lt_i64_e64 s[0:1], s[12:13], 1
	v_bfe_u32 v49, v0, 10, 10
	v_and_b32_e32 v48, 0x3ff, v0
	s_lshl_b64 s[6:7], s[6:7], 5
	s_and_b64 vcc, exec, s[0:1]
	s_cbranch_vccnz .LBB98_3
; %bb.1:
	v_lshl_add_u32 v0, v49, 4, v48
	v_lshrrev_b32_e32 v1, 3, v0
	v_mov_b32_e32 v2, s29
	v_add_co_u32_e32 v4, vcc, s28, v1
	v_addc_co_u32_e32 v5, vcc, 0, v2, vcc
	v_and_b32_e32 v2, 7, v48
	v_and_b32_e32 v6, 31, v0
	v_lshrrev_b32_e32 v3, 5, v0
	v_lshlrev_b32_e32 v0, 3, v6
	v_lshlrev_b32_e32 v7, 3, v2
	v_lshl_or_b32 v52, v3, 8, v0
	v_lshl_or_b32 v0, v1, 6, v7
	v_add_u32_e32 v53, 0x800, v0
	v_mov_b32_e32 v0, 0x800
	v_lshl_add_u32 v55, v49, 6, v0
	v_pk_mov_b32 v[0:1], s[6:7], s[6:7] op_sel:[0,1]
	v_mad_u64_u32 v[0:1], s[2:3], v3, s18, v[0:1]
	s_mul_i32 s0, s21, s8
	s_mul_hi_u32 s1, s20, s8
	v_mov_b32_e32 v2, v1
	s_add_i32 s1, s1, s0
	s_mul_i32 s0, s20, s8
	v_mad_u64_u32 v[2:3], s[2:3], v3, s19, v[2:3]
	s_lshl_b64 s[0:1], s[0:1], 3
	v_mov_b32_e32 v1, v2
	v_add_co_u32_e32 v0, vcc, v0, v6
	v_addc_co_u32_e32 v1, vcc, 0, v1, vcc
	s_add_u32 s0, s16, s0
	v_lshlrev_b64 v[0:1], 3, v[0:1]
	s_addc_u32 s1, s17, s1
	v_mov_b32_e32 v2, s1
	v_add_co_u32_e32 v40, vcc, s0, v0
	v_addc_co_u32_e32 v41, vcc, v2, v1, vcc
	v_mad_u64_u32 v[0:1], s[2:3], s24, v4, 0
	v_mul_lo_u32 v2, s25, v4
	v_mul_lo_u32 v3, s24, v5
	s_mul_i32 s2, s27, s8
	s_mul_hi_u32 s3, s26, s8
	v_add3_u32 v1, v1, v3, v2
	s_add_i32 s3, s3, s2
	s_mul_i32 s2, s26, s8
	v_lshlrev_b64 v[0:1], 3, v[0:1]
	s_lshl_b64 s[2:3], s[2:3], 3
	v_mov_b32_e32 v2, s3
	v_add_co_u32_e32 v0, vcc, s2, v0
	v_addc_co_u32_e32 v1, vcc, v1, v2, vcc
	v_add_co_u32_e32 v0, vcc, v0, v7
	v_addc_co_u32_e32 v1, vcc, 0, v1, vcc
	s_lshl_b64 s[0:1], s[18:19], 6
	v_mov_b32_e32 v2, s23
	v_add_co_u32_e32 v42, vcc, s22, v0
	v_lshlrev_b32_e32 v54, 3, v48
	v_addc_co_u32_e32 v43, vcc, v2, v1, vcc
	s_mov_b64 s[2:3], 0
	v_mov_b32_e32 v37, 0
	v_mov_b32_e32 v56, s1
	v_pk_mov_b32 v[44:45], s[12:13], s[12:13] op_sel:[0,1]
	v_mov_b32_e32 v39, 0
	v_mov_b32_e32 v38, 0
	v_mov_b32_e32 v36, 0
	v_mov_b32_e32 v47, 0
	v_mov_b32_e32 v46, 0
	v_mov_b32_e32 v51, 0
	v_mov_b32_e32 v50, 0
.LBB98_2:                               ; =>This Inner Loop Header: Depth=1
	global_load_dwordx2 v[0:1], v[40:41], off
	global_load_dwordx2 v[2:3], v[42:43], off
	v_add_co_u32_e32 v40, vcc, s0, v40
	v_addc_co_u32_e32 v41, vcc, v41, v56, vcc
	s_add_u32 s2, s2, 8
	v_add_co_u32_e32 v42, vcc, 64, v42
	v_addc_co_u32_e32 v43, vcc, 0, v43, vcc
	s_addc_u32 s3, s3, 0
	v_cmp_lt_i64_e32 vcc, s[2:3], v[44:45]
	s_and_b64 vcc, exec, vcc
	s_waitcnt vmcnt(1)
	ds_write_b64 v52, v[0:1]
	s_waitcnt vmcnt(0)
	ds_write_b64 v53, v[2:3]
	s_waitcnt lgkmcnt(0)
	s_barrier
	ds_read_b128 v[4:7], v55
	ds_read_b128 v[0:3], v55 offset:16
	ds_read2_b64 v[8:11], v54 offset1:16
	ds_read2_b64 v[12:15], v54 offset0:32 offset1:48
	ds_read2_b64 v[16:19], v54 offset0:64 offset1:80
	ds_read_b128 v[24:27], v55 offset:1024
	ds_read_b128 v[20:23], v55 offset:1040
	ds_read2_b64 v[28:31], v54 offset0:96 offset1:112
	ds_read2_b64 v[32:35], v54 offset0:128 offset1:144
	;; [unrolled: 1-line block ×3, first 2 shown]
	ds_read_b128 v[62:65], v55 offset:32
	ds_read_b128 v[66:69], v55 offset:48
	ds_read2_b64 v[70:73], v54 offset0:192 offset1:208
	ds_read_b128 v[74:77], v55 offset:1056
	ds_read_b128 v[78:81], v55 offset:1072
	s_waitcnt lgkmcnt(12)
	v_mul_f32_e32 v57, v5, v9
	v_mul_f32_e32 v82, v4, v9
	v_mul_f32_e32 v83, v5, v11
	v_mul_f32_e32 v84, v4, v11
	s_waitcnt lgkmcnt(9)
	v_mul_f32_e32 v85, v25, v9
	v_mul_f32_e32 v9, v24, v9
	;; [unrolled: 1-line block ×5, first 2 shown]
	v_fma_f32 v57, v4, v8, -v57
	v_fmac_f32_e32 v82, v5, v8
	v_fma_f32 v4, v4, v10, -v83
	v_fmac_f32_e32 v84, v5, v10
	;; [unrolled: 2-line block ×4, first 2 shown]
	v_mul_f32_e32 v10, v6, v15
	v_mul_f32_e32 v87, v7, v13
	;; [unrolled: 1-line block ×6, first 2 shown]
	v_fmac_f32_e32 v88, v7, v12
	v_fmac_f32_e32 v10, v7, v14
	v_mul_f32_e32 v7, v26, v15
	v_fma_f32 v83, v6, v12, -v87
	v_fma_f32 v6, v6, v14, -v89
	v_mul_f32_e32 v15, v1, v17
	v_mul_f32_e32 v85, v0, v17
	;; [unrolled: 1-line block ×3, first 2 shown]
	v_fma_f32 v24, v26, v12, -v24
	v_fmac_f32_e32 v13, v27, v12
	v_fma_f32 v12, v26, v14, -v25
	v_fmac_f32_e32 v7, v27, v14
	v_mul_f32_e32 v14, v0, v19
	s_waitcnt lgkmcnt(8)
	v_mul_f32_e32 v25, v21, v17
	v_mul_f32_e32 v17, v20, v17
	;; [unrolled: 1-line block ×4, first 2 shown]
	s_waitcnt lgkmcnt(7)
	v_mul_f32_e32 v27, v3, v29
	v_mul_f32_e32 v87, v2, v29
	;; [unrolled: 1-line block ×3, first 2 shown]
	v_fma_f32 v15, v0, v16, -v15
	v_fmac_f32_e32 v85, v1, v16
	v_fma_f32 v86, v0, v18, -v86
	v_fmac_f32_e32 v14, v1, v18
	;; [unrolled: 2-line block ×4, first 2 shown]
	v_mul_f32_e32 v18, v2, v31
	v_mul_f32_e32 v0, v23, v29
	;; [unrolled: 1-line block ×4, first 2 shown]
	v_fma_f32 v21, v2, v28, -v27
	v_mul_f32_e32 v27, v22, v31
	v_fmac_f32_e32 v87, v3, v28
	v_fma_f32 v26, v2, v30, -v89
	v_fmac_f32_e32 v18, v3, v30
	s_waitcnt lgkmcnt(4)
	v_mul_f32_e32 v2, v63, v33
	v_mul_f32_e32 v29, v62, v33
	;; [unrolled: 1-line block ×3, first 2 shown]
	v_fma_f32 v31, v22, v28, -v0
	v_fmac_f32_e32 v20, v23, v28
	v_fma_f32 v22, v22, v30, -v1
	v_fmac_f32_e32 v27, v23, v30
	v_mul_f32_e32 v23, v62, v35
	s_waitcnt lgkmcnt(1)
	v_mul_f32_e32 v0, v75, v33
	v_mul_f32_e32 v28, v74, v33
	;; [unrolled: 1-line block ×7, first 2 shown]
	v_fma_f32 v90, v62, v32, -v2
	v_fmac_f32_e32 v29, v63, v32
	v_fma_f32 v62, v62, v34, -v3
	v_fmac_f32_e32 v23, v63, v34
	;; [unrolled: 2-line block ×4, first 2 shown]
	v_mul_f32_e32 v34, v64, v61
	v_mul_f32_e32 v0, v77, v59
	;; [unrolled: 1-line block ×5, first 2 shown]
	v_fma_f32 v33, v64, v58, -v33
	v_fmac_f32_e32 v35, v65, v58
	v_fma_f32 v64, v64, v60, -v89
	v_fmac_f32_e32 v34, v65, v60
	v_mul_f32_e32 v2, v67, v71
	v_mul_f32_e32 v65, v66, v71
	;; [unrolled: 1-line block ×3, first 2 shown]
	v_fma_f32 v74, v76, v58, -v0
	v_fmac_f32_e32 v59, v77, v58
	v_fma_f32 v58, v76, v60, -v1
	v_fmac_f32_e32 v61, v77, v60
	v_mul_f32_e32 v60, v66, v73
	s_waitcnt lgkmcnt(0)
	v_mul_f32_e32 v0, v79, v71
	v_mul_f32_e32 v71, v78, v71
	;; [unrolled: 1-line block ×3, first 2 shown]
	v_fma_f32 v75, v66, v70, -v2
	v_fmac_f32_e32 v65, v67, v70
	v_fma_f32 v66, v66, v72, -v3
	v_fmac_f32_e32 v60, v67, v72
	;; [unrolled: 2-line block ×3, first 2 shown]
	v_fma_f32 v70, v78, v72, -v1
	ds_read2_b64 v[0:3], v54 offset0:224 offset1:240
	v_mul_f32_e32 v73, v78, v73
	v_fmac_f32_e32 v73, v79, v72
	v_add_f32_e32 v4, v46, v4
	v_add_f32_e32 v8, v39, v8
	s_waitcnt lgkmcnt(0)
	v_mul_f32_e32 v72, v69, v1
	v_mul_f32_e32 v77, v69, v3
	;; [unrolled: 1-line block ×3, first 2 shown]
	v_fma_f32 v72, v68, v0, -v72
	v_fma_f32 v77, v68, v2, -v77
	v_mul_f32_e32 v68, v68, v3
	v_fmac_f32_e32 v76, v69, v0
	v_fmac_f32_e32 v68, v69, v2
	v_mul_f32_e32 v69, v81, v1
	v_mul_f32_e32 v1, v80, v1
	;; [unrolled: 1-line block ×4, first 2 shown]
	v_fma_f32 v69, v80, v0, -v69
	v_fmac_f32_e32 v1, v81, v0
	v_fma_f32 v0, v80, v2, -v78
	v_fmac_f32_e32 v3, v81, v2
	v_add_f32_e32 v2, v36, v5
	v_add_f32_e32 v5, v38, v9
	;; [unrolled: 1-line block ×62, first 2 shown]
	s_barrier
	s_cbranch_vccnz .LBB98_2
	s_branch .LBB98_4
.LBB98_3:
	v_mov_b32_e32 v50, 0
	v_mov_b32_e32 v51, 0
	;; [unrolled: 1-line block ×8, first 2 shown]
.LBB98_4:
	s_load_dwordx4 s[0:3], s[4:5], 0x78
	s_load_dwordx8 s[16:23], s[4:5], 0x58
	v_mov_b32_e32 v0, s29
	v_add_co_u32_e32 v4, vcc, s28, v49
	s_waitcnt lgkmcnt(0)
	s_mul_i32 s3, s8, s3
	s_mul_hi_u32 s4, s8, s2
	s_mul_i32 s2, s8, s2
	s_add_i32 s3, s4, s3
	s_lshl_b64 s[2:3], s[2:3], 3
	s_add_u32 s4, s22, s2
	s_addc_u32 s5, s23, s3
	v_addc_co_u32_e32 v5, vcc, 0, v0, vcc
	s_or_b32 s2, s10, s11
	s_bitset0_b32 s2, 31
	v_mov_b32_e32 v1, s7
	v_add_co_u32_e32 v0, vcc, s6, v48
	s_cmp_lg_u32 s2, 0
	v_addc_co_u32_e32 v1, vcc, 0, v1, vcc
	s_cbranch_scc1 .LBB98_6
; %bb.5:
	v_mul_lo_u32 v6, v5, s0
	v_mul_lo_u32 v7, v4, s1
	v_mad_u64_u32 v[2:3], s[2:3], v4, s0, 0
	v_add3_u32 v3, v3, v7, v6
	v_lshlrev_b64 v[2:3], 3, v[2:3]
	v_mov_b32_e32 v6, s5
	v_add_co_u32_e32 v8, vcc, s4, v2
	v_addc_co_u32_e32 v9, vcc, v6, v3, vcc
	v_lshlrev_b64 v[6:7], 3, v[0:1]
	v_mul_f32_e32 v2, s15, v51
	v_mul_f32_e32 v3, s14, v51
	v_add_co_u32_e32 v6, vcc, v8, v6
	v_fma_f32 v2, v50, s14, -v2
	v_fmac_f32_e32 v3, s15, v50
	v_addc_co_u32_e32 v7, vcc, v9, v7, vcc
	global_store_dwordx2 v[6:7], v[2:3], off
	v_mul_f32_e32 v2, s15, v47
	v_mul_f32_e32 v3, s14, v47
	v_fma_f32 v2, v46, s14, -v2
	v_fmac_f32_e32 v3, s15, v46
	s_lshl_b64 s[2:3], s[0:1], 7
	global_store_dwordx2 v[6:7], v[2:3], off offset:128
	v_mul_f32_e32 v2, s15, v38
	v_mul_f32_e32 v3, s14, v38
	v_mov_b32_e32 v9, s3
	v_add_co_u32_e32 v8, vcc, s2, v6
	v_fma_f32 v2, v36, s14, -v2
	v_fmac_f32_e32 v3, s15, v36
	v_addc_co_u32_e32 v9, vcc, v7, v9, vcc
	global_store_dwordx2 v[8:9], v[2:3], off
	v_mul_f32_e32 v2, s15, v37
	v_fma_f32 v7, v39, s14, -v2
	v_mul_f32_e32 v6, s14, v37
	v_add_co_u32_e32 v2, vcc, 0x80, v8
	v_fmac_f32_e32 v6, s15, v39
	v_addc_co_u32_e32 v3, vcc, 0, v9, vcc
	global_store_dword v[8:9], v7, off offset:128
	s_cbranch_execz .LBB98_7
	s_branch .LBB98_8
.LBB98_6:
                                        ; implicit-def: $vgpr6
                                        ; implicit-def: $vgpr2_vgpr3
.LBB98_7:
	s_mul_i32 s2, s8, s21
	s_mul_hi_u32 s3, s8, s20
	s_add_i32 s3, s3, s2
	s_mul_i32 s2, s8, s20
	s_lshl_b64 s[2:3], s[2:3], 3
	s_add_u32 s6, s16, s2
	s_addc_u32 s7, s17, s3
	v_mul_lo_u32 v6, v5, s18
	v_mul_lo_u32 v7, v4, s19
	v_mad_u64_u32 v[2:3], s[2:3], v4, s18, 0
	v_add3_u32 v3, v3, v7, v6
	v_lshlrev_b64 v[2:3], 3, v[2:3]
	v_mov_b32_e32 v6, s7
	v_add_co_u32_e32 v2, vcc, s6, v2
	v_addc_co_u32_e32 v3, vcc, v6, v3, vcc
	v_lshlrev_b64 v[0:1], 3, v[0:1]
	v_add_co_u32_e32 v2, vcc, v2, v0
	v_addc_co_u32_e32 v3, vcc, v3, v1, vcc
	global_load_dwordx2 v[6:7], v[2:3], off
	v_mul_lo_u32 v8, v5, s0
	v_mul_lo_u32 v9, v4, s1
	v_mad_u64_u32 v[4:5], s[2:3], v4, s0, 0
	v_add3_u32 v5, v5, v9, v8
	v_lshlrev_b64 v[4:5], 3, v[4:5]
	v_mov_b32_e32 v10, s5
	v_add_co_u32_e32 v4, vcc, s4, v4
	v_addc_co_u32_e32 v5, vcc, v10, v5, vcc
	v_add_co_u32_e32 v0, vcc, v4, v0
	v_mul_f32_e32 v11, s15, v51
	v_mul_f32_e32 v12, s14, v51
	v_addc_co_u32_e32 v1, vcc, v5, v1, vcc
	v_fma_f32 v8, v50, s14, -v11
	v_fmac_f32_e32 v12, s15, v50
	s_lshl_b64 s[2:3], s[18:19], 7
	s_lshl_b64 s[0:1], s[0:1], 7
	s_waitcnt vmcnt(0)
	v_mul_f32_e32 v4, s11, v7
	v_mul_f32_e32 v5, s10, v7
	v_fma_f32 v4, v6, s10, -v4
	v_fmac_f32_e32 v5, s11, v6
	v_add_f32_e32 v4, v8, v4
	v_add_f32_e32 v5, v12, v5
	global_store_dwordx2 v[0:1], v[4:5], off
	global_load_dwordx2 v[4:5], v[2:3], off offset:128
	v_mov_b32_e32 v8, s3
	v_add_co_u32_e32 v2, vcc, s2, v2
	v_mul_f32_e32 v6, s15, v47
	v_mul_f32_e32 v7, s14, v47
	v_addc_co_u32_e32 v3, vcc, v3, v8, vcc
	v_fma_f32 v6, v46, s14, -v6
	v_fmac_f32_e32 v7, s15, v46
	s_waitcnt vmcnt(0)
	v_mul_f32_e32 v8, s11, v5
	v_mul_f32_e32 v5, s10, v5
	v_fma_f32 v8, v4, s10, -v8
	v_fmac_f32_e32 v5, s11, v4
	v_add_f32_e32 v4, v6, v8
	v_add_f32_e32 v5, v7, v5
	global_store_dwordx2 v[0:1], v[4:5], off offset:128
	global_load_dwordx2 v[4:5], v[2:3], off
	v_pk_mul_f32 v[6:7], v[38:39], s[14:15] op_sel_hi:[0,1]
	v_pk_fma_f32 v[8:9], v[36:37], s[14:15], v[6:7] op_sel:[0,0,1] op_sel_hi:[1,1,0] neg_lo:[0,0,1] neg_hi:[0,0,1]
	v_pk_fma_f32 v[6:7], v[36:37], s[14:15], v[6:7] op_sel:[0,0,1] op_sel_hi:[0,1,0]
	v_mov_b32_e32 v6, s1
	v_add_co_u32_e32 v0, vcc, s0, v0
	v_mov_b32_e32 v9, v7
	v_addc_co_u32_e32 v1, vcc, v1, v6, vcc
	s_waitcnt vmcnt(0)
	v_pk_mul_f32 v[6:7], v[4:5], s[10:11] op_sel:[0,1]
	v_pk_fma_f32 v[10:11], v[4:5], s[10:11], v[6:7] op_sel:[0,0,1] op_sel_hi:[1,1,0] neg_lo:[0,0,1] neg_hi:[0,0,1]
	v_pk_fma_f32 v[4:5], v[4:5], s[10:11], v[6:7] op_sel:[0,0,1] op_sel_hi:[1,0,0]
	v_mov_b32_e32 v11, v5
	v_pk_add_f32 v[4:5], v[8:9], v[10:11]
	global_store_dwordx2 v[0:1], v[4:5], off
	global_load_dwordx2 v[4:5], v[2:3], off offset:128
	v_mul_f32_e32 v2, s15, v37
	v_mul_f32_e32 v3, s14, v37
	v_fma_f32 v8, v39, s14, -v2
	v_fmac_f32_e32 v3, s15, v39
	v_add_co_u32_e32 v2, vcc, 0x80, v0
	s_waitcnt vmcnt(0)
	v_mul_f32_e32 v9, s10, v4
	v_pk_mul_f32 v[6:7], v[4:5], s[10:11] op_sel:[0,1] op_sel_hi:[1,0]
	v_fma_f32 v4, -v5, s11, v9
	v_add_f32_e32 v5, v6, v7
	v_add_f32_e32 v4, v8, v4
	v_add_f32_e32 v6, v3, v5
	v_addc_co_u32_e32 v3, vcc, 0, v1, vcc
	global_store_dword v[0:1], v4, off offset:128
.LBB98_8:
	global_store_dword v[2:3], v6, off offset:4
	s_endpgm
	.section	.rodata,"a",@progbits
	.p2align	6, 0x0
	.amdhsa_kernel _ZN12_GLOBAL__N_127rocblas_gemm_batched_kernelI19rocblas_complex_numIfELi16ELi16ELi32ELi32ELi8ELi32ELi8ELi8ELi32ELc78ELc78EKS2_S3_S2_EEvlllT_PT11_llS6_llS4_PT12_llPT13_lli
		.amdhsa_group_segment_fixed_size 4096
		.amdhsa_private_segment_fixed_size 0
		.amdhsa_kernarg_size 140
		.amdhsa_user_sgpr_count 6
		.amdhsa_user_sgpr_private_segment_buffer 1
		.amdhsa_user_sgpr_dispatch_ptr 0
		.amdhsa_user_sgpr_queue_ptr 0
		.amdhsa_user_sgpr_kernarg_segment_ptr 1
		.amdhsa_user_sgpr_dispatch_id 0
		.amdhsa_user_sgpr_flat_scratch_init 0
		.amdhsa_user_sgpr_kernarg_preload_length 0
		.amdhsa_user_sgpr_kernarg_preload_offset 0
		.amdhsa_user_sgpr_private_segment_size 0
		.amdhsa_uses_dynamic_stack 0
		.amdhsa_system_sgpr_private_segment_wavefront_offset 0
		.amdhsa_system_sgpr_workgroup_id_x 1
		.amdhsa_system_sgpr_workgroup_id_y 1
		.amdhsa_system_sgpr_workgroup_id_z 1
		.amdhsa_system_sgpr_workgroup_info 0
		.amdhsa_system_vgpr_workitem_id 1
		.amdhsa_next_free_vgpr 91
		.amdhsa_next_free_sgpr 30
		.amdhsa_accum_offset 92
		.amdhsa_reserve_vcc 1
		.amdhsa_reserve_flat_scratch 0
		.amdhsa_float_round_mode_32 0
		.amdhsa_float_round_mode_16_64 0
		.amdhsa_float_denorm_mode_32 3
		.amdhsa_float_denorm_mode_16_64 3
		.amdhsa_dx10_clamp 1
		.amdhsa_ieee_mode 1
		.amdhsa_fp16_overflow 0
		.amdhsa_tg_split 0
		.amdhsa_exception_fp_ieee_invalid_op 0
		.amdhsa_exception_fp_denorm_src 0
		.amdhsa_exception_fp_ieee_div_zero 0
		.amdhsa_exception_fp_ieee_overflow 0
		.amdhsa_exception_fp_ieee_underflow 0
		.amdhsa_exception_fp_ieee_inexact 0
		.amdhsa_exception_int_div_zero 0
	.end_amdhsa_kernel
	.section	.text._ZN12_GLOBAL__N_127rocblas_gemm_batched_kernelI19rocblas_complex_numIfELi16ELi16ELi32ELi32ELi8ELi32ELi8ELi8ELi32ELc78ELc78EKS2_S3_S2_EEvlllT_PT11_llS6_llS4_PT12_llPT13_lli,"axG",@progbits,_ZN12_GLOBAL__N_127rocblas_gemm_batched_kernelI19rocblas_complex_numIfELi16ELi16ELi32ELi32ELi8ELi32ELi8ELi8ELi32ELc78ELc78EKS2_S3_S2_EEvlllT_PT11_llS6_llS4_PT12_llPT13_lli,comdat
.Lfunc_end98:
	.size	_ZN12_GLOBAL__N_127rocblas_gemm_batched_kernelI19rocblas_complex_numIfELi16ELi16ELi32ELi32ELi8ELi32ELi8ELi8ELi32ELc78ELc78EKS2_S3_S2_EEvlllT_PT11_llS6_llS4_PT12_llPT13_lli, .Lfunc_end98-_ZN12_GLOBAL__N_127rocblas_gemm_batched_kernelI19rocblas_complex_numIfELi16ELi16ELi32ELi32ELi8ELi32ELi8ELi8ELi32ELc78ELc78EKS2_S3_S2_EEvlllT_PT11_llS6_llS4_PT12_llPT13_lli
                                        ; -- End function
	.section	.AMDGPU.csdata,"",@progbits
; Kernel info:
; codeLenInByte = 2380
; NumSgprs: 34
; NumVgprs: 91
; NumAgprs: 0
; TotalNumVgprs: 91
; ScratchSize: 0
; MemoryBound: 0
; FloatMode: 240
; IeeeMode: 1
; LDSByteSize: 4096 bytes/workgroup (compile time only)
; SGPRBlocks: 4
; VGPRBlocks: 11
; NumSGPRsForWavesPerEU: 34
; NumVGPRsForWavesPerEU: 91
; AccumOffset: 92
; Occupancy: 5
; WaveLimiterHint : 1
; COMPUTE_PGM_RSRC2:SCRATCH_EN: 0
; COMPUTE_PGM_RSRC2:USER_SGPR: 6
; COMPUTE_PGM_RSRC2:TRAP_HANDLER: 0
; COMPUTE_PGM_RSRC2:TGID_X_EN: 1
; COMPUTE_PGM_RSRC2:TGID_Y_EN: 1
; COMPUTE_PGM_RSRC2:TGID_Z_EN: 1
; COMPUTE_PGM_RSRC2:TIDIG_COMP_CNT: 1
; COMPUTE_PGM_RSRC3_GFX90A:ACCUM_OFFSET: 22
; COMPUTE_PGM_RSRC3_GFX90A:TG_SPLIT: 0
	.section	.text._ZN12_GLOBAL__N_127rocblas_gemm_batched_kernelI19rocblas_complex_numIfELi16ELi16ELi32ELi32ELi8ELi32ELi8ELi8ELi32ELc84ELc78EKS2_S3_S2_EEvlllT_PT11_llS6_llS4_PT12_llPT13_lli,"axG",@progbits,_ZN12_GLOBAL__N_127rocblas_gemm_batched_kernelI19rocblas_complex_numIfELi16ELi16ELi32ELi32ELi8ELi32ELi8ELi8ELi32ELc84ELc78EKS2_S3_S2_EEvlllT_PT11_llS6_llS4_PT12_llPT13_lli,comdat
	.globl	_ZN12_GLOBAL__N_127rocblas_gemm_batched_kernelI19rocblas_complex_numIfELi16ELi16ELi32ELi32ELi8ELi32ELi8ELi8ELi32ELc84ELc78EKS2_S3_S2_EEvlllT_PT11_llS6_llS4_PT12_llPT13_lli ; -- Begin function _ZN12_GLOBAL__N_127rocblas_gemm_batched_kernelI19rocblas_complex_numIfELi16ELi16ELi32ELi32ELi8ELi32ELi8ELi8ELi32ELc84ELc78EKS2_S3_S2_EEvlllT_PT11_llS6_llS4_PT12_llPT13_lli
	.p2align	8
	.type	_ZN12_GLOBAL__N_127rocblas_gemm_batched_kernelI19rocblas_complex_numIfELi16ELi16ELi32ELi32ELi8ELi32ELi8ELi8ELi32ELc84ELc78EKS2_S3_S2_EEvlllT_PT11_llS6_llS4_PT12_llPT13_lli,@function
_ZN12_GLOBAL__N_127rocblas_gemm_batched_kernelI19rocblas_complex_numIfELi16ELi16ELi32ELi32ELi8ELi32ELi8ELi8ELi32ELc84ELc78EKS2_S3_S2_EEvlllT_PT11_llS6_llS4_PT12_llPT13_lli: ; @_ZN12_GLOBAL__N_127rocblas_gemm_batched_kernelI19rocblas_complex_numIfELi16ELi16ELi32ELi32ELi8ELi32ELi8ELi8ELi32ELc84ELc78EKS2_S3_S2_EEvlllT_PT11_llS6_llS4_PT12_llPT13_lli
; %bb.0:
	s_load_dwordx16 s[12:27], s[4:5], 0x10
	s_load_dwordx2 s[10:11], s[4:5], 0x50
	s_mov_b32 s0, s7
	s_ashr_i32 s1, s0, 31
	s_ashr_i32 s7, s6, 31
	s_lshl_b64 s[28:29], s[0:1], 5
	s_waitcnt lgkmcnt(0)
	v_cmp_lt_i64_e64 s[0:1], s[12:13], 1
	v_bfe_u32 v17, v0, 10, 10
	v_and_b32_e32 v16, 0x3ff, v0
	s_lshl_b64 s[6:7], s[6:7], 5
	s_and_b64 vcc, exec, s[0:1]
	s_cbranch_vccnz .LBB99_3
; %bb.1:
	v_lshl_add_u32 v0, v17, 4, v16
	v_and_b32_e32 v4, 7, v16
	v_and_b32_e32 v5, 31, v0
	v_lshrrev_b32_e32 v1, 3, v0
	v_lshrrev_b32_e32 v6, 5, v0
	v_lshlrev_b32_e32 v0, 3, v5
	v_lshlrev_b32_e32 v7, 3, v4
	v_mov_b32_e32 v2, s29
	v_add_co_u32_e32 v3, vcc, s28, v1
	v_lshl_or_b32 v20, v6, 8, v0
	v_lshl_or_b32 v0, v1, 6, v7
	v_addc_co_u32_e32 v2, vcc, 0, v2, vcc
	v_add_u32_e32 v21, 0x800, v0
	v_mov_b32_e32 v0, 0x800
	v_lshl_add_u32 v23, v17, 6, v0
	v_mov_b32_e32 v0, s7
	v_add_co_u32_e32 v1, vcc, s6, v5
	v_addc_co_u32_e32 v0, vcc, 0, v0, vcc
	v_mul_lo_u32 v4, s19, v1
	v_mul_lo_u32 v5, s18, v0
	v_mad_u64_u32 v[0:1], s[0:1], s18, v1, 0
	s_mul_i32 s0, s21, s8
	s_mul_hi_u32 s1, s20, s8
	v_add3_u32 v1, v1, v5, v4
	s_add_i32 s1, s1, s0
	s_mul_i32 s0, s20, s8
	v_lshlrev_b64 v[0:1], 3, v[0:1]
	s_lshl_b64 s[0:1], s[0:1], 3
	v_mov_b32_e32 v4, s1
	v_add_co_u32_e32 v0, vcc, s0, v0
	v_addc_co_u32_e32 v1, vcc, v1, v4, vcc
	v_lshlrev_b32_e32 v4, 3, v6
	v_add_co_u32_e32 v0, vcc, v0, v4
	v_addc_co_u32_e32 v1, vcc, 0, v1, vcc
	v_mov_b32_e32 v5, s17
	v_add_co_u32_e32 v4, vcc, s16, v0
	v_addc_co_u32_e32 v5, vcc, v5, v1, vcc
	v_mad_u64_u32 v[0:1], s[0:1], s24, v3, 0
	v_mul_lo_u32 v6, s25, v3
	v_mul_lo_u32 v2, s24, v2
	s_mul_i32 s0, s27, s8
	s_mul_hi_u32 s1, s26, s8
	v_add3_u32 v1, v1, v2, v6
	s_add_i32 s1, s1, s0
	s_mul_i32 s0, s26, s8
	v_lshlrev_b64 v[0:1], 3, v[0:1]
	s_lshl_b64 s[0:1], s[0:1], 3
	v_mov_b32_e32 v2, s1
	v_add_co_u32_e32 v0, vcc, s0, v0
	v_addc_co_u32_e32 v1, vcc, v1, v2, vcc
	v_add_co_u32_e32 v0, vcc, v0, v7
	v_addc_co_u32_e32 v1, vcc, 0, v1, vcc
	v_mov_b32_e32 v2, s23
	v_add_co_u32_e32 v6, vcc, s22, v0
	v_lshlrev_b32_e32 v22, 3, v16
	v_addc_co_u32_e32 v7, vcc, v2, v1, vcc
	s_mov_b64 s[0:1], 0
	v_mov_b32_e32 v1, 0
	v_pk_mov_b32 v[8:9], s[12:13], s[12:13] op_sel:[0,1]
	v_mov_b32_e32 v3, 0
	v_mov_b32_e32 v2, 0
	;; [unrolled: 1-line block ×7, first 2 shown]
.LBB99_2:                               ; =>This Inner Loop Header: Depth=1
	global_load_dwordx2 v[10:11], v[4:5], off
	global_load_dwordx2 v[12:13], v[6:7], off
	v_add_co_u32_e32 v4, vcc, 64, v4
	v_addc_co_u32_e32 v5, vcc, 0, v5, vcc
	s_add_u32 s0, s0, 8
	v_add_co_u32_e32 v6, vcc, 64, v6
	v_addc_co_u32_e32 v7, vcc, 0, v7, vcc
	s_addc_u32 s1, s1, 0
	v_cmp_lt_i64_e32 vcc, s[0:1], v[8:9]
	s_and_b64 vcc, exec, vcc
	s_waitcnt vmcnt(1)
	ds_write_b64 v20, v[10:11]
	s_waitcnt vmcnt(0)
	ds_write_b64 v21, v[12:13]
	s_waitcnt lgkmcnt(0)
	s_barrier
	ds_read_b128 v[10:13], v23
	ds_read_b128 v[24:27], v23 offset:16
	ds_read2_b64 v[28:31], v22 offset1:16
	ds_read2_b64 v[32:35], v22 offset0:32 offset1:48
	ds_read2_b64 v[36:39], v22 offset0:64 offset1:80
	ds_read_b128 v[40:43], v23 offset:1024
	ds_read_b128 v[44:47], v23 offset:1040
	ds_read2_b64 v[48:51], v22 offset0:96 offset1:112
	ds_read2_b64 v[52:55], v22 offset0:128 offset1:144
	;; [unrolled: 1-line block ×3, first 2 shown]
	ds_read_b128 v[60:63], v23 offset:32
	ds_read_b128 v[64:67], v23 offset:48
	ds_read2_b64 v[68:71], v22 offset0:192 offset1:208
	ds_read_b128 v[72:75], v23 offset:1056
	ds_read_b128 v[76:79], v23 offset:1072
	ds_read2_b64 v[80:83], v22 offset0:224 offset1:240
	s_waitcnt lgkmcnt(13)
	v_mul_f32_e32 v84, v11, v29
	v_mul_f32_e32 v85, v10, v29
	;; [unrolled: 1-line block ×4, first 2 shown]
	s_waitcnt lgkmcnt(10)
	v_mul_f32_e32 v88, v41, v29
	v_mul_f32_e32 v29, v40, v29
	;; [unrolled: 1-line block ×4, first 2 shown]
	v_fma_f32 v84, v10, v28, -v84
	v_fmac_f32_e32 v85, v11, v28
	v_fma_f32 v10, v10, v30, -v86
	v_fmac_f32_e32 v87, v11, v30
	;; [unrolled: 2-line block ×4, first 2 shown]
	v_mul_f32_e32 v30, v13, v33
	v_mul_f32_e32 v40, v12, v33
	;; [unrolled: 1-line block ×4, first 2 shown]
	v_fma_f32 v30, v12, v32, -v30
	v_fmac_f32_e32 v40, v13, v32
	v_fma_f32 v12, v12, v34, -v41
	v_fmac_f32_e32 v86, v13, v34
	v_mul_f32_e32 v13, v43, v33
	v_mul_f32_e32 v33, v42, v33
	;; [unrolled: 1-line block ×4, first 2 shown]
	v_fma_f32 v13, v42, v32, -v13
	v_fmac_f32_e32 v33, v43, v32
	v_fma_f32 v32, v42, v34, -v41
	v_fmac_f32_e32 v35, v43, v34
	v_mul_f32_e32 v34, v25, v37
	v_mul_f32_e32 v41, v24, v37
	;; [unrolled: 1-line block ×4, first 2 shown]
	s_waitcnt lgkmcnt(9)
	v_mul_f32_e32 v88, v45, v37
	v_mul_f32_e32 v37, v44, v37
	;; [unrolled: 1-line block ×4, first 2 shown]
	v_fma_f32 v34, v24, v36, -v34
	v_fmac_f32_e32 v41, v25, v36
	v_fma_f32 v24, v24, v38, -v42
	v_fmac_f32_e32 v43, v25, v38
	;; [unrolled: 2-line block ×4, first 2 shown]
	s_waitcnt lgkmcnt(8)
	v_mul_f32_e32 v38, v27, v49
	v_mul_f32_e32 v42, v26, v49
	;; [unrolled: 1-line block ×4, first 2 shown]
	v_fma_f32 v38, v26, v48, -v38
	v_fmac_f32_e32 v42, v27, v48
	v_fma_f32 v26, v26, v50, -v44
	v_fmac_f32_e32 v45, v27, v50
	v_mul_f32_e32 v27, v47, v49
	v_mul_f32_e32 v44, v46, v49
	;; [unrolled: 1-line block ×4, first 2 shown]
	v_fma_f32 v27, v46, v48, -v27
	v_fmac_f32_e32 v44, v47, v48
	v_fma_f32 v46, v46, v50, -v49
	v_fmac_f32_e32 v51, v47, v50
	s_waitcnt lgkmcnt(5)
	v_mul_f32_e32 v47, v61, v53
	v_mul_f32_e32 v48, v60, v53
	;; [unrolled: 1-line block ×4, first 2 shown]
	s_waitcnt lgkmcnt(2)
	v_mul_f32_e32 v88, v73, v53
	v_mul_f32_e32 v53, v72, v53
	;; [unrolled: 1-line block ×4, first 2 shown]
	v_add_f32_e32 v0, v0, v11
	v_add_f32_e32 v2, v2, v29
	;; [unrolled: 1-line block ×8, first 2 shown]
	v_fma_f32 v47, v60, v52, -v47
	v_fmac_f32_e32 v48, v61, v52
	v_fma_f32 v49, v60, v54, -v49
	v_fmac_f32_e32 v50, v61, v54
	v_fma_f32 v60, v72, v52, -v88
	v_fmac_f32_e32 v53, v73, v52
	v_fma_f32 v52, v72, v54, -v89
	v_fmac_f32_e32 v55, v73, v54
	v_mul_f32_e32 v54, v63, v57
	v_mul_f32_e32 v61, v62, v57
	;; [unrolled: 1-line block ×4, first 2 shown]
	v_add_f32_e32 v11, v11, v30
	v_add_f32_e32 v15, v18, v40
	;; [unrolled: 1-line block ×8, first 2 shown]
	v_fma_f32 v54, v62, v56, -v54
	v_fmac_f32_e32 v61, v63, v56
	v_fma_f32 v62, v62, v58, -v72
	v_fmac_f32_e32 v73, v63, v58
	v_mul_f32_e32 v63, v75, v57
	v_mul_f32_e32 v57, v74, v57
	;; [unrolled: 1-line block ×4, first 2 shown]
	v_add_f32_e32 v11, v11, v34
	v_add_f32_e32 v13, v15, v41
	;; [unrolled: 1-line block ×8, first 2 shown]
	v_fma_f32 v63, v74, v56, -v63
	v_fmac_f32_e32 v57, v75, v56
	v_fma_f32 v56, v74, v58, -v72
	v_fmac_f32_e32 v59, v75, v58
	v_mul_f32_e32 v58, v65, v69
	v_mul_f32_e32 v72, v64, v69
	;; [unrolled: 1-line block ×4, first 2 shown]
	s_waitcnt lgkmcnt(1)
	v_mul_f32_e32 v88, v77, v69
	v_mul_f32_e32 v69, v76, v69
	;; [unrolled: 1-line block ×4, first 2 shown]
	v_add_f32_e32 v11, v11, v38
	v_add_f32_e32 v13, v13, v42
	;; [unrolled: 1-line block ×8, first 2 shown]
	v_fma_f32 v58, v64, v68, -v58
	v_fmac_f32_e32 v72, v65, v68
	v_fma_f32 v64, v64, v70, -v74
	v_fmac_f32_e32 v75, v65, v70
	;; [unrolled: 2-line block ×4, first 2 shown]
	s_waitcnt lgkmcnt(0)
	v_mul_f32_e32 v70, v67, v81
	v_mul_f32_e32 v74, v66, v81
	;; [unrolled: 1-line block ×4, first 2 shown]
	v_add_f32_e32 v11, v11, v47
	v_add_f32_e32 v13, v13, v48
	;; [unrolled: 1-line block ×8, first 2 shown]
	v_fma_f32 v70, v66, v80, -v70
	v_fmac_f32_e32 v74, v67, v80
	v_fma_f32 v66, v66, v82, -v76
	v_fmac_f32_e32 v77, v67, v82
	v_mul_f32_e32 v67, v79, v81
	v_mul_f32_e32 v76, v78, v81
	;; [unrolled: 1-line block ×4, first 2 shown]
	v_add_f32_e32 v11, v11, v54
	v_add_f32_e32 v13, v13, v61
	;; [unrolled: 1-line block ×8, first 2 shown]
	v_fma_f32 v67, v78, v80, -v67
	v_fmac_f32_e32 v76, v79, v80
	v_fma_f32 v78, v78, v82, -v81
	v_fmac_f32_e32 v83, v79, v82
	v_add_f32_e32 v11, v11, v58
	v_add_f32_e32 v13, v13, v72
	;; [unrolled: 1-line block ×16, first 2 shown]
	s_barrier
	s_cbranch_vccnz .LBB99_2
	s_branch .LBB99_4
.LBB99_3:
	v_mov_b32_e32 v18, 0
	v_mov_b32_e32 v19, 0
	;; [unrolled: 1-line block ×8, first 2 shown]
.LBB99_4:
	s_load_dwordx4 s[0:3], s[4:5], 0x78
	s_load_dwordx8 s[16:23], s[4:5], 0x58
	v_mov_b32_e32 v4, s29
	v_add_co_u32_e32 v8, vcc, s28, v17
	s_waitcnt lgkmcnt(0)
	s_mul_i32 s3, s8, s3
	s_mul_hi_u32 s4, s8, s2
	s_mul_i32 s2, s8, s2
	s_add_i32 s3, s4, s3
	s_lshl_b64 s[2:3], s[2:3], 3
	s_add_u32 s4, s22, s2
	s_addc_u32 s5, s23, s3
	v_addc_co_u32_e32 v9, vcc, 0, v4, vcc
	s_or_b32 s2, s10, s11
	s_bitset0_b32 s2, 31
	v_mov_b32_e32 v5, s7
	v_add_co_u32_e32 v4, vcc, s6, v16
	s_cmp_lg_u32 s2, 0
	v_addc_co_u32_e32 v5, vcc, 0, v5, vcc
	s_cbranch_scc1 .LBB99_6
; %bb.5:
	v_mul_lo_u32 v10, v9, s0
	v_mul_lo_u32 v11, v8, s1
	v_mad_u64_u32 v[6:7], s[2:3], v8, s0, 0
	v_add3_u32 v7, v7, v11, v10
	v_lshlrev_b64 v[6:7], 3, v[6:7]
	v_mov_b32_e32 v10, s5
	v_add_co_u32_e32 v12, vcc, s4, v6
	v_addc_co_u32_e32 v13, vcc, v10, v7, vcc
	v_lshlrev_b64 v[10:11], 3, v[4:5]
	v_mul_f32_e32 v6, s15, v19
	v_mul_f32_e32 v7, s14, v19
	v_add_co_u32_e32 v10, vcc, v12, v10
	v_fma_f32 v6, v18, s14, -v6
	v_fmac_f32_e32 v7, s15, v18
	v_addc_co_u32_e32 v11, vcc, v13, v11, vcc
	global_store_dwordx2 v[10:11], v[6:7], off
	v_mul_f32_e32 v6, s15, v15
	v_mul_f32_e32 v7, s14, v15
	v_fma_f32 v6, v14, s14, -v6
	v_fmac_f32_e32 v7, s15, v14
	s_lshl_b64 s[2:3], s[0:1], 7
	global_store_dwordx2 v[10:11], v[6:7], off offset:128
	v_mul_f32_e32 v6, s15, v2
	v_mul_f32_e32 v7, s14, v2
	v_mov_b32_e32 v13, s3
	v_add_co_u32_e32 v12, vcc, s2, v10
	v_fma_f32 v6, v0, s14, -v6
	v_fmac_f32_e32 v7, s15, v0
	v_addc_co_u32_e32 v13, vcc, v11, v13, vcc
	global_store_dwordx2 v[12:13], v[6:7], off
	v_mul_f32_e32 v6, s15, v1
	v_fma_f32 v11, v3, s14, -v6
	v_mul_f32_e32 v10, s14, v1
	v_add_co_u32_e32 v6, vcc, 0x80, v12
	v_fmac_f32_e32 v10, s15, v3
	v_addc_co_u32_e32 v7, vcc, 0, v13, vcc
	global_store_dword v[12:13], v11, off offset:128
	s_cbranch_execz .LBB99_7
	s_branch .LBB99_8
.LBB99_6:
                                        ; implicit-def: $vgpr10
                                        ; implicit-def: $vgpr6_vgpr7
.LBB99_7:
	s_mul_i32 s2, s8, s21
	s_mul_hi_u32 s3, s8, s20
	s_add_i32 s3, s3, s2
	s_mul_i32 s2, s8, s20
	s_lshl_b64 s[2:3], s[2:3], 3
	s_add_u32 s6, s16, s2
	s_addc_u32 s7, s17, s3
	v_mul_lo_u32 v10, v9, s18
	v_mul_lo_u32 v11, v8, s19
	v_mad_u64_u32 v[6:7], s[2:3], v8, s18, 0
	v_add3_u32 v7, v7, v11, v10
	v_lshlrev_b64 v[6:7], 3, v[6:7]
	v_mov_b32_e32 v10, s7
	v_add_co_u32_e32 v6, vcc, s6, v6
	v_addc_co_u32_e32 v7, vcc, v10, v7, vcc
	v_lshlrev_b64 v[4:5], 3, v[4:5]
	v_add_co_u32_e32 v6, vcc, v6, v4
	v_addc_co_u32_e32 v7, vcc, v7, v5, vcc
	global_load_dwordx2 v[10:11], v[6:7], off
	v_mul_lo_u32 v12, v9, s0
	v_mul_lo_u32 v13, v8, s1
	v_mad_u64_u32 v[8:9], s[2:3], v8, s0, 0
	v_add3_u32 v9, v9, v13, v12
	v_lshlrev_b64 v[8:9], 3, v[8:9]
	v_mov_b32_e32 v16, s5
	v_add_co_u32_e32 v8, vcc, s4, v8
	v_addc_co_u32_e32 v9, vcc, v16, v9, vcc
	v_add_co_u32_e32 v4, vcc, v8, v4
	v_mul_f32_e32 v17, s15, v19
	v_mul_f32_e32 v19, s14, v19
	v_addc_co_u32_e32 v5, vcc, v9, v5, vcc
	v_fma_f32 v12, v18, s14, -v17
	v_fmac_f32_e32 v19, s15, v18
	s_lshl_b64 s[2:3], s[18:19], 7
	s_lshl_b64 s[0:1], s[0:1], 7
	s_waitcnt vmcnt(0)
	v_mul_f32_e32 v8, s11, v11
	v_mul_f32_e32 v9, s10, v11
	v_fma_f32 v8, v10, s10, -v8
	v_fmac_f32_e32 v9, s11, v10
	v_add_f32_e32 v8, v12, v8
	v_add_f32_e32 v9, v19, v9
	global_store_dwordx2 v[4:5], v[8:9], off
	global_load_dwordx2 v[8:9], v[6:7], off offset:128
	v_mov_b32_e32 v12, s3
	v_add_co_u32_e32 v6, vcc, s2, v6
	v_mul_f32_e32 v10, s15, v15
	v_mul_f32_e32 v11, s14, v15
	v_addc_co_u32_e32 v7, vcc, v7, v12, vcc
	v_fma_f32 v10, v14, s14, -v10
	v_fmac_f32_e32 v11, s15, v14
	s_waitcnt vmcnt(0)
	v_mul_f32_e32 v12, s11, v9
	v_mul_f32_e32 v9, s10, v9
	v_fma_f32 v12, v8, s10, -v12
	v_fmac_f32_e32 v9, s11, v8
	v_add_f32_e32 v8, v10, v12
	v_add_f32_e32 v9, v11, v9
	global_store_dwordx2 v[4:5], v[8:9], off offset:128
	global_load_dwordx2 v[8:9], v[6:7], off
	v_pk_mul_f32 v[10:11], v[2:3], s[14:15] op_sel_hi:[0,1]
	v_pk_fma_f32 v[12:13], v[0:1], s[14:15], v[10:11] op_sel:[0,0,1] op_sel_hi:[1,1,0] neg_lo:[0,0,1] neg_hi:[0,0,1]
	v_pk_fma_f32 v[10:11], v[0:1], s[14:15], v[10:11] op_sel:[0,0,1] op_sel_hi:[0,1,0]
	v_mov_b32_e32 v13, v11
	v_mov_b32_e32 v0, s1
	v_add_co_u32_e32 v4, vcc, s0, v4
	v_addc_co_u32_e32 v5, vcc, v5, v0, vcc
	v_mul_f32_e32 v0, s15, v1
	v_mul_f32_e32 v2, s14, v1
	v_fmac_f32_e32 v2, s15, v3
	s_waitcnt vmcnt(0)
	v_pk_mul_f32 v[10:11], v[8:9], s[10:11] op_sel:[0,1]
	v_pk_fma_f32 v[14:15], v[8:9], s[10:11], v[10:11] op_sel:[0,0,1] op_sel_hi:[1,1,0] neg_lo:[0,0,1] neg_hi:[0,0,1]
	v_pk_fma_f32 v[8:9], v[8:9], s[10:11], v[10:11] op_sel:[0,0,1] op_sel_hi:[1,0,0]
	v_mov_b32_e32 v15, v9
	v_pk_add_f32 v[8:9], v[12:13], v[14:15]
	global_store_dwordx2 v[4:5], v[8:9], off
	global_load_dwordx2 v[8:9], v[6:7], off offset:128
	v_fma_f32 v7, v3, s14, -v0
	v_add_co_u32_e32 v6, vcc, 0x80, v4
	s_waitcnt vmcnt(0)
	v_mul_f32_e32 v3, s10, v8
	v_pk_mul_f32 v[0:1], v[8:9], s[10:11] op_sel:[0,1] op_sel_hi:[1,0]
	v_fma_f32 v3, -v9, s11, v3
	v_add_f32_e32 v0, v0, v1
	v_add_f32_e32 v1, v7, v3
	;; [unrolled: 1-line block ×3, first 2 shown]
	v_addc_co_u32_e32 v7, vcc, 0, v5, vcc
	global_store_dword v[4:5], v1, off offset:128
.LBB99_8:
	global_store_dword v[6:7], v10, off offset:4
	s_endpgm
	.section	.rodata,"a",@progbits
	.p2align	6, 0x0
	.amdhsa_kernel _ZN12_GLOBAL__N_127rocblas_gemm_batched_kernelI19rocblas_complex_numIfELi16ELi16ELi32ELi32ELi8ELi32ELi8ELi8ELi32ELc84ELc78EKS2_S3_S2_EEvlllT_PT11_llS6_llS4_PT12_llPT13_lli
		.amdhsa_group_segment_fixed_size 4096
		.amdhsa_private_segment_fixed_size 0
		.amdhsa_kernarg_size 140
		.amdhsa_user_sgpr_count 6
		.amdhsa_user_sgpr_private_segment_buffer 1
		.amdhsa_user_sgpr_dispatch_ptr 0
		.amdhsa_user_sgpr_queue_ptr 0
		.amdhsa_user_sgpr_kernarg_segment_ptr 1
		.amdhsa_user_sgpr_dispatch_id 0
		.amdhsa_user_sgpr_flat_scratch_init 0
		.amdhsa_user_sgpr_kernarg_preload_length 0
		.amdhsa_user_sgpr_kernarg_preload_offset 0
		.amdhsa_user_sgpr_private_segment_size 0
		.amdhsa_uses_dynamic_stack 0
		.amdhsa_system_sgpr_private_segment_wavefront_offset 0
		.amdhsa_system_sgpr_workgroup_id_x 1
		.amdhsa_system_sgpr_workgroup_id_y 1
		.amdhsa_system_sgpr_workgroup_id_z 1
		.amdhsa_system_sgpr_workgroup_info 0
		.amdhsa_system_vgpr_workitem_id 1
		.amdhsa_next_free_vgpr 90
		.amdhsa_next_free_sgpr 30
		.amdhsa_accum_offset 92
		.amdhsa_reserve_vcc 1
		.amdhsa_reserve_flat_scratch 0
		.amdhsa_float_round_mode_32 0
		.amdhsa_float_round_mode_16_64 0
		.amdhsa_float_denorm_mode_32 3
		.amdhsa_float_denorm_mode_16_64 3
		.amdhsa_dx10_clamp 1
		.amdhsa_ieee_mode 1
		.amdhsa_fp16_overflow 0
		.amdhsa_tg_split 0
		.amdhsa_exception_fp_ieee_invalid_op 0
		.amdhsa_exception_fp_denorm_src 0
		.amdhsa_exception_fp_ieee_div_zero 0
		.amdhsa_exception_fp_ieee_overflow 0
		.amdhsa_exception_fp_ieee_underflow 0
		.amdhsa_exception_fp_ieee_inexact 0
		.amdhsa_exception_int_div_zero 0
	.end_amdhsa_kernel
	.section	.text._ZN12_GLOBAL__N_127rocblas_gemm_batched_kernelI19rocblas_complex_numIfELi16ELi16ELi32ELi32ELi8ELi32ELi8ELi8ELi32ELc84ELc78EKS2_S3_S2_EEvlllT_PT11_llS6_llS4_PT12_llPT13_lli,"axG",@progbits,_ZN12_GLOBAL__N_127rocblas_gemm_batched_kernelI19rocblas_complex_numIfELi16ELi16ELi32ELi32ELi8ELi32ELi8ELi8ELi32ELc84ELc78EKS2_S3_S2_EEvlllT_PT11_llS6_llS4_PT12_llPT13_lli,comdat
.Lfunc_end99:
	.size	_ZN12_GLOBAL__N_127rocblas_gemm_batched_kernelI19rocblas_complex_numIfELi16ELi16ELi32ELi32ELi8ELi32ELi8ELi8ELi32ELc84ELc78EKS2_S3_S2_EEvlllT_PT11_llS6_llS4_PT12_llPT13_lli, .Lfunc_end99-_ZN12_GLOBAL__N_127rocblas_gemm_batched_kernelI19rocblas_complex_numIfELi16ELi16ELi32ELi32ELi8ELi32ELi8ELi8ELi32ELc84ELc78EKS2_S3_S2_EEvlllT_PT11_llS6_llS4_PT12_llPT13_lli
                                        ; -- End function
	.section	.AMDGPU.csdata,"",@progbits
; Kernel info:
; codeLenInByte = 2392
; NumSgprs: 34
; NumVgprs: 90
; NumAgprs: 0
; TotalNumVgprs: 90
; ScratchSize: 0
; MemoryBound: 0
; FloatMode: 240
; IeeeMode: 1
; LDSByteSize: 4096 bytes/workgroup (compile time only)
; SGPRBlocks: 4
; VGPRBlocks: 11
; NumSGPRsForWavesPerEU: 34
; NumVGPRsForWavesPerEU: 90
; AccumOffset: 92
; Occupancy: 5
; WaveLimiterHint : 1
; COMPUTE_PGM_RSRC2:SCRATCH_EN: 0
; COMPUTE_PGM_RSRC2:USER_SGPR: 6
; COMPUTE_PGM_RSRC2:TRAP_HANDLER: 0
; COMPUTE_PGM_RSRC2:TGID_X_EN: 1
; COMPUTE_PGM_RSRC2:TGID_Y_EN: 1
; COMPUTE_PGM_RSRC2:TGID_Z_EN: 1
; COMPUTE_PGM_RSRC2:TIDIG_COMP_CNT: 1
; COMPUTE_PGM_RSRC3_GFX90A:ACCUM_OFFSET: 22
; COMPUTE_PGM_RSRC3_GFX90A:TG_SPLIT: 0
	.section	.text._ZN12_GLOBAL__N_127rocblas_gemm_batched_kernelI19rocblas_complex_numIfELi16ELi16ELi32ELi32ELi8ELi32ELi8ELi8ELi32ELc78ELc84EKS2_S3_S2_EEvlllT_PT11_llS6_llS4_PT12_llPT13_lli,"axG",@progbits,_ZN12_GLOBAL__N_127rocblas_gemm_batched_kernelI19rocblas_complex_numIfELi16ELi16ELi32ELi32ELi8ELi32ELi8ELi8ELi32ELc78ELc84EKS2_S3_S2_EEvlllT_PT11_llS6_llS4_PT12_llPT13_lli,comdat
	.globl	_ZN12_GLOBAL__N_127rocblas_gemm_batched_kernelI19rocblas_complex_numIfELi16ELi16ELi32ELi32ELi8ELi32ELi8ELi8ELi32ELc78ELc84EKS2_S3_S2_EEvlllT_PT11_llS6_llS4_PT12_llPT13_lli ; -- Begin function _ZN12_GLOBAL__N_127rocblas_gemm_batched_kernelI19rocblas_complex_numIfELi16ELi16ELi32ELi32ELi8ELi32ELi8ELi8ELi32ELc78ELc84EKS2_S3_S2_EEvlllT_PT11_llS6_llS4_PT12_llPT13_lli
	.p2align	8
	.type	_ZN12_GLOBAL__N_127rocblas_gemm_batched_kernelI19rocblas_complex_numIfELi16ELi16ELi32ELi32ELi8ELi32ELi8ELi8ELi32ELc78ELc84EKS2_S3_S2_EEvlllT_PT11_llS6_llS4_PT12_llPT13_lli,@function
_ZN12_GLOBAL__N_127rocblas_gemm_batched_kernelI19rocblas_complex_numIfELi16ELi16ELi32ELi32ELi8ELi32ELi8ELi8ELi32ELc78ELc84EKS2_S3_S2_EEvlllT_PT11_llS6_llS4_PT12_llPT13_lli: ; @_ZN12_GLOBAL__N_127rocblas_gemm_batched_kernelI19rocblas_complex_numIfELi16ELi16ELi32ELi32ELi8ELi32ELi8ELi8ELi32ELc78ELc84EKS2_S3_S2_EEvlllT_PT11_llS6_llS4_PT12_llPT13_lli
; %bb.0:
	s_load_dwordx16 s[12:27], s[4:5], 0x10
	s_load_dwordx2 s[10:11], s[4:5], 0x50
	s_mov_b32 s0, s7
	s_ashr_i32 s1, s0, 31
	s_ashr_i32 s7, s6, 31
	s_lshl_b64 s[28:29], s[0:1], 5
	s_waitcnt lgkmcnt(0)
	v_cmp_lt_i64_e64 s[0:1], s[12:13], 1
	v_bfe_u32 v49, v0, 10, 10
	v_and_b32_e32 v48, 0x3ff, v0
	s_lshl_b64 s[6:7], s[6:7], 5
	s_and_b64 vcc, exec, s[0:1]
	s_cbranch_vccnz .LBB100_3
; %bb.1:
	v_lshl_add_u32 v4, v49, 4, v48
	v_lshrrev_b32_e32 v5, 3, v4
	v_mov_b32_e32 v1, s29
	v_add_co_u32_e32 v0, vcc, s28, v5
	v_addc_co_u32_e32 v1, vcc, 0, v1, vcc
	v_and_b32_e32 v6, 7, v48
	v_mad_u64_u32 v[0:1], s[0:1], v6, s24, v[0:1]
	v_mov_b32_e32 v2, v1
	v_mad_u64_u32 v[2:3], s[0:1], v6, s25, v[2:3]
	v_and_b32_e32 v7, 31, v4
	v_mov_b32_e32 v1, v2
	v_lshrrev_b32_e32 v8, 5, v4
	v_lshlrev_b32_e32 v2, 3, v7
	v_lshl_or_b32 v52, v8, 8, v2
	v_lshlrev_b32_e32 v2, 3, v6
	v_lshl_or_b32 v2, v5, 6, v2
	v_add_u32_e32 v53, 0x800, v2
	v_mov_b32_e32 v2, 0x800
	v_lshl_add_u32 v55, v49, 6, v2
	v_pk_mov_b32 v[2:3], s[6:7], s[6:7] op_sel:[0,1]
	v_mad_u64_u32 v[2:3], s[2:3], v8, s18, v[2:3]
	s_mul_i32 s0, s21, s8
	s_mul_hi_u32 s1, s20, s8
	v_mov_b32_e32 v4, v3
	s_add_i32 s1, s1, s0
	s_mul_i32 s0, s20, s8
	v_mad_u64_u32 v[4:5], s[2:3], v8, s19, v[4:5]
	s_lshl_b64 s[0:1], s[0:1], 3
	v_mov_b32_e32 v3, v4
	v_add_co_u32_e32 v2, vcc, v2, v7
	v_addc_co_u32_e32 v3, vcc, 0, v3, vcc
	s_add_u32 s0, s16, s0
	s_mul_i32 s2, s27, s8
	s_mul_hi_u32 s3, s26, s8
	v_lshlrev_b64 v[2:3], 3, v[2:3]
	s_addc_u32 s1, s17, s1
	s_add_i32 s3, s3, s2
	s_mul_i32 s2, s26, s8
	v_mov_b32_e32 v4, s1
	v_add_co_u32_e32 v40, vcc, s0, v2
	s_lshl_b64 s[0:1], s[18:19], 6
	s_lshl_b64 s[2:3], s[2:3], 3
	s_add_u32 s2, s22, s2
	v_addc_co_u32_e32 v41, vcc, v4, v3, vcc
	v_lshlrev_b64 v[0:1], 3, v[0:1]
	s_addc_u32 s3, s23, s3
	v_mov_b32_e32 v2, s3
	v_add_co_u32_e32 v42, vcc, s2, v0
	s_lshl_b64 s[2:3], s[24:25], 6
	v_lshlrev_b32_e32 v54, 3, v48
	v_addc_co_u32_e32 v43, vcc, v2, v1, vcc
	s_mov_b64 s[16:17], 0
	v_mov_b32_e32 v37, 0
	v_mov_b32_e32 v56, s1
	;; [unrolled: 1-line block ×3, first 2 shown]
	v_pk_mov_b32 v[44:45], s[12:13], s[12:13] op_sel:[0,1]
	v_mov_b32_e32 v39, 0
	v_mov_b32_e32 v38, 0
	;; [unrolled: 1-line block ×7, first 2 shown]
.LBB100_2:                              ; =>This Inner Loop Header: Depth=1
	global_load_dwordx2 v[0:1], v[40:41], off
	global_load_dwordx2 v[2:3], v[42:43], off
	v_add_co_u32_e32 v40, vcc, s0, v40
	v_addc_co_u32_e32 v41, vcc, v41, v56, vcc
	s_add_u32 s16, s16, 8
	v_add_co_u32_e32 v42, vcc, s2, v42
	v_addc_co_u32_e32 v43, vcc, v43, v57, vcc
	s_addc_u32 s17, s17, 0
	v_cmp_lt_i64_e32 vcc, s[16:17], v[44:45]
	s_and_b64 vcc, exec, vcc
	s_waitcnt vmcnt(1)
	ds_write_b64 v52, v[0:1]
	s_waitcnt vmcnt(0)
	ds_write_b64 v53, v[2:3]
	s_waitcnt lgkmcnt(0)
	s_barrier
	ds_read_b128 v[4:7], v55
	ds_read_b128 v[0:3], v55 offset:16
	ds_read2_b64 v[8:11], v54 offset1:16
	ds_read2_b64 v[12:15], v54 offset0:32 offset1:48
	ds_read2_b64 v[16:19], v54 offset0:64 offset1:80
	ds_read_b128 v[24:27], v55 offset:1024
	ds_read_b128 v[20:23], v55 offset:1040
	ds_read2_b64 v[28:31], v54 offset0:96 offset1:112
	ds_read2_b64 v[32:35], v54 offset0:128 offset1:144
	;; [unrolled: 1-line block ×3, first 2 shown]
	ds_read_b128 v[62:65], v55 offset:32
	ds_read_b128 v[66:69], v55 offset:48
	ds_read2_b64 v[70:73], v54 offset0:192 offset1:208
	ds_read_b128 v[74:77], v55 offset:1056
	ds_read_b128 v[78:81], v55 offset:1072
	s_waitcnt lgkmcnt(12)
	v_mul_f32_e32 v82, v5, v9
	v_mul_f32_e32 v83, v4, v9
	;; [unrolled: 1-line block ×4, first 2 shown]
	s_waitcnt lgkmcnt(9)
	v_mul_f32_e32 v86, v25, v9
	v_mul_f32_e32 v9, v24, v9
	;; [unrolled: 1-line block ×6, first 2 shown]
	v_fma_f32 v82, v4, v8, -v82
	v_fmac_f32_e32 v83, v5, v8
	v_fma_f32 v4, v4, v10, -v84
	v_fmac_f32_e32 v85, v5, v10
	;; [unrolled: 2-line block ×4, first 2 shown]
	v_mul_f32_e32 v10, v7, v15
	v_mul_f32_e32 v24, v6, v15
	;; [unrolled: 1-line block ×4, first 2 shown]
	v_fma_f32 v84, v6, v12, -v88
	v_fmac_f32_e32 v89, v7, v12
	v_fma_f32 v6, v6, v14, -v10
	v_fmac_f32_e32 v24, v7, v14
	v_mul_f32_e32 v7, v27, v15
	v_mul_f32_e32 v10, v26, v15
	;; [unrolled: 1-line block ×3, first 2 shown]
	v_fma_f32 v25, v26, v12, -v25
	v_fmac_f32_e32 v13, v27, v12
	v_mul_f32_e32 v12, v1, v19
	v_mul_f32_e32 v86, v0, v17
	v_fma_f32 v7, v26, v14, -v7
	v_fmac_f32_e32 v10, v27, v14
	v_mul_f32_e32 v14, v0, v19
	s_waitcnt lgkmcnt(8)
	v_mul_f32_e32 v26, v21, v17
	v_mul_f32_e32 v17, v20, v17
	;; [unrolled: 1-line block ×3, first 2 shown]
	v_fma_f32 v15, v0, v16, -v15
	v_fma_f32 v12, v0, v18, -v12
	s_waitcnt lgkmcnt(7)
	v_mul_f32_e32 v0, v3, v31
	v_mul_f32_e32 v19, v20, v19
	;; [unrolled: 1-line block ×3, first 2 shown]
	v_fmac_f32_e32 v86, v1, v16
	v_fmac_f32_e32 v14, v1, v18
	v_fma_f32 v26, v20, v16, -v26
	v_fmac_f32_e32 v17, v21, v16
	v_fma_f32 v16, v20, v18, -v27
	v_mul_f32_e32 v1, v23, v29
	v_fma_f32 v27, v2, v30, -v0
	v_mul_f32_e32 v0, v23, v31
	v_mul_f32_e32 v88, v2, v29
	v_fmac_f32_e32 v19, v21, v18
	v_mul_f32_e32 v18, v2, v31
	v_mul_f32_e32 v20, v22, v29
	v_fma_f32 v21, v2, v28, -v87
	v_mul_f32_e32 v29, v22, v31
	s_waitcnt lgkmcnt(4)
	v_mul_f32_e32 v2, v63, v33
	v_fma_f32 v87, v22, v28, -v1
	v_fma_f32 v22, v22, v30, -v0
	v_mul_f32_e32 v0, v63, v35
	v_fmac_f32_e32 v88, v3, v28
	v_fmac_f32_e32 v18, v3, v30
	v_mul_f32_e32 v31, v62, v33
	v_fmac_f32_e32 v20, v23, v28
	v_fmac_f32_e32 v29, v23, v30
	v_mul_f32_e32 v23, v62, v35
	s_waitcnt lgkmcnt(1)
	v_mul_f32_e32 v1, v75, v33
	v_mul_f32_e32 v28, v74, v33
	;; [unrolled: 1-line block ×5, first 2 shown]
	v_fma_f32 v90, v62, v32, -v2
	v_fma_f32 v62, v62, v34, -v0
	v_mul_f32_e32 v0, v65, v61
	v_mul_f32_e32 v35, v64, v59
	v_fmac_f32_e32 v31, v63, v32
	v_fmac_f32_e32 v23, v63, v34
	v_fma_f32 v63, v74, v32, -v1
	v_fmac_f32_e32 v28, v75, v32
	v_fma_f32 v32, v74, v34, -v3
	v_fmac_f32_e32 v30, v75, v34
	v_mul_f32_e32 v34, v64, v61
	v_mul_f32_e32 v1, v77, v59
	;; [unrolled: 1-line block ×3, first 2 shown]
	v_fma_f32 v33, v64, v58, -v33
	v_fma_f32 v64, v64, v60, -v0
	v_mul_f32_e32 v0, v77, v61
	v_mul_f32_e32 v61, v76, v61
	v_fmac_f32_e32 v35, v65, v58
	v_fmac_f32_e32 v34, v65, v60
	v_mul_f32_e32 v2, v67, v71
	v_mul_f32_e32 v65, v66, v71
	v_fma_f32 v74, v76, v58, -v1
	v_fmac_f32_e32 v59, v77, v58
	v_fma_f32 v58, v76, v60, -v0
	v_fmac_f32_e32 v61, v77, v60
	v_mul_f32_e32 v0, v67, v73
	v_mul_f32_e32 v60, v66, v73
	s_waitcnt lgkmcnt(0)
	v_mul_f32_e32 v1, v79, v71
	v_mul_f32_e32 v71, v78, v71
	;; [unrolled: 1-line block ×3, first 2 shown]
	v_fma_f32 v75, v66, v70, -v2
	v_fmac_f32_e32 v65, v67, v70
	v_fma_f32 v66, v66, v72, -v0
	v_fmac_f32_e32 v60, v67, v72
	;; [unrolled: 2-line block ×3, first 2 shown]
	v_fma_f32 v70, v78, v72, -v3
	ds_read2_b64 v[0:3], v54 offset0:224 offset1:240
	v_mul_f32_e32 v73, v78, v73
	v_fmac_f32_e32 v73, v79, v72
	v_add_f32_e32 v4, v46, v4
	v_add_f32_e32 v8, v39, v8
	s_waitcnt lgkmcnt(0)
	v_mul_f32_e32 v72, v69, v1
	v_mul_f32_e32 v77, v69, v3
	;; [unrolled: 1-line block ×3, first 2 shown]
	v_fma_f32 v72, v68, v0, -v72
	v_fma_f32 v77, v68, v2, -v77
	v_mul_f32_e32 v68, v68, v3
	v_fmac_f32_e32 v76, v69, v0
	v_fmac_f32_e32 v68, v69, v2
	v_mul_f32_e32 v69, v81, v1
	v_mul_f32_e32 v1, v80, v1
	v_fma_f32 v69, v80, v0, -v69
	v_fmac_f32_e32 v1, v81, v0
	v_mul_f32_e32 v0, v81, v3
	v_mul_f32_e32 v3, v80, v3
	v_fma_f32 v0, v80, v2, -v0
	v_fmac_f32_e32 v3, v81, v2
	v_add_f32_e32 v2, v36, v5
	v_add_f32_e32 v5, v38, v9
	;; [unrolled: 1-line block ×62, first 2 shown]
	s_barrier
	s_cbranch_vccnz .LBB100_2
	s_branch .LBB100_4
.LBB100_3:
	v_mov_b32_e32 v50, 0
	v_mov_b32_e32 v51, 0
	;; [unrolled: 1-line block ×8, first 2 shown]
.LBB100_4:
	s_load_dwordx4 s[0:3], s[4:5], 0x78
	s_load_dwordx8 s[16:23], s[4:5], 0x58
	v_mov_b32_e32 v0, s29
	v_add_co_u32_e32 v4, vcc, s28, v49
	s_waitcnt lgkmcnt(0)
	s_mul_i32 s3, s8, s3
	s_mul_hi_u32 s4, s8, s2
	s_mul_i32 s2, s8, s2
	s_add_i32 s3, s4, s3
	s_lshl_b64 s[2:3], s[2:3], 3
	s_add_u32 s4, s22, s2
	s_addc_u32 s5, s23, s3
	v_addc_co_u32_e32 v5, vcc, 0, v0, vcc
	s_or_b32 s2, s10, s11
	s_bitset0_b32 s2, 31
	v_mov_b32_e32 v1, s7
	v_add_co_u32_e32 v0, vcc, s6, v48
	s_cmp_lg_u32 s2, 0
	v_addc_co_u32_e32 v1, vcc, 0, v1, vcc
	s_cbranch_scc1 .LBB100_6
; %bb.5:
	v_mul_lo_u32 v6, v5, s0
	v_mul_lo_u32 v7, v4, s1
	v_mad_u64_u32 v[2:3], s[2:3], v4, s0, 0
	v_add3_u32 v3, v3, v7, v6
	v_lshlrev_b64 v[2:3], 3, v[2:3]
	v_mov_b32_e32 v6, s5
	v_add_co_u32_e32 v8, vcc, s4, v2
	v_addc_co_u32_e32 v9, vcc, v6, v3, vcc
	v_lshlrev_b64 v[6:7], 3, v[0:1]
	v_mul_f32_e32 v2, s15, v51
	v_mul_f32_e32 v3, s14, v51
	v_add_co_u32_e32 v6, vcc, v8, v6
	v_fma_f32 v2, v50, s14, -v2
	v_fmac_f32_e32 v3, s15, v50
	v_addc_co_u32_e32 v7, vcc, v9, v7, vcc
	global_store_dwordx2 v[6:7], v[2:3], off
	v_mul_f32_e32 v2, s15, v47
	v_mul_f32_e32 v3, s14, v47
	v_fma_f32 v2, v46, s14, -v2
	v_fmac_f32_e32 v3, s15, v46
	s_lshl_b64 s[2:3], s[0:1], 7
	global_store_dwordx2 v[6:7], v[2:3], off offset:128
	v_mul_f32_e32 v2, s15, v38
	v_mul_f32_e32 v3, s14, v38
	v_mov_b32_e32 v9, s3
	v_add_co_u32_e32 v8, vcc, s2, v6
	v_fma_f32 v2, v36, s14, -v2
	v_fmac_f32_e32 v3, s15, v36
	v_addc_co_u32_e32 v9, vcc, v7, v9, vcc
	global_store_dwordx2 v[8:9], v[2:3], off
	v_mul_f32_e32 v2, s15, v37
	v_fma_f32 v7, v39, s14, -v2
	v_mul_f32_e32 v6, s14, v37
	v_add_co_u32_e32 v2, vcc, 0x80, v8
	v_fmac_f32_e32 v6, s15, v39
	v_addc_co_u32_e32 v3, vcc, 0, v9, vcc
	global_store_dword v[8:9], v7, off offset:128
	s_cbranch_execz .LBB100_7
	s_branch .LBB100_8
.LBB100_6:
                                        ; implicit-def: $vgpr6
                                        ; implicit-def: $vgpr2_vgpr3
.LBB100_7:
	s_mul_i32 s2, s8, s21
	s_mul_hi_u32 s3, s8, s20
	s_add_i32 s3, s3, s2
	s_mul_i32 s2, s8, s20
	s_lshl_b64 s[2:3], s[2:3], 3
	s_add_u32 s6, s16, s2
	s_addc_u32 s7, s17, s3
	v_mul_lo_u32 v6, v5, s18
	v_mul_lo_u32 v7, v4, s19
	v_mad_u64_u32 v[2:3], s[2:3], v4, s18, 0
	v_add3_u32 v3, v3, v7, v6
	v_lshlrev_b64 v[2:3], 3, v[2:3]
	v_mov_b32_e32 v6, s7
	v_add_co_u32_e32 v2, vcc, s6, v2
	v_addc_co_u32_e32 v3, vcc, v6, v3, vcc
	v_lshlrev_b64 v[0:1], 3, v[0:1]
	v_add_co_u32_e32 v2, vcc, v2, v0
	v_addc_co_u32_e32 v3, vcc, v3, v1, vcc
	global_load_dwordx2 v[6:7], v[2:3], off
	v_mul_lo_u32 v8, v5, s0
	v_mul_lo_u32 v9, v4, s1
	v_mad_u64_u32 v[4:5], s[2:3], v4, s0, 0
	v_add3_u32 v5, v5, v9, v8
	v_lshlrev_b64 v[4:5], 3, v[4:5]
	v_mov_b32_e32 v10, s5
	v_add_co_u32_e32 v4, vcc, s4, v4
	v_addc_co_u32_e32 v5, vcc, v10, v5, vcc
	v_add_co_u32_e32 v0, vcc, v4, v0
	v_mul_f32_e32 v11, s15, v51
	v_mul_f32_e32 v12, s14, v51
	v_addc_co_u32_e32 v1, vcc, v5, v1, vcc
	v_fma_f32 v8, v50, s14, -v11
	v_fmac_f32_e32 v12, s15, v50
	s_lshl_b64 s[2:3], s[18:19], 7
	s_lshl_b64 s[0:1], s[0:1], 7
	s_waitcnt vmcnt(0)
	v_mul_f32_e32 v4, s11, v7
	v_mul_f32_e32 v5, s10, v7
	v_fma_f32 v4, v6, s10, -v4
	v_fmac_f32_e32 v5, s11, v6
	v_add_f32_e32 v4, v8, v4
	v_add_f32_e32 v5, v12, v5
	global_store_dwordx2 v[0:1], v[4:5], off
	global_load_dwordx2 v[4:5], v[2:3], off offset:128
	v_mov_b32_e32 v8, s3
	v_add_co_u32_e32 v2, vcc, s2, v2
	v_mul_f32_e32 v6, s15, v47
	v_mul_f32_e32 v7, s14, v47
	v_addc_co_u32_e32 v3, vcc, v3, v8, vcc
	v_fma_f32 v6, v46, s14, -v6
	v_fmac_f32_e32 v7, s15, v46
	s_waitcnt vmcnt(0)
	v_mul_f32_e32 v8, s11, v5
	v_mul_f32_e32 v5, s10, v5
	v_fma_f32 v8, v4, s10, -v8
	v_fmac_f32_e32 v5, s11, v4
	v_add_f32_e32 v4, v6, v8
	v_add_f32_e32 v5, v7, v5
	global_store_dwordx2 v[0:1], v[4:5], off offset:128
	global_load_dwordx2 v[4:5], v[2:3], off
	v_pk_mul_f32 v[6:7], v[38:39], s[14:15] op_sel_hi:[0,1]
	v_pk_fma_f32 v[8:9], v[36:37], s[14:15], v[6:7] op_sel:[0,0,1] op_sel_hi:[1,1,0] neg_lo:[0,0,1] neg_hi:[0,0,1]
	v_pk_fma_f32 v[6:7], v[36:37], s[14:15], v[6:7] op_sel:[0,0,1] op_sel_hi:[0,1,0]
	v_mov_b32_e32 v6, s1
	v_add_co_u32_e32 v0, vcc, s0, v0
	v_mov_b32_e32 v9, v7
	v_addc_co_u32_e32 v1, vcc, v1, v6, vcc
	s_waitcnt vmcnt(0)
	v_pk_mul_f32 v[6:7], v[4:5], s[10:11] op_sel:[0,1]
	v_pk_fma_f32 v[10:11], v[4:5], s[10:11], v[6:7] op_sel:[0,0,1] op_sel_hi:[1,1,0] neg_lo:[0,0,1] neg_hi:[0,0,1]
	v_pk_fma_f32 v[4:5], v[4:5], s[10:11], v[6:7] op_sel:[0,0,1] op_sel_hi:[1,0,0]
	v_mov_b32_e32 v11, v5
	v_pk_add_f32 v[4:5], v[8:9], v[10:11]
	global_store_dwordx2 v[0:1], v[4:5], off
	global_load_dwordx2 v[4:5], v[2:3], off offset:128
	v_mul_f32_e32 v2, s15, v37
	v_mul_f32_e32 v3, s14, v37
	v_fma_f32 v8, v39, s14, -v2
	v_fmac_f32_e32 v3, s15, v39
	v_add_co_u32_e32 v2, vcc, 0x80, v0
	s_waitcnt vmcnt(0)
	v_mul_f32_e32 v9, s10, v4
	v_pk_mul_f32 v[6:7], v[4:5], s[10:11] op_sel:[0,1] op_sel_hi:[1,0]
	v_fma_f32 v4, -v5, s11, v9
	v_add_f32_e32 v5, v6, v7
	v_add_f32_e32 v4, v8, v4
	;; [unrolled: 1-line block ×3, first 2 shown]
	v_addc_co_u32_e32 v3, vcc, 0, v1, vcc
	global_store_dword v[0:1], v4, off offset:128
.LBB100_8:
	global_store_dword v[2:3], v6, off offset:4
	s_endpgm
	.section	.rodata,"a",@progbits
	.p2align	6, 0x0
	.amdhsa_kernel _ZN12_GLOBAL__N_127rocblas_gemm_batched_kernelI19rocblas_complex_numIfELi16ELi16ELi32ELi32ELi8ELi32ELi8ELi8ELi32ELc78ELc84EKS2_S3_S2_EEvlllT_PT11_llS6_llS4_PT12_llPT13_lli
		.amdhsa_group_segment_fixed_size 4096
		.amdhsa_private_segment_fixed_size 0
		.amdhsa_kernarg_size 140
		.amdhsa_user_sgpr_count 6
		.amdhsa_user_sgpr_private_segment_buffer 1
		.amdhsa_user_sgpr_dispatch_ptr 0
		.amdhsa_user_sgpr_queue_ptr 0
		.amdhsa_user_sgpr_kernarg_segment_ptr 1
		.amdhsa_user_sgpr_dispatch_id 0
		.amdhsa_user_sgpr_flat_scratch_init 0
		.amdhsa_user_sgpr_kernarg_preload_length 0
		.amdhsa_user_sgpr_kernarg_preload_offset 0
		.amdhsa_user_sgpr_private_segment_size 0
		.amdhsa_uses_dynamic_stack 0
		.amdhsa_system_sgpr_private_segment_wavefront_offset 0
		.amdhsa_system_sgpr_workgroup_id_x 1
		.amdhsa_system_sgpr_workgroup_id_y 1
		.amdhsa_system_sgpr_workgroup_id_z 1
		.amdhsa_system_sgpr_workgroup_info 0
		.amdhsa_system_vgpr_workitem_id 1
		.amdhsa_next_free_vgpr 91
		.amdhsa_next_free_sgpr 30
		.amdhsa_accum_offset 92
		.amdhsa_reserve_vcc 1
		.amdhsa_reserve_flat_scratch 0
		.amdhsa_float_round_mode_32 0
		.amdhsa_float_round_mode_16_64 0
		.amdhsa_float_denorm_mode_32 3
		.amdhsa_float_denorm_mode_16_64 3
		.amdhsa_dx10_clamp 1
		.amdhsa_ieee_mode 1
		.amdhsa_fp16_overflow 0
		.amdhsa_tg_split 0
		.amdhsa_exception_fp_ieee_invalid_op 0
		.amdhsa_exception_fp_denorm_src 0
		.amdhsa_exception_fp_ieee_div_zero 0
		.amdhsa_exception_fp_ieee_overflow 0
		.amdhsa_exception_fp_ieee_underflow 0
		.amdhsa_exception_fp_ieee_inexact 0
		.amdhsa_exception_int_div_zero 0
	.end_amdhsa_kernel
	.section	.text._ZN12_GLOBAL__N_127rocblas_gemm_batched_kernelI19rocblas_complex_numIfELi16ELi16ELi32ELi32ELi8ELi32ELi8ELi8ELi32ELc78ELc84EKS2_S3_S2_EEvlllT_PT11_llS6_llS4_PT12_llPT13_lli,"axG",@progbits,_ZN12_GLOBAL__N_127rocblas_gemm_batched_kernelI19rocblas_complex_numIfELi16ELi16ELi32ELi32ELi8ELi32ELi8ELi8ELi32ELc78ELc84EKS2_S3_S2_EEvlllT_PT11_llS6_llS4_PT12_llPT13_lli,comdat
.Lfunc_end100:
	.size	_ZN12_GLOBAL__N_127rocblas_gemm_batched_kernelI19rocblas_complex_numIfELi16ELi16ELi32ELi32ELi8ELi32ELi8ELi8ELi32ELc78ELc84EKS2_S3_S2_EEvlllT_PT11_llS6_llS4_PT12_llPT13_lli, .Lfunc_end100-_ZN12_GLOBAL__N_127rocblas_gemm_batched_kernelI19rocblas_complex_numIfELi16ELi16ELi32ELi32ELi8ELi32ELi8ELi8ELi32ELc78ELc84EKS2_S3_S2_EEvlllT_PT11_llS6_llS4_PT12_llPT13_lli
                                        ; -- End function
	.section	.AMDGPU.csdata,"",@progbits
; Kernel info:
; codeLenInByte = 2368
; NumSgprs: 34
; NumVgprs: 91
; NumAgprs: 0
; TotalNumVgprs: 91
; ScratchSize: 0
; MemoryBound: 0
; FloatMode: 240
; IeeeMode: 1
; LDSByteSize: 4096 bytes/workgroup (compile time only)
; SGPRBlocks: 4
; VGPRBlocks: 11
; NumSGPRsForWavesPerEU: 34
; NumVGPRsForWavesPerEU: 91
; AccumOffset: 92
; Occupancy: 5
; WaveLimiterHint : 1
; COMPUTE_PGM_RSRC2:SCRATCH_EN: 0
; COMPUTE_PGM_RSRC2:USER_SGPR: 6
; COMPUTE_PGM_RSRC2:TRAP_HANDLER: 0
; COMPUTE_PGM_RSRC2:TGID_X_EN: 1
; COMPUTE_PGM_RSRC2:TGID_Y_EN: 1
; COMPUTE_PGM_RSRC2:TGID_Z_EN: 1
; COMPUTE_PGM_RSRC2:TIDIG_COMP_CNT: 1
; COMPUTE_PGM_RSRC3_GFX90A:ACCUM_OFFSET: 22
; COMPUTE_PGM_RSRC3_GFX90A:TG_SPLIT: 0
	.section	.text._ZN12_GLOBAL__N_127rocblas_gemm_batched_kernelI19rocblas_complex_numIfELi16ELi16ELi32ELi32ELi8ELi32ELi8ELi8ELi32ELc84ELc84EKS2_S3_S2_EEvlllT_PT11_llS6_llS4_PT12_llPT13_lli,"axG",@progbits,_ZN12_GLOBAL__N_127rocblas_gemm_batched_kernelI19rocblas_complex_numIfELi16ELi16ELi32ELi32ELi8ELi32ELi8ELi8ELi32ELc84ELc84EKS2_S3_S2_EEvlllT_PT11_llS6_llS4_PT12_llPT13_lli,comdat
	.globl	_ZN12_GLOBAL__N_127rocblas_gemm_batched_kernelI19rocblas_complex_numIfELi16ELi16ELi32ELi32ELi8ELi32ELi8ELi8ELi32ELc84ELc84EKS2_S3_S2_EEvlllT_PT11_llS6_llS4_PT12_llPT13_lli ; -- Begin function _ZN12_GLOBAL__N_127rocblas_gemm_batched_kernelI19rocblas_complex_numIfELi16ELi16ELi32ELi32ELi8ELi32ELi8ELi8ELi32ELc84ELc84EKS2_S3_S2_EEvlllT_PT11_llS6_llS4_PT12_llPT13_lli
	.p2align	8
	.type	_ZN12_GLOBAL__N_127rocblas_gemm_batched_kernelI19rocblas_complex_numIfELi16ELi16ELi32ELi32ELi8ELi32ELi8ELi8ELi32ELc84ELc84EKS2_S3_S2_EEvlllT_PT11_llS6_llS4_PT12_llPT13_lli,@function
_ZN12_GLOBAL__N_127rocblas_gemm_batched_kernelI19rocblas_complex_numIfELi16ELi16ELi32ELi32ELi8ELi32ELi8ELi8ELi32ELc84ELc84EKS2_S3_S2_EEvlllT_PT11_llS6_llS4_PT12_llPT13_lli: ; @_ZN12_GLOBAL__N_127rocblas_gemm_batched_kernelI19rocblas_complex_numIfELi16ELi16ELi32ELi32ELi8ELi32ELi8ELi8ELi32ELc84ELc84EKS2_S3_S2_EEvlllT_PT11_llS6_llS4_PT12_llPT13_lli
; %bb.0:
	s_load_dwordx16 s[12:27], s[4:5], 0x10
	s_load_dwordx2 s[10:11], s[4:5], 0x50
	s_mov_b32 s0, s7
	s_ashr_i32 s1, s0, 31
	s_ashr_i32 s7, s6, 31
	s_lshl_b64 s[28:29], s[0:1], 5
	s_waitcnt lgkmcnt(0)
	v_cmp_lt_i64_e64 s[0:1], s[12:13], 1
	v_bfe_u32 v49, v0, 10, 10
	v_and_b32_e32 v48, 0x3ff, v0
	s_lshl_b64 s[6:7], s[6:7], 5
	s_and_b64 vcc, exec, s[0:1]
	s_cbranch_vccnz .LBB101_3
; %bb.1:
	v_lshl_add_u32 v4, v49, 4, v48
	v_lshrrev_b32_e32 v5, 3, v4
	v_mov_b32_e32 v1, s29
	v_add_co_u32_e32 v0, vcc, s28, v5
	v_addc_co_u32_e32 v1, vcc, 0, v1, vcc
	v_and_b32_e32 v6, 7, v48
	v_mad_u64_u32 v[0:1], s[0:1], v6, s24, v[0:1]
	v_mov_b32_e32 v2, v1
	v_mad_u64_u32 v[2:3], s[0:1], v6, s25, v[2:3]
	v_mov_b32_e32 v1, v2
	v_and_b32_e32 v2, 31, v4
	v_lshrrev_b32_e32 v4, 5, v4
	v_lshlrev_b32_e32 v3, 3, v2
	v_lshl_or_b32 v52, v4, 8, v3
	v_lshlrev_b32_e32 v3, 3, v6
	v_lshl_or_b32 v3, v5, 6, v3
	v_add_u32_e32 v53, 0x800, v3
	v_mov_b32_e32 v3, 0x800
	v_lshl_add_u32 v55, v49, 6, v3
	v_mov_b32_e32 v3, s7
	v_add_co_u32_e32 v2, vcc, s6, v2
	v_addc_co_u32_e32 v3, vcc, 0, v3, vcc
	v_mul_lo_u32 v5, s19, v2
	v_mul_lo_u32 v6, s18, v3
	v_mad_u64_u32 v[2:3], s[0:1], s18, v2, 0
	s_mul_i32 s0, s21, s8
	s_mul_hi_u32 s1, s20, s8
	v_add3_u32 v3, v3, v6, v5
	s_add_i32 s1, s1, s0
	s_mul_i32 s0, s20, s8
	v_lshlrev_b64 v[2:3], 3, v[2:3]
	s_lshl_b64 s[0:1], s[0:1], 3
	v_mov_b32_e32 v5, s1
	v_add_co_u32_e32 v2, vcc, s0, v2
	v_addc_co_u32_e32 v3, vcc, v3, v5, vcc
	v_lshlrev_b32_e32 v4, 3, v4
	s_mul_i32 s0, s27, s8
	s_mul_hi_u32 s1, s26, s8
	v_add_co_u32_e32 v2, vcc, v2, v4
	s_add_i32 s1, s1, s0
	s_mul_i32 s0, s26, s8
	v_addc_co_u32_e32 v3, vcc, 0, v3, vcc
	s_lshl_b64 s[0:1], s[0:1], 3
	v_mov_b32_e32 v4, s17
	v_add_co_u32_e32 v40, vcc, s16, v2
	s_add_u32 s0, s22, s0
	v_addc_co_u32_e32 v41, vcc, v4, v3, vcc
	v_lshlrev_b64 v[0:1], 3, v[0:1]
	s_addc_u32 s1, s23, s1
	v_mov_b32_e32 v2, s1
	v_add_co_u32_e32 v42, vcc, s0, v0
	s_lshl_b64 s[0:1], s[24:25], 6
	v_lshlrev_b32_e32 v54, 3, v48
	v_addc_co_u32_e32 v43, vcc, v2, v1, vcc
	s_mov_b64 s[2:3], 0
	v_mov_b32_e32 v37, 0
	v_mov_b32_e32 v56, s1
	v_pk_mov_b32 v[44:45], s[12:13], s[12:13] op_sel:[0,1]
	v_mov_b32_e32 v39, 0
	v_mov_b32_e32 v38, 0
	;; [unrolled: 1-line block ×7, first 2 shown]
.LBB101_2:                              ; =>This Inner Loop Header: Depth=1
	global_load_dwordx2 v[0:1], v[40:41], off
	global_load_dwordx2 v[2:3], v[42:43], off
	v_add_co_u32_e32 v40, vcc, 64, v40
	v_addc_co_u32_e32 v41, vcc, 0, v41, vcc
	s_add_u32 s2, s2, 8
	v_add_co_u32_e32 v42, vcc, s0, v42
	v_addc_co_u32_e32 v43, vcc, v43, v56, vcc
	s_addc_u32 s3, s3, 0
	v_cmp_lt_i64_e32 vcc, s[2:3], v[44:45]
	s_and_b64 vcc, exec, vcc
	s_waitcnt vmcnt(1)
	ds_write_b64 v52, v[0:1]
	s_waitcnt vmcnt(0)
	ds_write_b64 v53, v[2:3]
	s_waitcnt lgkmcnt(0)
	s_barrier
	ds_read_b128 v[4:7], v55
	ds_read_b128 v[0:3], v55 offset:16
	ds_read2_b64 v[8:11], v54 offset1:16
	ds_read2_b64 v[12:15], v54 offset0:32 offset1:48
	ds_read2_b64 v[16:19], v54 offset0:64 offset1:80
	ds_read_b128 v[24:27], v55 offset:1024
	ds_read_b128 v[20:23], v55 offset:1040
	ds_read2_b64 v[28:31], v54 offset0:96 offset1:112
	ds_read2_b64 v[32:35], v54 offset0:128 offset1:144
	ds_read2_b64 v[58:61], v54 offset0:160 offset1:176
	ds_read_b128 v[62:65], v55 offset:32
	ds_read_b128 v[66:69], v55 offset:48
	ds_read2_b64 v[70:73], v54 offset0:192 offset1:208
	ds_read_b128 v[74:77], v55 offset:1056
	ds_read_b128 v[78:81], v55 offset:1072
	s_waitcnt lgkmcnt(12)
	v_mul_f32_e32 v57, v5, v9
	v_mul_f32_e32 v82, v4, v9
	;; [unrolled: 1-line block ×4, first 2 shown]
	s_waitcnt lgkmcnt(9)
	v_mul_f32_e32 v85, v25, v9
	v_mul_f32_e32 v9, v24, v9
	;; [unrolled: 1-line block ×5, first 2 shown]
	v_fma_f32 v57, v4, v8, -v57
	v_fmac_f32_e32 v82, v5, v8
	v_fma_f32 v4, v4, v10, -v83
	v_fmac_f32_e32 v84, v5, v10
	;; [unrolled: 2-line block ×4, first 2 shown]
	v_mul_f32_e32 v10, v6, v15
	v_mul_f32_e32 v87, v7, v13
	;; [unrolled: 1-line block ×6, first 2 shown]
	v_fmac_f32_e32 v88, v7, v12
	v_fmac_f32_e32 v10, v7, v14
	v_mul_f32_e32 v7, v26, v15
	v_fma_f32 v83, v6, v12, -v87
	v_fma_f32 v6, v6, v14, -v89
	v_mul_f32_e32 v15, v1, v17
	v_mul_f32_e32 v85, v0, v17
	;; [unrolled: 1-line block ×3, first 2 shown]
	v_fma_f32 v24, v26, v12, -v24
	v_fmac_f32_e32 v13, v27, v12
	v_fma_f32 v12, v26, v14, -v25
	v_fmac_f32_e32 v7, v27, v14
	v_mul_f32_e32 v14, v0, v19
	s_waitcnt lgkmcnt(8)
	v_mul_f32_e32 v25, v21, v17
	v_mul_f32_e32 v17, v20, v17
	;; [unrolled: 1-line block ×4, first 2 shown]
	s_waitcnt lgkmcnt(7)
	v_mul_f32_e32 v27, v3, v29
	v_mul_f32_e32 v87, v2, v29
	;; [unrolled: 1-line block ×3, first 2 shown]
	v_fma_f32 v15, v0, v16, -v15
	v_fmac_f32_e32 v85, v1, v16
	v_fma_f32 v86, v0, v18, -v86
	v_fmac_f32_e32 v14, v1, v18
	;; [unrolled: 2-line block ×4, first 2 shown]
	v_mul_f32_e32 v18, v2, v31
	v_mul_f32_e32 v0, v23, v29
	v_mul_f32_e32 v20, v22, v29
	v_mul_f32_e32 v1, v23, v31
	v_fma_f32 v21, v2, v28, -v27
	v_mul_f32_e32 v27, v22, v31
	v_fmac_f32_e32 v87, v3, v28
	v_fma_f32 v26, v2, v30, -v89
	v_fmac_f32_e32 v18, v3, v30
	s_waitcnt lgkmcnt(4)
	v_mul_f32_e32 v2, v63, v33
	v_mul_f32_e32 v29, v62, v33
	;; [unrolled: 1-line block ×3, first 2 shown]
	v_fma_f32 v31, v22, v28, -v0
	v_fmac_f32_e32 v20, v23, v28
	v_fma_f32 v22, v22, v30, -v1
	v_fmac_f32_e32 v27, v23, v30
	v_mul_f32_e32 v23, v62, v35
	s_waitcnt lgkmcnt(1)
	v_mul_f32_e32 v0, v75, v33
	v_mul_f32_e32 v28, v74, v33
	;; [unrolled: 1-line block ×7, first 2 shown]
	v_fma_f32 v90, v62, v32, -v2
	v_fmac_f32_e32 v29, v63, v32
	v_fma_f32 v62, v62, v34, -v3
	v_fmac_f32_e32 v23, v63, v34
	v_fma_f32 v63, v74, v32, -v0
	v_fmac_f32_e32 v28, v75, v32
	v_fma_f32 v32, v74, v34, -v1
	v_fmac_f32_e32 v30, v75, v34
	v_mul_f32_e32 v34, v64, v61
	v_mul_f32_e32 v0, v77, v59
	;; [unrolled: 1-line block ×5, first 2 shown]
	v_fma_f32 v33, v64, v58, -v33
	v_fmac_f32_e32 v35, v65, v58
	v_fma_f32 v64, v64, v60, -v89
	v_fmac_f32_e32 v34, v65, v60
	v_mul_f32_e32 v2, v67, v71
	v_mul_f32_e32 v65, v66, v71
	;; [unrolled: 1-line block ×3, first 2 shown]
	v_fma_f32 v74, v76, v58, -v0
	v_fmac_f32_e32 v59, v77, v58
	v_fma_f32 v58, v76, v60, -v1
	v_fmac_f32_e32 v61, v77, v60
	v_mul_f32_e32 v60, v66, v73
	s_waitcnt lgkmcnt(0)
	v_mul_f32_e32 v0, v79, v71
	v_mul_f32_e32 v71, v78, v71
	;; [unrolled: 1-line block ×3, first 2 shown]
	v_fma_f32 v75, v66, v70, -v2
	v_fmac_f32_e32 v65, v67, v70
	v_fma_f32 v66, v66, v72, -v3
	v_fmac_f32_e32 v60, v67, v72
	;; [unrolled: 2-line block ×3, first 2 shown]
	v_fma_f32 v70, v78, v72, -v1
	ds_read2_b64 v[0:3], v54 offset0:224 offset1:240
	v_mul_f32_e32 v73, v78, v73
	v_fmac_f32_e32 v73, v79, v72
	v_add_f32_e32 v4, v46, v4
	v_add_f32_e32 v8, v39, v8
	s_waitcnt lgkmcnt(0)
	v_mul_f32_e32 v72, v69, v1
	v_mul_f32_e32 v77, v69, v3
	;; [unrolled: 1-line block ×3, first 2 shown]
	v_fma_f32 v72, v68, v0, -v72
	v_fma_f32 v77, v68, v2, -v77
	v_mul_f32_e32 v68, v68, v3
	v_fmac_f32_e32 v76, v69, v0
	v_fmac_f32_e32 v68, v69, v2
	v_mul_f32_e32 v69, v81, v1
	v_mul_f32_e32 v1, v80, v1
	;; [unrolled: 1-line block ×4, first 2 shown]
	v_fma_f32 v69, v80, v0, -v69
	v_fmac_f32_e32 v1, v81, v0
	v_fma_f32 v0, v80, v2, -v78
	v_fmac_f32_e32 v3, v81, v2
	v_add_f32_e32 v2, v36, v5
	v_add_f32_e32 v5, v38, v9
	;; [unrolled: 1-line block ×62, first 2 shown]
	s_barrier
	s_cbranch_vccnz .LBB101_2
	s_branch .LBB101_4
.LBB101_3:
	v_mov_b32_e32 v50, 0
	v_mov_b32_e32 v51, 0
	;; [unrolled: 1-line block ×8, first 2 shown]
.LBB101_4:
	s_load_dwordx4 s[0:3], s[4:5], 0x78
	s_load_dwordx8 s[16:23], s[4:5], 0x58
	v_mov_b32_e32 v0, s29
	v_add_co_u32_e32 v4, vcc, s28, v49
	s_waitcnt lgkmcnt(0)
	s_mul_i32 s3, s8, s3
	s_mul_hi_u32 s4, s8, s2
	s_mul_i32 s2, s8, s2
	s_add_i32 s3, s4, s3
	s_lshl_b64 s[2:3], s[2:3], 3
	s_add_u32 s4, s22, s2
	s_addc_u32 s5, s23, s3
	v_addc_co_u32_e32 v5, vcc, 0, v0, vcc
	s_or_b32 s2, s10, s11
	s_bitset0_b32 s2, 31
	v_mov_b32_e32 v1, s7
	v_add_co_u32_e32 v0, vcc, s6, v48
	s_cmp_lg_u32 s2, 0
	v_addc_co_u32_e32 v1, vcc, 0, v1, vcc
	s_cbranch_scc1 .LBB101_6
; %bb.5:
	v_mul_lo_u32 v6, v5, s0
	v_mul_lo_u32 v7, v4, s1
	v_mad_u64_u32 v[2:3], s[2:3], v4, s0, 0
	v_add3_u32 v3, v3, v7, v6
	v_lshlrev_b64 v[2:3], 3, v[2:3]
	v_mov_b32_e32 v6, s5
	v_add_co_u32_e32 v8, vcc, s4, v2
	v_addc_co_u32_e32 v9, vcc, v6, v3, vcc
	v_lshlrev_b64 v[6:7], 3, v[0:1]
	v_mul_f32_e32 v2, s15, v51
	v_mul_f32_e32 v3, s14, v51
	v_add_co_u32_e32 v6, vcc, v8, v6
	v_fma_f32 v2, v50, s14, -v2
	v_fmac_f32_e32 v3, s15, v50
	v_addc_co_u32_e32 v7, vcc, v9, v7, vcc
	global_store_dwordx2 v[6:7], v[2:3], off
	v_mul_f32_e32 v2, s15, v47
	v_mul_f32_e32 v3, s14, v47
	v_fma_f32 v2, v46, s14, -v2
	v_fmac_f32_e32 v3, s15, v46
	s_lshl_b64 s[2:3], s[0:1], 7
	global_store_dwordx2 v[6:7], v[2:3], off offset:128
	v_mul_f32_e32 v2, s15, v38
	v_mul_f32_e32 v3, s14, v38
	v_mov_b32_e32 v9, s3
	v_add_co_u32_e32 v8, vcc, s2, v6
	v_fma_f32 v2, v36, s14, -v2
	v_fmac_f32_e32 v3, s15, v36
	v_addc_co_u32_e32 v9, vcc, v7, v9, vcc
	global_store_dwordx2 v[8:9], v[2:3], off
	v_mul_f32_e32 v2, s15, v37
	v_fma_f32 v7, v39, s14, -v2
	v_mul_f32_e32 v6, s14, v37
	v_add_co_u32_e32 v2, vcc, 0x80, v8
	v_fmac_f32_e32 v6, s15, v39
	v_addc_co_u32_e32 v3, vcc, 0, v9, vcc
	global_store_dword v[8:9], v7, off offset:128
	s_cbranch_execz .LBB101_7
	s_branch .LBB101_8
.LBB101_6:
                                        ; implicit-def: $vgpr6
                                        ; implicit-def: $vgpr2_vgpr3
.LBB101_7:
	s_mul_i32 s2, s8, s21
	s_mul_hi_u32 s3, s8, s20
	s_add_i32 s3, s3, s2
	s_mul_i32 s2, s8, s20
	s_lshl_b64 s[2:3], s[2:3], 3
	s_add_u32 s6, s16, s2
	s_addc_u32 s7, s17, s3
	v_mul_lo_u32 v6, v5, s18
	v_mul_lo_u32 v7, v4, s19
	v_mad_u64_u32 v[2:3], s[2:3], v4, s18, 0
	v_add3_u32 v3, v3, v7, v6
	v_lshlrev_b64 v[2:3], 3, v[2:3]
	v_mov_b32_e32 v6, s7
	v_add_co_u32_e32 v2, vcc, s6, v2
	v_addc_co_u32_e32 v3, vcc, v6, v3, vcc
	v_lshlrev_b64 v[0:1], 3, v[0:1]
	v_add_co_u32_e32 v2, vcc, v2, v0
	v_addc_co_u32_e32 v3, vcc, v3, v1, vcc
	global_load_dwordx2 v[6:7], v[2:3], off
	v_mul_lo_u32 v8, v5, s0
	v_mul_lo_u32 v9, v4, s1
	v_mad_u64_u32 v[4:5], s[2:3], v4, s0, 0
	v_add3_u32 v5, v5, v9, v8
	v_lshlrev_b64 v[4:5], 3, v[4:5]
	v_mov_b32_e32 v10, s5
	v_add_co_u32_e32 v4, vcc, s4, v4
	v_addc_co_u32_e32 v5, vcc, v10, v5, vcc
	v_add_co_u32_e32 v0, vcc, v4, v0
	v_mul_f32_e32 v11, s15, v51
	v_mul_f32_e32 v12, s14, v51
	v_addc_co_u32_e32 v1, vcc, v5, v1, vcc
	v_fma_f32 v8, v50, s14, -v11
	v_fmac_f32_e32 v12, s15, v50
	s_lshl_b64 s[2:3], s[18:19], 7
	s_lshl_b64 s[0:1], s[0:1], 7
	s_waitcnt vmcnt(0)
	v_mul_f32_e32 v4, s11, v7
	v_mul_f32_e32 v5, s10, v7
	v_fma_f32 v4, v6, s10, -v4
	v_fmac_f32_e32 v5, s11, v6
	v_add_f32_e32 v4, v8, v4
	v_add_f32_e32 v5, v12, v5
	global_store_dwordx2 v[0:1], v[4:5], off
	global_load_dwordx2 v[4:5], v[2:3], off offset:128
	v_mov_b32_e32 v8, s3
	v_add_co_u32_e32 v2, vcc, s2, v2
	v_mul_f32_e32 v6, s15, v47
	v_mul_f32_e32 v7, s14, v47
	v_addc_co_u32_e32 v3, vcc, v3, v8, vcc
	v_fma_f32 v6, v46, s14, -v6
	v_fmac_f32_e32 v7, s15, v46
	s_waitcnt vmcnt(0)
	v_mul_f32_e32 v8, s11, v5
	v_mul_f32_e32 v5, s10, v5
	v_fma_f32 v8, v4, s10, -v8
	v_fmac_f32_e32 v5, s11, v4
	v_add_f32_e32 v4, v6, v8
	v_add_f32_e32 v5, v7, v5
	global_store_dwordx2 v[0:1], v[4:5], off offset:128
	global_load_dwordx2 v[4:5], v[2:3], off
	v_pk_mul_f32 v[6:7], v[38:39], s[14:15] op_sel_hi:[0,1]
	v_pk_fma_f32 v[8:9], v[36:37], s[14:15], v[6:7] op_sel:[0,0,1] op_sel_hi:[1,1,0] neg_lo:[0,0,1] neg_hi:[0,0,1]
	v_pk_fma_f32 v[6:7], v[36:37], s[14:15], v[6:7] op_sel:[0,0,1] op_sel_hi:[0,1,0]
	v_mov_b32_e32 v6, s1
	v_add_co_u32_e32 v0, vcc, s0, v0
	v_mov_b32_e32 v9, v7
	v_addc_co_u32_e32 v1, vcc, v1, v6, vcc
	s_waitcnt vmcnt(0)
	v_pk_mul_f32 v[6:7], v[4:5], s[10:11] op_sel:[0,1]
	v_pk_fma_f32 v[10:11], v[4:5], s[10:11], v[6:7] op_sel:[0,0,1] op_sel_hi:[1,1,0] neg_lo:[0,0,1] neg_hi:[0,0,1]
	v_pk_fma_f32 v[4:5], v[4:5], s[10:11], v[6:7] op_sel:[0,0,1] op_sel_hi:[1,0,0]
	v_mov_b32_e32 v11, v5
	v_pk_add_f32 v[4:5], v[8:9], v[10:11]
	global_store_dwordx2 v[0:1], v[4:5], off
	global_load_dwordx2 v[4:5], v[2:3], off offset:128
	v_mul_f32_e32 v2, s15, v37
	v_mul_f32_e32 v3, s14, v37
	v_fma_f32 v8, v39, s14, -v2
	v_fmac_f32_e32 v3, s15, v39
	v_add_co_u32_e32 v2, vcc, 0x80, v0
	s_waitcnt vmcnt(0)
	v_mul_f32_e32 v9, s10, v4
	v_pk_mul_f32 v[6:7], v[4:5], s[10:11] op_sel:[0,1] op_sel_hi:[1,0]
	v_fma_f32 v4, -v5, s11, v9
	v_add_f32_e32 v5, v6, v7
	v_add_f32_e32 v4, v8, v4
	;; [unrolled: 1-line block ×3, first 2 shown]
	v_addc_co_u32_e32 v3, vcc, 0, v1, vcc
	global_store_dword v[0:1], v4, off offset:128
.LBB101_8:
	global_store_dword v[2:3], v6, off offset:4
	s_endpgm
	.section	.rodata,"a",@progbits
	.p2align	6, 0x0
	.amdhsa_kernel _ZN12_GLOBAL__N_127rocblas_gemm_batched_kernelI19rocblas_complex_numIfELi16ELi16ELi32ELi32ELi8ELi32ELi8ELi8ELi32ELc84ELc84EKS2_S3_S2_EEvlllT_PT11_llS6_llS4_PT12_llPT13_lli
		.amdhsa_group_segment_fixed_size 4096
		.amdhsa_private_segment_fixed_size 0
		.amdhsa_kernarg_size 140
		.amdhsa_user_sgpr_count 6
		.amdhsa_user_sgpr_private_segment_buffer 1
		.amdhsa_user_sgpr_dispatch_ptr 0
		.amdhsa_user_sgpr_queue_ptr 0
		.amdhsa_user_sgpr_kernarg_segment_ptr 1
		.amdhsa_user_sgpr_dispatch_id 0
		.amdhsa_user_sgpr_flat_scratch_init 0
		.amdhsa_user_sgpr_kernarg_preload_length 0
		.amdhsa_user_sgpr_kernarg_preload_offset 0
		.amdhsa_user_sgpr_private_segment_size 0
		.amdhsa_uses_dynamic_stack 0
		.amdhsa_system_sgpr_private_segment_wavefront_offset 0
		.amdhsa_system_sgpr_workgroup_id_x 1
		.amdhsa_system_sgpr_workgroup_id_y 1
		.amdhsa_system_sgpr_workgroup_id_z 1
		.amdhsa_system_sgpr_workgroup_info 0
		.amdhsa_system_vgpr_workitem_id 1
		.amdhsa_next_free_vgpr 91
		.amdhsa_next_free_sgpr 30
		.amdhsa_accum_offset 92
		.amdhsa_reserve_vcc 1
		.amdhsa_reserve_flat_scratch 0
		.amdhsa_float_round_mode_32 0
		.amdhsa_float_round_mode_16_64 0
		.amdhsa_float_denorm_mode_32 3
		.amdhsa_float_denorm_mode_16_64 3
		.amdhsa_dx10_clamp 1
		.amdhsa_ieee_mode 1
		.amdhsa_fp16_overflow 0
		.amdhsa_tg_split 0
		.amdhsa_exception_fp_ieee_invalid_op 0
		.amdhsa_exception_fp_denorm_src 0
		.amdhsa_exception_fp_ieee_div_zero 0
		.amdhsa_exception_fp_ieee_overflow 0
		.amdhsa_exception_fp_ieee_underflow 0
		.amdhsa_exception_fp_ieee_inexact 0
		.amdhsa_exception_int_div_zero 0
	.end_amdhsa_kernel
	.section	.text._ZN12_GLOBAL__N_127rocblas_gemm_batched_kernelI19rocblas_complex_numIfELi16ELi16ELi32ELi32ELi8ELi32ELi8ELi8ELi32ELc84ELc84EKS2_S3_S2_EEvlllT_PT11_llS6_llS4_PT12_llPT13_lli,"axG",@progbits,_ZN12_GLOBAL__N_127rocblas_gemm_batched_kernelI19rocblas_complex_numIfELi16ELi16ELi32ELi32ELi8ELi32ELi8ELi8ELi32ELc84ELc84EKS2_S3_S2_EEvlllT_PT11_llS6_llS4_PT12_llPT13_lli,comdat
.Lfunc_end101:
	.size	_ZN12_GLOBAL__N_127rocblas_gemm_batched_kernelI19rocblas_complex_numIfELi16ELi16ELi32ELi32ELi8ELi32ELi8ELi8ELi32ELc84ELc84EKS2_S3_S2_EEvlllT_PT11_llS6_llS4_PT12_llPT13_lli, .Lfunc_end101-_ZN12_GLOBAL__N_127rocblas_gemm_batched_kernelI19rocblas_complex_numIfELi16ELi16ELi32ELi32ELi8ELi32ELi8ELi8ELi32ELc84ELc84EKS2_S3_S2_EEvlllT_PT11_llS6_llS4_PT12_llPT13_lli
                                        ; -- End function
	.section	.AMDGPU.csdata,"",@progbits
; Kernel info:
; codeLenInByte = 2380
; NumSgprs: 34
; NumVgprs: 91
; NumAgprs: 0
; TotalNumVgprs: 91
; ScratchSize: 0
; MemoryBound: 0
; FloatMode: 240
; IeeeMode: 1
; LDSByteSize: 4096 bytes/workgroup (compile time only)
; SGPRBlocks: 4
; VGPRBlocks: 11
; NumSGPRsForWavesPerEU: 34
; NumVGPRsForWavesPerEU: 91
; AccumOffset: 92
; Occupancy: 5
; WaveLimiterHint : 1
; COMPUTE_PGM_RSRC2:SCRATCH_EN: 0
; COMPUTE_PGM_RSRC2:USER_SGPR: 6
; COMPUTE_PGM_RSRC2:TRAP_HANDLER: 0
; COMPUTE_PGM_RSRC2:TGID_X_EN: 1
; COMPUTE_PGM_RSRC2:TGID_Y_EN: 1
; COMPUTE_PGM_RSRC2:TGID_Z_EN: 1
; COMPUTE_PGM_RSRC2:TIDIG_COMP_CNT: 1
; COMPUTE_PGM_RSRC3_GFX90A:ACCUM_OFFSET: 22
; COMPUTE_PGM_RSRC3_GFX90A:TG_SPLIT: 0
	.section	.text._ZN12_GLOBAL__N_127rocblas_gemm_batched_kernelI19rocblas_complex_numIfELi16ELi16ELi32ELi32ELi8ELi32ELi8ELi8ELi32ELc67ELc67EKS2_S3_S2_EEvlllT_PT11_llS6_llS4_PT12_llPT13_lli,"axG",@progbits,_ZN12_GLOBAL__N_127rocblas_gemm_batched_kernelI19rocblas_complex_numIfELi16ELi16ELi32ELi32ELi8ELi32ELi8ELi8ELi32ELc67ELc67EKS2_S3_S2_EEvlllT_PT11_llS6_llS4_PT12_llPT13_lli,comdat
	.globl	_ZN12_GLOBAL__N_127rocblas_gemm_batched_kernelI19rocblas_complex_numIfELi16ELi16ELi32ELi32ELi8ELi32ELi8ELi8ELi32ELc67ELc67EKS2_S3_S2_EEvlllT_PT11_llS6_llS4_PT12_llPT13_lli ; -- Begin function _ZN12_GLOBAL__N_127rocblas_gemm_batched_kernelI19rocblas_complex_numIfELi16ELi16ELi32ELi32ELi8ELi32ELi8ELi8ELi32ELc67ELc67EKS2_S3_S2_EEvlllT_PT11_llS6_llS4_PT12_llPT13_lli
	.p2align	8
	.type	_ZN12_GLOBAL__N_127rocblas_gemm_batched_kernelI19rocblas_complex_numIfELi16ELi16ELi32ELi32ELi8ELi32ELi8ELi8ELi32ELc67ELc67EKS2_S3_S2_EEvlllT_PT11_llS6_llS4_PT12_llPT13_lli,@function
_ZN12_GLOBAL__N_127rocblas_gemm_batched_kernelI19rocblas_complex_numIfELi16ELi16ELi32ELi32ELi8ELi32ELi8ELi8ELi32ELc67ELc67EKS2_S3_S2_EEvlllT_PT11_llS6_llS4_PT12_llPT13_lli: ; @_ZN12_GLOBAL__N_127rocblas_gemm_batched_kernelI19rocblas_complex_numIfELi16ELi16ELi32ELi32ELi8ELi32ELi8ELi8ELi32ELc67ELc67EKS2_S3_S2_EEvlllT_PT11_llS6_llS4_PT12_llPT13_lli
; %bb.0:
	s_load_dwordx16 s[12:27], s[4:5], 0x10
	s_load_dwordx2 s[10:11], s[4:5], 0x50
	s_mov_b32 s0, s7
	s_ashr_i32 s1, s0, 31
	s_ashr_i32 s7, s6, 31
	s_lshl_b64 s[28:29], s[0:1], 5
	s_waitcnt lgkmcnt(0)
	v_cmp_lt_i64_e64 s[0:1], s[12:13], 1
	v_bfe_u32 v49, v0, 10, 10
	v_and_b32_e32 v48, 0x3ff, v0
	s_lshl_b64 s[6:7], s[6:7], 5
	s_and_b64 vcc, exec, s[0:1]
	s_cbranch_vccnz .LBB102_3
; %bb.1:
	v_lshl_add_u32 v4, v49, 4, v48
	v_lshrrev_b32_e32 v5, 3, v4
	v_mov_b32_e32 v1, s29
	v_add_co_u32_e32 v0, vcc, s28, v5
	v_addc_co_u32_e32 v1, vcc, 0, v1, vcc
	v_and_b32_e32 v6, 7, v48
	v_mad_u64_u32 v[0:1], s[0:1], v6, s24, v[0:1]
	v_mov_b32_e32 v2, v1
	v_mad_u64_u32 v[2:3], s[0:1], v6, s25, v[2:3]
	v_mov_b32_e32 v1, v2
	v_and_b32_e32 v2, 31, v4
	v_lshrrev_b32_e32 v4, 5, v4
	v_lshlrev_b32_e32 v3, 3, v2
	v_lshl_or_b32 v52, v4, 8, v3
	v_lshlrev_b32_e32 v3, 3, v6
	v_lshl_or_b32 v3, v5, 6, v3
	v_add_u32_e32 v53, 0x800, v3
	v_mov_b32_e32 v3, 0x800
	v_lshl_add_u32 v55, v49, 6, v3
	v_mov_b32_e32 v3, s7
	v_add_co_u32_e32 v2, vcc, s6, v2
	v_addc_co_u32_e32 v3, vcc, 0, v3, vcc
	v_mul_lo_u32 v5, s19, v2
	v_mul_lo_u32 v6, s18, v3
	v_mad_u64_u32 v[2:3], s[0:1], s18, v2, 0
	s_mul_i32 s0, s21, s8
	s_mul_hi_u32 s1, s20, s8
	v_add3_u32 v3, v3, v6, v5
	s_add_i32 s1, s1, s0
	s_mul_i32 s0, s20, s8
	v_lshlrev_b64 v[2:3], 3, v[2:3]
	s_lshl_b64 s[0:1], s[0:1], 3
	v_mov_b32_e32 v5, s1
	v_add_co_u32_e32 v2, vcc, s0, v2
	v_addc_co_u32_e32 v3, vcc, v3, v5, vcc
	v_lshlrev_b32_e32 v4, 3, v4
	s_mul_i32 s0, s27, s8
	s_mul_hi_u32 s1, s26, s8
	v_add_co_u32_e32 v2, vcc, v2, v4
	s_add_i32 s1, s1, s0
	s_mul_i32 s0, s26, s8
	v_addc_co_u32_e32 v3, vcc, 0, v3, vcc
	s_lshl_b64 s[0:1], s[0:1], 3
	v_mov_b32_e32 v4, s17
	v_add_co_u32_e32 v40, vcc, s16, v2
	s_add_u32 s0, s22, s0
	v_addc_co_u32_e32 v41, vcc, v4, v3, vcc
	v_lshlrev_b64 v[0:1], 3, v[0:1]
	s_addc_u32 s1, s23, s1
	v_mov_b32_e32 v2, s1
	v_add_co_u32_e32 v0, vcc, s0, v0
	v_addc_co_u32_e32 v1, vcc, v2, v1, vcc
	v_add_co_u32_e32 v42, vcc, 4, v0
	s_lshl_b64 s[0:1], s[24:25], 6
	v_lshlrev_b32_e32 v54, 3, v48
	v_addc_co_u32_e32 v43, vcc, 0, v1, vcc
	s_mov_b64 s[2:3], 0
	v_mov_b32_e32 v37, 0
	v_mov_b32_e32 v56, s1
	v_pk_mov_b32 v[44:45], s[12:13], s[12:13] op_sel:[0,1]
	v_mov_b32_e32 v39, 0
	v_mov_b32_e32 v38, 0
	;; [unrolled: 1-line block ×7, first 2 shown]
.LBB102_2:                              ; =>This Inner Loop Header: Depth=1
	global_load_dwordx2 v[0:1], v[40:41], off
	global_load_dwordx2 v[2:3], v[42:43], off offset:-4
	v_add_co_u32_e32 v40, vcc, 64, v40
	v_addc_co_u32_e32 v41, vcc, 0, v41, vcc
	s_add_u32 s2, s2, 8
	v_add_co_u32_e32 v42, vcc, s0, v42
	v_addc_co_u32_e32 v43, vcc, v43, v56, vcc
	s_addc_u32 s3, s3, 0
	v_cmp_lt_i64_e32 vcc, s[2:3], v[44:45]
	s_and_b64 vcc, exec, vcc
	s_waitcnt vmcnt(1)
	v_xor_b32_e32 v1, 0x80000000, v1
	s_waitcnt vmcnt(0)
	v_xor_b32_e32 v3, 0x80000000, v3
	ds_write_b64 v52, v[0:1]
	ds_write_b64 v53, v[2:3]
	s_waitcnt lgkmcnt(0)
	s_barrier
	ds_read_b128 v[4:7], v55
	ds_read_b128 v[0:3], v55 offset:16
	ds_read2_b64 v[8:11], v54 offset1:16
	ds_read2_b64 v[12:15], v54 offset0:32 offset1:48
	ds_read2_b64 v[16:19], v54 offset0:64 offset1:80
	ds_read_b128 v[24:27], v55 offset:1024
	ds_read_b128 v[20:23], v55 offset:1040
	ds_read2_b64 v[28:31], v54 offset0:96 offset1:112
	ds_read2_b64 v[32:35], v54 offset0:128 offset1:144
	ds_read2_b64 v[58:61], v54 offset0:160 offset1:176
	ds_read_b128 v[62:65], v55 offset:32
	ds_read_b128 v[66:69], v55 offset:48
	ds_read2_b64 v[70:73], v54 offset0:192 offset1:208
	ds_read_b128 v[74:77], v55 offset:1056
	ds_read_b128 v[78:81], v55 offset:1072
	s_waitcnt lgkmcnt(12)
	v_mul_f32_e32 v57, v5, v9
	v_mul_f32_e32 v82, v4, v9
	;; [unrolled: 1-line block ×4, first 2 shown]
	s_waitcnt lgkmcnt(9)
	v_mul_f32_e32 v85, v25, v9
	v_mul_f32_e32 v9, v24, v9
	;; [unrolled: 1-line block ×5, first 2 shown]
	v_fma_f32 v57, v4, v8, -v57
	v_fmac_f32_e32 v82, v5, v8
	v_fma_f32 v4, v4, v10, -v83
	v_fmac_f32_e32 v84, v5, v10
	;; [unrolled: 2-line block ×4, first 2 shown]
	v_mul_f32_e32 v10, v6, v15
	v_mul_f32_e32 v87, v7, v13
	;; [unrolled: 1-line block ×6, first 2 shown]
	v_fmac_f32_e32 v88, v7, v12
	v_fmac_f32_e32 v10, v7, v14
	v_mul_f32_e32 v7, v26, v15
	v_fma_f32 v83, v6, v12, -v87
	v_fma_f32 v6, v6, v14, -v89
	v_mul_f32_e32 v15, v1, v17
	v_mul_f32_e32 v85, v0, v17
	;; [unrolled: 1-line block ×3, first 2 shown]
	v_fma_f32 v24, v26, v12, -v24
	v_fmac_f32_e32 v13, v27, v12
	v_fma_f32 v12, v26, v14, -v25
	v_fmac_f32_e32 v7, v27, v14
	v_mul_f32_e32 v14, v0, v19
	s_waitcnt lgkmcnt(8)
	v_mul_f32_e32 v25, v21, v17
	v_mul_f32_e32 v17, v20, v17
	v_mul_f32_e32 v26, v21, v19
	v_mul_f32_e32 v19, v20, v19
	s_waitcnt lgkmcnt(7)
	v_mul_f32_e32 v27, v3, v29
	v_mul_f32_e32 v87, v2, v29
	;; [unrolled: 1-line block ×3, first 2 shown]
	v_fma_f32 v15, v0, v16, -v15
	v_fmac_f32_e32 v85, v1, v16
	v_fma_f32 v86, v0, v18, -v86
	v_fmac_f32_e32 v14, v1, v18
	;; [unrolled: 2-line block ×4, first 2 shown]
	v_mul_f32_e32 v18, v2, v31
	v_mul_f32_e32 v0, v23, v29
	;; [unrolled: 1-line block ×4, first 2 shown]
	v_fma_f32 v21, v2, v28, -v27
	v_mul_f32_e32 v27, v22, v31
	v_fmac_f32_e32 v87, v3, v28
	v_fma_f32 v26, v2, v30, -v89
	v_fmac_f32_e32 v18, v3, v30
	s_waitcnt lgkmcnt(4)
	v_mul_f32_e32 v2, v63, v33
	v_mul_f32_e32 v29, v62, v33
	;; [unrolled: 1-line block ×3, first 2 shown]
	v_fma_f32 v31, v22, v28, -v0
	v_fmac_f32_e32 v20, v23, v28
	v_fma_f32 v22, v22, v30, -v1
	v_fmac_f32_e32 v27, v23, v30
	v_mul_f32_e32 v23, v62, v35
	s_waitcnt lgkmcnt(1)
	v_mul_f32_e32 v0, v75, v33
	v_mul_f32_e32 v28, v74, v33
	;; [unrolled: 1-line block ×7, first 2 shown]
	v_fma_f32 v90, v62, v32, -v2
	v_fmac_f32_e32 v29, v63, v32
	v_fma_f32 v62, v62, v34, -v3
	v_fmac_f32_e32 v23, v63, v34
	;; [unrolled: 2-line block ×4, first 2 shown]
	v_mul_f32_e32 v34, v64, v61
	v_mul_f32_e32 v0, v77, v59
	;; [unrolled: 1-line block ×5, first 2 shown]
	v_fma_f32 v33, v64, v58, -v33
	v_fmac_f32_e32 v35, v65, v58
	v_fma_f32 v64, v64, v60, -v89
	v_fmac_f32_e32 v34, v65, v60
	v_mul_f32_e32 v2, v67, v71
	v_mul_f32_e32 v65, v66, v71
	;; [unrolled: 1-line block ×3, first 2 shown]
	v_fma_f32 v74, v76, v58, -v0
	v_fmac_f32_e32 v59, v77, v58
	v_fma_f32 v58, v76, v60, -v1
	v_fmac_f32_e32 v61, v77, v60
	v_mul_f32_e32 v60, v66, v73
	s_waitcnt lgkmcnt(0)
	v_mul_f32_e32 v0, v79, v71
	v_mul_f32_e32 v71, v78, v71
	v_mul_f32_e32 v1, v79, v73
	v_fma_f32 v75, v66, v70, -v2
	v_fmac_f32_e32 v65, v67, v70
	v_fma_f32 v66, v66, v72, -v3
	v_fmac_f32_e32 v60, v67, v72
	;; [unrolled: 2-line block ×3, first 2 shown]
	v_fma_f32 v70, v78, v72, -v1
	ds_read2_b64 v[0:3], v54 offset0:224 offset1:240
	v_mul_f32_e32 v73, v78, v73
	v_fmac_f32_e32 v73, v79, v72
	v_add_f32_e32 v4, v46, v4
	v_add_f32_e32 v8, v39, v8
	s_waitcnt lgkmcnt(0)
	v_mul_f32_e32 v72, v69, v1
	v_mul_f32_e32 v77, v69, v3
	;; [unrolled: 1-line block ×3, first 2 shown]
	v_fma_f32 v72, v68, v0, -v72
	v_fma_f32 v77, v68, v2, -v77
	v_mul_f32_e32 v68, v68, v3
	v_fmac_f32_e32 v76, v69, v0
	v_fmac_f32_e32 v68, v69, v2
	v_mul_f32_e32 v69, v81, v1
	v_mul_f32_e32 v1, v80, v1
	;; [unrolled: 1-line block ×4, first 2 shown]
	v_fma_f32 v69, v80, v0, -v69
	v_fmac_f32_e32 v1, v81, v0
	v_fma_f32 v0, v80, v2, -v78
	v_fmac_f32_e32 v3, v81, v2
	v_add_f32_e32 v2, v36, v5
	v_add_f32_e32 v5, v38, v9
	;; [unrolled: 1-line block ×62, first 2 shown]
	s_barrier
	s_cbranch_vccnz .LBB102_2
	s_branch .LBB102_4
.LBB102_3:
	v_mov_b32_e32 v50, 0
	v_mov_b32_e32 v51, 0
	;; [unrolled: 1-line block ×8, first 2 shown]
.LBB102_4:
	s_load_dwordx4 s[0:3], s[4:5], 0x78
	s_load_dwordx8 s[16:23], s[4:5], 0x58
	v_mov_b32_e32 v0, s29
	v_add_co_u32_e32 v4, vcc, s28, v49
	s_waitcnt lgkmcnt(0)
	s_mul_i32 s3, s8, s3
	s_mul_hi_u32 s4, s8, s2
	s_mul_i32 s2, s8, s2
	s_add_i32 s3, s4, s3
	s_lshl_b64 s[2:3], s[2:3], 3
	s_add_u32 s4, s22, s2
	s_addc_u32 s5, s23, s3
	v_addc_co_u32_e32 v5, vcc, 0, v0, vcc
	s_or_b32 s2, s10, s11
	s_bitset0_b32 s2, 31
	v_mov_b32_e32 v1, s7
	v_add_co_u32_e32 v0, vcc, s6, v48
	s_cmp_lg_u32 s2, 0
	v_addc_co_u32_e32 v1, vcc, 0, v1, vcc
	s_cbranch_scc1 .LBB102_6
; %bb.5:
	v_mul_lo_u32 v6, v5, s0
	v_mul_lo_u32 v7, v4, s1
	v_mad_u64_u32 v[2:3], s[2:3], v4, s0, 0
	v_add3_u32 v3, v3, v7, v6
	v_lshlrev_b64 v[2:3], 3, v[2:3]
	v_mov_b32_e32 v6, s5
	v_add_co_u32_e32 v8, vcc, s4, v2
	v_addc_co_u32_e32 v9, vcc, v6, v3, vcc
	v_lshlrev_b64 v[6:7], 3, v[0:1]
	v_mul_f32_e32 v2, s15, v51
	v_mul_f32_e32 v3, s14, v51
	v_add_co_u32_e32 v6, vcc, v8, v6
	v_fma_f32 v2, v50, s14, -v2
	v_fmac_f32_e32 v3, s15, v50
	v_addc_co_u32_e32 v7, vcc, v9, v7, vcc
	global_store_dwordx2 v[6:7], v[2:3], off
	v_mul_f32_e32 v2, s15, v47
	v_mul_f32_e32 v3, s14, v47
	v_fma_f32 v2, v46, s14, -v2
	v_fmac_f32_e32 v3, s15, v46
	s_lshl_b64 s[2:3], s[0:1], 7
	global_store_dwordx2 v[6:7], v[2:3], off offset:128
	v_mul_f32_e32 v2, s15, v38
	v_mul_f32_e32 v3, s14, v38
	v_mov_b32_e32 v9, s3
	v_add_co_u32_e32 v8, vcc, s2, v6
	v_fma_f32 v2, v36, s14, -v2
	v_fmac_f32_e32 v3, s15, v36
	v_addc_co_u32_e32 v9, vcc, v7, v9, vcc
	global_store_dwordx2 v[8:9], v[2:3], off
	v_mul_f32_e32 v2, s15, v37
	v_fma_f32 v7, v39, s14, -v2
	v_mul_f32_e32 v6, s14, v37
	v_add_co_u32_e32 v2, vcc, 0x80, v8
	v_fmac_f32_e32 v6, s15, v39
	v_addc_co_u32_e32 v3, vcc, 0, v9, vcc
	global_store_dword v[8:9], v7, off offset:128
	s_cbranch_execz .LBB102_7
	s_branch .LBB102_8
.LBB102_6:
                                        ; implicit-def: $vgpr6
                                        ; implicit-def: $vgpr2_vgpr3
.LBB102_7:
	s_mul_i32 s2, s8, s21
	s_mul_hi_u32 s3, s8, s20
	s_add_i32 s3, s3, s2
	s_mul_i32 s2, s8, s20
	s_lshl_b64 s[2:3], s[2:3], 3
	s_add_u32 s6, s16, s2
	s_addc_u32 s7, s17, s3
	v_mul_lo_u32 v6, v5, s18
	v_mul_lo_u32 v7, v4, s19
	v_mad_u64_u32 v[2:3], s[2:3], v4, s18, 0
	v_add3_u32 v3, v3, v7, v6
	v_lshlrev_b64 v[2:3], 3, v[2:3]
	v_mov_b32_e32 v6, s7
	v_add_co_u32_e32 v2, vcc, s6, v2
	v_addc_co_u32_e32 v3, vcc, v6, v3, vcc
	v_lshlrev_b64 v[0:1], 3, v[0:1]
	v_add_co_u32_e32 v2, vcc, v2, v0
	v_addc_co_u32_e32 v3, vcc, v3, v1, vcc
	global_load_dwordx2 v[6:7], v[2:3], off
	v_mul_lo_u32 v8, v5, s0
	v_mul_lo_u32 v9, v4, s1
	v_mad_u64_u32 v[4:5], s[2:3], v4, s0, 0
	v_add3_u32 v5, v5, v9, v8
	v_lshlrev_b64 v[4:5], 3, v[4:5]
	v_mov_b32_e32 v10, s5
	v_add_co_u32_e32 v4, vcc, s4, v4
	v_addc_co_u32_e32 v5, vcc, v10, v5, vcc
	v_add_co_u32_e32 v0, vcc, v4, v0
	v_mul_f32_e32 v11, s15, v51
	v_mul_f32_e32 v12, s14, v51
	v_addc_co_u32_e32 v1, vcc, v5, v1, vcc
	v_fma_f32 v8, v50, s14, -v11
	v_fmac_f32_e32 v12, s15, v50
	s_lshl_b64 s[2:3], s[18:19], 7
	s_lshl_b64 s[0:1], s[0:1], 7
	s_waitcnt vmcnt(0)
	v_mul_f32_e32 v4, s11, v7
	v_mul_f32_e32 v5, s10, v7
	v_fma_f32 v4, v6, s10, -v4
	v_fmac_f32_e32 v5, s11, v6
	v_add_f32_e32 v4, v8, v4
	v_add_f32_e32 v5, v12, v5
	global_store_dwordx2 v[0:1], v[4:5], off
	global_load_dwordx2 v[4:5], v[2:3], off offset:128
	v_mov_b32_e32 v8, s3
	v_add_co_u32_e32 v2, vcc, s2, v2
	v_mul_f32_e32 v6, s15, v47
	v_mul_f32_e32 v7, s14, v47
	v_addc_co_u32_e32 v3, vcc, v3, v8, vcc
	v_fma_f32 v6, v46, s14, -v6
	v_fmac_f32_e32 v7, s15, v46
	s_waitcnt vmcnt(0)
	v_mul_f32_e32 v8, s11, v5
	v_mul_f32_e32 v5, s10, v5
	v_fma_f32 v8, v4, s10, -v8
	v_fmac_f32_e32 v5, s11, v4
	v_add_f32_e32 v4, v6, v8
	v_add_f32_e32 v5, v7, v5
	global_store_dwordx2 v[0:1], v[4:5], off offset:128
	global_load_dwordx2 v[4:5], v[2:3], off
	v_pk_mul_f32 v[6:7], v[38:39], s[14:15] op_sel_hi:[0,1]
	v_pk_fma_f32 v[8:9], v[36:37], s[14:15], v[6:7] op_sel:[0,0,1] op_sel_hi:[1,1,0] neg_lo:[0,0,1] neg_hi:[0,0,1]
	v_pk_fma_f32 v[6:7], v[36:37], s[14:15], v[6:7] op_sel:[0,0,1] op_sel_hi:[0,1,0]
	v_mov_b32_e32 v6, s1
	v_add_co_u32_e32 v0, vcc, s0, v0
	v_mov_b32_e32 v9, v7
	v_addc_co_u32_e32 v1, vcc, v1, v6, vcc
	s_waitcnt vmcnt(0)
	v_pk_mul_f32 v[6:7], v[4:5], s[10:11] op_sel:[0,1]
	v_pk_fma_f32 v[10:11], v[4:5], s[10:11], v[6:7] op_sel:[0,0,1] op_sel_hi:[1,1,0] neg_lo:[0,0,1] neg_hi:[0,0,1]
	v_pk_fma_f32 v[4:5], v[4:5], s[10:11], v[6:7] op_sel:[0,0,1] op_sel_hi:[1,0,0]
	v_mov_b32_e32 v11, v5
	v_pk_add_f32 v[4:5], v[8:9], v[10:11]
	global_store_dwordx2 v[0:1], v[4:5], off
	global_load_dwordx2 v[4:5], v[2:3], off offset:128
	v_mul_f32_e32 v2, s15, v37
	v_mul_f32_e32 v3, s14, v37
	v_fma_f32 v8, v39, s14, -v2
	v_fmac_f32_e32 v3, s15, v39
	v_add_co_u32_e32 v2, vcc, 0x80, v0
	s_waitcnt vmcnt(0)
	v_mul_f32_e32 v9, s10, v4
	v_pk_mul_f32 v[6:7], v[4:5], s[10:11] op_sel:[0,1] op_sel_hi:[1,0]
	v_fma_f32 v4, -v5, s11, v9
	v_add_f32_e32 v5, v6, v7
	v_add_f32_e32 v4, v8, v4
	;; [unrolled: 1-line block ×3, first 2 shown]
	v_addc_co_u32_e32 v3, vcc, 0, v1, vcc
	global_store_dword v[0:1], v4, off offset:128
.LBB102_8:
	global_store_dword v[2:3], v6, off offset:4
	s_endpgm
	.section	.rodata,"a",@progbits
	.p2align	6, 0x0
	.amdhsa_kernel _ZN12_GLOBAL__N_127rocblas_gemm_batched_kernelI19rocblas_complex_numIfELi16ELi16ELi32ELi32ELi8ELi32ELi8ELi8ELi32ELc67ELc67EKS2_S3_S2_EEvlllT_PT11_llS6_llS4_PT12_llPT13_lli
		.amdhsa_group_segment_fixed_size 4096
		.amdhsa_private_segment_fixed_size 0
		.amdhsa_kernarg_size 140
		.amdhsa_user_sgpr_count 6
		.amdhsa_user_sgpr_private_segment_buffer 1
		.amdhsa_user_sgpr_dispatch_ptr 0
		.amdhsa_user_sgpr_queue_ptr 0
		.amdhsa_user_sgpr_kernarg_segment_ptr 1
		.amdhsa_user_sgpr_dispatch_id 0
		.amdhsa_user_sgpr_flat_scratch_init 0
		.amdhsa_user_sgpr_kernarg_preload_length 0
		.amdhsa_user_sgpr_kernarg_preload_offset 0
		.amdhsa_user_sgpr_private_segment_size 0
		.amdhsa_uses_dynamic_stack 0
		.amdhsa_system_sgpr_private_segment_wavefront_offset 0
		.amdhsa_system_sgpr_workgroup_id_x 1
		.amdhsa_system_sgpr_workgroup_id_y 1
		.amdhsa_system_sgpr_workgroup_id_z 1
		.amdhsa_system_sgpr_workgroup_info 0
		.amdhsa_system_vgpr_workitem_id 1
		.amdhsa_next_free_vgpr 91
		.amdhsa_next_free_sgpr 30
		.amdhsa_accum_offset 92
		.amdhsa_reserve_vcc 1
		.amdhsa_reserve_flat_scratch 0
		.amdhsa_float_round_mode_32 0
		.amdhsa_float_round_mode_16_64 0
		.amdhsa_float_denorm_mode_32 3
		.amdhsa_float_denorm_mode_16_64 3
		.amdhsa_dx10_clamp 1
		.amdhsa_ieee_mode 1
		.amdhsa_fp16_overflow 0
		.amdhsa_tg_split 0
		.amdhsa_exception_fp_ieee_invalid_op 0
		.amdhsa_exception_fp_denorm_src 0
		.amdhsa_exception_fp_ieee_div_zero 0
		.amdhsa_exception_fp_ieee_overflow 0
		.amdhsa_exception_fp_ieee_underflow 0
		.amdhsa_exception_fp_ieee_inexact 0
		.amdhsa_exception_int_div_zero 0
	.end_amdhsa_kernel
	.section	.text._ZN12_GLOBAL__N_127rocblas_gemm_batched_kernelI19rocblas_complex_numIfELi16ELi16ELi32ELi32ELi8ELi32ELi8ELi8ELi32ELc67ELc67EKS2_S3_S2_EEvlllT_PT11_llS6_llS4_PT12_llPT13_lli,"axG",@progbits,_ZN12_GLOBAL__N_127rocblas_gemm_batched_kernelI19rocblas_complex_numIfELi16ELi16ELi32ELi32ELi8ELi32ELi8ELi8ELi32ELc67ELc67EKS2_S3_S2_EEvlllT_PT11_llS6_llS4_PT12_llPT13_lli,comdat
.Lfunc_end102:
	.size	_ZN12_GLOBAL__N_127rocblas_gemm_batched_kernelI19rocblas_complex_numIfELi16ELi16ELi32ELi32ELi8ELi32ELi8ELi8ELi32ELc67ELc67EKS2_S3_S2_EEvlllT_PT11_llS6_llS4_PT12_llPT13_lli, .Lfunc_end102-_ZN12_GLOBAL__N_127rocblas_gemm_batched_kernelI19rocblas_complex_numIfELi16ELi16ELi32ELi32ELi8ELi32ELi8ELi8ELi32ELc67ELc67EKS2_S3_S2_EEvlllT_PT11_llS6_llS4_PT12_llPT13_lli
                                        ; -- End function
	.section	.AMDGPU.csdata,"",@progbits
; Kernel info:
; codeLenInByte = 2404
; NumSgprs: 34
; NumVgprs: 91
; NumAgprs: 0
; TotalNumVgprs: 91
; ScratchSize: 0
; MemoryBound: 0
; FloatMode: 240
; IeeeMode: 1
; LDSByteSize: 4096 bytes/workgroup (compile time only)
; SGPRBlocks: 4
; VGPRBlocks: 11
; NumSGPRsForWavesPerEU: 34
; NumVGPRsForWavesPerEU: 91
; AccumOffset: 92
; Occupancy: 5
; WaveLimiterHint : 1
; COMPUTE_PGM_RSRC2:SCRATCH_EN: 0
; COMPUTE_PGM_RSRC2:USER_SGPR: 6
; COMPUTE_PGM_RSRC2:TRAP_HANDLER: 0
; COMPUTE_PGM_RSRC2:TGID_X_EN: 1
; COMPUTE_PGM_RSRC2:TGID_Y_EN: 1
; COMPUTE_PGM_RSRC2:TGID_Z_EN: 1
; COMPUTE_PGM_RSRC2:TIDIG_COMP_CNT: 1
; COMPUTE_PGM_RSRC3_GFX90A:ACCUM_OFFSET: 22
; COMPUTE_PGM_RSRC3_GFX90A:TG_SPLIT: 0
	.section	.text._ZN12_GLOBAL__N_127rocblas_gemm_batched_kernelI19rocblas_complex_numIfELi16ELi16ELi32ELi32ELi8ELi32ELi8ELi8ELi32ELc67ELc78EKS2_S3_S2_EEvlllT_PT11_llS6_llS4_PT12_llPT13_lli,"axG",@progbits,_ZN12_GLOBAL__N_127rocblas_gemm_batched_kernelI19rocblas_complex_numIfELi16ELi16ELi32ELi32ELi8ELi32ELi8ELi8ELi32ELc67ELc78EKS2_S3_S2_EEvlllT_PT11_llS6_llS4_PT12_llPT13_lli,comdat
	.globl	_ZN12_GLOBAL__N_127rocblas_gemm_batched_kernelI19rocblas_complex_numIfELi16ELi16ELi32ELi32ELi8ELi32ELi8ELi8ELi32ELc67ELc78EKS2_S3_S2_EEvlllT_PT11_llS6_llS4_PT12_llPT13_lli ; -- Begin function _ZN12_GLOBAL__N_127rocblas_gemm_batched_kernelI19rocblas_complex_numIfELi16ELi16ELi32ELi32ELi8ELi32ELi8ELi8ELi32ELc67ELc78EKS2_S3_S2_EEvlllT_PT11_llS6_llS4_PT12_llPT13_lli
	.p2align	8
	.type	_ZN12_GLOBAL__N_127rocblas_gemm_batched_kernelI19rocblas_complex_numIfELi16ELi16ELi32ELi32ELi8ELi32ELi8ELi8ELi32ELc67ELc78EKS2_S3_S2_EEvlllT_PT11_llS6_llS4_PT12_llPT13_lli,@function
_ZN12_GLOBAL__N_127rocblas_gemm_batched_kernelI19rocblas_complex_numIfELi16ELi16ELi32ELi32ELi8ELi32ELi8ELi8ELi32ELc67ELc78EKS2_S3_S2_EEvlllT_PT11_llS6_llS4_PT12_llPT13_lli: ; @_ZN12_GLOBAL__N_127rocblas_gemm_batched_kernelI19rocblas_complex_numIfELi16ELi16ELi32ELi32ELi8ELi32ELi8ELi8ELi32ELc67ELc78EKS2_S3_S2_EEvlllT_PT11_llS6_llS4_PT12_llPT13_lli
; %bb.0:
	s_load_dwordx16 s[12:27], s[4:5], 0x10
	s_load_dwordx2 s[10:11], s[4:5], 0x50
	s_mov_b32 s0, s7
	s_ashr_i32 s1, s0, 31
	s_ashr_i32 s7, s6, 31
	s_lshl_b64 s[28:29], s[0:1], 5
	s_waitcnt lgkmcnt(0)
	v_cmp_lt_i64_e64 s[0:1], s[12:13], 1
	v_bfe_u32 v17, v0, 10, 10
	v_and_b32_e32 v16, 0x3ff, v0
	s_lshl_b64 s[6:7], s[6:7], 5
	s_and_b64 vcc, exec, s[0:1]
	s_cbranch_vccnz .LBB103_3
; %bb.1:
	v_lshl_add_u32 v0, v17, 4, v16
	v_and_b32_e32 v4, 7, v16
	v_and_b32_e32 v5, 31, v0
	v_lshrrev_b32_e32 v1, 3, v0
	v_lshrrev_b32_e32 v6, 5, v0
	v_lshlrev_b32_e32 v0, 3, v5
	v_lshlrev_b32_e32 v7, 3, v4
	v_mov_b32_e32 v2, s29
	v_add_co_u32_e32 v3, vcc, s28, v1
	v_lshl_or_b32 v20, v6, 8, v0
	v_lshl_or_b32 v0, v1, 6, v7
	v_addc_co_u32_e32 v2, vcc, 0, v2, vcc
	v_add_u32_e32 v21, 0x800, v0
	v_mov_b32_e32 v0, 0x800
	v_lshl_add_u32 v23, v17, 6, v0
	v_mov_b32_e32 v0, s7
	v_add_co_u32_e32 v1, vcc, s6, v5
	v_addc_co_u32_e32 v0, vcc, 0, v0, vcc
	v_mul_lo_u32 v4, s19, v1
	v_mul_lo_u32 v5, s18, v0
	v_mad_u64_u32 v[0:1], s[0:1], s18, v1, 0
	s_mul_i32 s0, s21, s8
	s_mul_hi_u32 s1, s20, s8
	v_add3_u32 v1, v1, v5, v4
	s_add_i32 s1, s1, s0
	s_mul_i32 s0, s20, s8
	v_lshlrev_b64 v[0:1], 3, v[0:1]
	s_lshl_b64 s[0:1], s[0:1], 3
	v_mov_b32_e32 v4, s1
	v_add_co_u32_e32 v0, vcc, s0, v0
	v_addc_co_u32_e32 v1, vcc, v1, v4, vcc
	v_lshlrev_b32_e32 v4, 3, v6
	v_add_co_u32_e32 v0, vcc, v0, v4
	v_addc_co_u32_e32 v1, vcc, 0, v1, vcc
	v_mov_b32_e32 v4, s17
	v_add_co_u32_e32 v0, vcc, s16, v0
	v_addc_co_u32_e32 v1, vcc, v1, v4, vcc
	v_add_co_u32_e32 v4, vcc, 4, v0
	v_addc_co_u32_e32 v5, vcc, 0, v1, vcc
	v_mad_u64_u32 v[0:1], s[0:1], s24, v3, 0
	v_mul_lo_u32 v6, s25, v3
	v_mul_lo_u32 v2, s24, v2
	s_mul_i32 s0, s27, s8
	s_mul_hi_u32 s1, s26, s8
	v_add3_u32 v1, v1, v2, v6
	s_add_i32 s1, s1, s0
	s_mul_i32 s0, s26, s8
	v_lshlrev_b64 v[0:1], 3, v[0:1]
	s_lshl_b64 s[0:1], s[0:1], 3
	v_mov_b32_e32 v2, s1
	v_add_co_u32_e32 v0, vcc, s0, v0
	v_addc_co_u32_e32 v1, vcc, v1, v2, vcc
	v_add_co_u32_e32 v0, vcc, v0, v7
	v_addc_co_u32_e32 v1, vcc, 0, v1, vcc
	v_mov_b32_e32 v2, s23
	v_add_co_u32_e32 v6, vcc, s22, v0
	v_lshlrev_b32_e32 v22, 3, v16
	v_addc_co_u32_e32 v7, vcc, v2, v1, vcc
	s_mov_b64 s[0:1], 0
	v_mov_b32_e32 v1, 0
	v_pk_mov_b32 v[8:9], s[12:13], s[12:13] op_sel:[0,1]
	v_mov_b32_e32 v3, 0
	v_mov_b32_e32 v2, 0
	;; [unrolled: 1-line block ×7, first 2 shown]
.LBB103_2:                              ; =>This Inner Loop Header: Depth=1
	global_load_dwordx2 v[10:11], v[4:5], off offset:-4
	global_load_dwordx2 v[12:13], v[6:7], off
	v_add_co_u32_e32 v4, vcc, 64, v4
	v_addc_co_u32_e32 v5, vcc, 0, v5, vcc
	s_add_u32 s0, s0, 8
	v_add_co_u32_e32 v6, vcc, 64, v6
	v_addc_co_u32_e32 v7, vcc, 0, v7, vcc
	s_addc_u32 s1, s1, 0
	v_cmp_lt_i64_e32 vcc, s[0:1], v[8:9]
	s_and_b64 vcc, exec, vcc
	s_waitcnt vmcnt(1)
	v_xor_b32_e32 v11, 0x80000000, v11
	s_waitcnt vmcnt(0)
	ds_write_b64 v21, v[12:13]
	ds_write_b64 v20, v[10:11]
	s_waitcnt lgkmcnt(0)
	s_barrier
	ds_read_b128 v[10:13], v23
	ds_read_b128 v[24:27], v23 offset:16
	ds_read2_b64 v[28:31], v22 offset1:16
	ds_read2_b64 v[32:35], v22 offset0:32 offset1:48
	ds_read2_b64 v[36:39], v22 offset0:64 offset1:80
	ds_read_b128 v[40:43], v23 offset:1024
	ds_read_b128 v[44:47], v23 offset:1040
	ds_read2_b64 v[48:51], v22 offset0:96 offset1:112
	ds_read2_b64 v[52:55], v22 offset0:128 offset1:144
	;; [unrolled: 1-line block ×3, first 2 shown]
	ds_read_b128 v[60:63], v23 offset:32
	ds_read_b128 v[64:67], v23 offset:48
	ds_read2_b64 v[68:71], v22 offset0:192 offset1:208
	ds_read_b128 v[72:75], v23 offset:1056
	ds_read_b128 v[76:79], v23 offset:1072
	ds_read2_b64 v[80:83], v22 offset0:224 offset1:240
	s_waitcnt lgkmcnt(13)
	v_mul_f32_e32 v84, v11, v29
	v_mul_f32_e32 v85, v10, v29
	;; [unrolled: 1-line block ×4, first 2 shown]
	s_waitcnt lgkmcnt(10)
	v_mul_f32_e32 v88, v41, v29
	v_mul_f32_e32 v29, v40, v29
	;; [unrolled: 1-line block ×4, first 2 shown]
	v_fma_f32 v84, v10, v28, -v84
	v_fmac_f32_e32 v85, v11, v28
	v_fma_f32 v10, v10, v30, -v86
	v_fmac_f32_e32 v87, v11, v30
	;; [unrolled: 2-line block ×4, first 2 shown]
	v_mul_f32_e32 v30, v13, v33
	v_mul_f32_e32 v40, v12, v33
	;; [unrolled: 1-line block ×4, first 2 shown]
	v_fma_f32 v30, v12, v32, -v30
	v_fmac_f32_e32 v40, v13, v32
	v_fma_f32 v12, v12, v34, -v41
	v_fmac_f32_e32 v86, v13, v34
	v_mul_f32_e32 v13, v43, v33
	v_mul_f32_e32 v33, v42, v33
	;; [unrolled: 1-line block ×4, first 2 shown]
	v_fma_f32 v13, v42, v32, -v13
	v_fmac_f32_e32 v33, v43, v32
	v_fma_f32 v32, v42, v34, -v41
	v_fmac_f32_e32 v35, v43, v34
	v_mul_f32_e32 v34, v25, v37
	v_mul_f32_e32 v41, v24, v37
	;; [unrolled: 1-line block ×4, first 2 shown]
	s_waitcnt lgkmcnt(9)
	v_mul_f32_e32 v88, v45, v37
	v_mul_f32_e32 v37, v44, v37
	;; [unrolled: 1-line block ×4, first 2 shown]
	v_fma_f32 v34, v24, v36, -v34
	v_fmac_f32_e32 v41, v25, v36
	v_fma_f32 v24, v24, v38, -v42
	v_fmac_f32_e32 v43, v25, v38
	;; [unrolled: 2-line block ×4, first 2 shown]
	s_waitcnt lgkmcnt(8)
	v_mul_f32_e32 v38, v27, v49
	v_mul_f32_e32 v42, v26, v49
	v_mul_f32_e32 v44, v27, v51
	v_mul_f32_e32 v45, v26, v51
	v_fma_f32 v38, v26, v48, -v38
	v_fmac_f32_e32 v42, v27, v48
	v_fma_f32 v26, v26, v50, -v44
	v_fmac_f32_e32 v45, v27, v50
	v_mul_f32_e32 v27, v47, v49
	v_mul_f32_e32 v44, v46, v49
	;; [unrolled: 1-line block ×4, first 2 shown]
	v_fma_f32 v27, v46, v48, -v27
	v_fmac_f32_e32 v44, v47, v48
	v_fma_f32 v46, v46, v50, -v49
	v_fmac_f32_e32 v51, v47, v50
	s_waitcnt lgkmcnt(5)
	v_mul_f32_e32 v47, v61, v53
	v_mul_f32_e32 v48, v60, v53
	;; [unrolled: 1-line block ×4, first 2 shown]
	s_waitcnt lgkmcnt(2)
	v_mul_f32_e32 v88, v73, v53
	v_mul_f32_e32 v53, v72, v53
	;; [unrolled: 1-line block ×4, first 2 shown]
	v_add_f32_e32 v0, v0, v11
	v_add_f32_e32 v2, v2, v29
	;; [unrolled: 1-line block ×8, first 2 shown]
	v_fma_f32 v47, v60, v52, -v47
	v_fmac_f32_e32 v48, v61, v52
	v_fma_f32 v49, v60, v54, -v49
	v_fmac_f32_e32 v50, v61, v54
	;; [unrolled: 2-line block ×4, first 2 shown]
	v_mul_f32_e32 v54, v63, v57
	v_mul_f32_e32 v61, v62, v57
	;; [unrolled: 1-line block ×4, first 2 shown]
	v_add_f32_e32 v11, v11, v30
	v_add_f32_e32 v15, v18, v40
	;; [unrolled: 1-line block ×8, first 2 shown]
	v_fma_f32 v54, v62, v56, -v54
	v_fmac_f32_e32 v61, v63, v56
	v_fma_f32 v62, v62, v58, -v72
	v_fmac_f32_e32 v73, v63, v58
	v_mul_f32_e32 v63, v75, v57
	v_mul_f32_e32 v57, v74, v57
	;; [unrolled: 1-line block ×4, first 2 shown]
	v_add_f32_e32 v11, v11, v34
	v_add_f32_e32 v13, v15, v41
	v_add_f32_e32 v10, v10, v24
	v_add_f32_e32 v12, v12, v43
	v_add_f32_e32 v0, v0, v25
	v_add_f32_e32 v2, v2, v37
	v_add_f32_e32 v3, v3, v36
	v_add_f32_e32 v1, v1, v39
	v_fma_f32 v63, v74, v56, -v63
	v_fmac_f32_e32 v57, v75, v56
	v_fma_f32 v56, v74, v58, -v72
	v_fmac_f32_e32 v59, v75, v58
	v_mul_f32_e32 v58, v65, v69
	v_mul_f32_e32 v72, v64, v69
	;; [unrolled: 1-line block ×4, first 2 shown]
	s_waitcnt lgkmcnt(1)
	v_mul_f32_e32 v88, v77, v69
	v_mul_f32_e32 v69, v76, v69
	;; [unrolled: 1-line block ×4, first 2 shown]
	v_add_f32_e32 v11, v11, v38
	v_add_f32_e32 v13, v13, v42
	;; [unrolled: 1-line block ×8, first 2 shown]
	v_fma_f32 v58, v64, v68, -v58
	v_fmac_f32_e32 v72, v65, v68
	v_fma_f32 v64, v64, v70, -v74
	v_fmac_f32_e32 v75, v65, v70
	;; [unrolled: 2-line block ×4, first 2 shown]
	s_waitcnt lgkmcnt(0)
	v_mul_f32_e32 v70, v67, v81
	v_mul_f32_e32 v74, v66, v81
	;; [unrolled: 1-line block ×4, first 2 shown]
	v_add_f32_e32 v11, v11, v47
	v_add_f32_e32 v13, v13, v48
	;; [unrolled: 1-line block ×8, first 2 shown]
	v_fma_f32 v70, v66, v80, -v70
	v_fmac_f32_e32 v74, v67, v80
	v_fma_f32 v66, v66, v82, -v76
	v_fmac_f32_e32 v77, v67, v82
	v_mul_f32_e32 v67, v79, v81
	v_mul_f32_e32 v76, v78, v81
	;; [unrolled: 1-line block ×4, first 2 shown]
	v_add_f32_e32 v11, v11, v54
	v_add_f32_e32 v13, v13, v61
	;; [unrolled: 1-line block ×8, first 2 shown]
	v_fma_f32 v67, v78, v80, -v67
	v_fmac_f32_e32 v76, v79, v80
	v_fma_f32 v78, v78, v82, -v81
	v_fmac_f32_e32 v83, v79, v82
	v_add_f32_e32 v11, v11, v58
	v_add_f32_e32 v13, v13, v72
	;; [unrolled: 1-line block ×16, first 2 shown]
	s_barrier
	s_cbranch_vccnz .LBB103_2
	s_branch .LBB103_4
.LBB103_3:
	v_mov_b32_e32 v18, 0
	v_mov_b32_e32 v19, 0
	v_mov_b32_e32 v14, 0
	v_mov_b32_e32 v15, 0
	v_mov_b32_e32 v0, 0
	v_mov_b32_e32 v2, 0
	v_mov_b32_e32 v3, 0
	v_mov_b32_e32 v1, 0
.LBB103_4:
	s_load_dwordx4 s[0:3], s[4:5], 0x78
	s_load_dwordx8 s[16:23], s[4:5], 0x58
	v_mov_b32_e32 v4, s29
	v_add_co_u32_e32 v8, vcc, s28, v17
	s_waitcnt lgkmcnt(0)
	s_mul_i32 s3, s8, s3
	s_mul_hi_u32 s4, s8, s2
	s_mul_i32 s2, s8, s2
	s_add_i32 s3, s4, s3
	s_lshl_b64 s[2:3], s[2:3], 3
	s_add_u32 s4, s22, s2
	s_addc_u32 s5, s23, s3
	v_addc_co_u32_e32 v9, vcc, 0, v4, vcc
	s_or_b32 s2, s10, s11
	s_bitset0_b32 s2, 31
	v_mov_b32_e32 v5, s7
	v_add_co_u32_e32 v4, vcc, s6, v16
	s_cmp_lg_u32 s2, 0
	v_addc_co_u32_e32 v5, vcc, 0, v5, vcc
	s_cbranch_scc1 .LBB103_6
; %bb.5:
	v_mul_lo_u32 v10, v9, s0
	v_mul_lo_u32 v11, v8, s1
	v_mad_u64_u32 v[6:7], s[2:3], v8, s0, 0
	v_add3_u32 v7, v7, v11, v10
	v_lshlrev_b64 v[6:7], 3, v[6:7]
	v_mov_b32_e32 v10, s5
	v_add_co_u32_e32 v12, vcc, s4, v6
	v_addc_co_u32_e32 v13, vcc, v10, v7, vcc
	v_lshlrev_b64 v[10:11], 3, v[4:5]
	v_mul_f32_e32 v6, s15, v19
	v_mul_f32_e32 v7, s14, v19
	v_add_co_u32_e32 v10, vcc, v12, v10
	v_fma_f32 v6, v18, s14, -v6
	v_fmac_f32_e32 v7, s15, v18
	v_addc_co_u32_e32 v11, vcc, v13, v11, vcc
	global_store_dwordx2 v[10:11], v[6:7], off
	v_mul_f32_e32 v6, s15, v15
	v_mul_f32_e32 v7, s14, v15
	v_fma_f32 v6, v14, s14, -v6
	v_fmac_f32_e32 v7, s15, v14
	s_lshl_b64 s[2:3], s[0:1], 7
	global_store_dwordx2 v[10:11], v[6:7], off offset:128
	v_mul_f32_e32 v6, s15, v2
	v_mul_f32_e32 v7, s14, v2
	v_mov_b32_e32 v13, s3
	v_add_co_u32_e32 v12, vcc, s2, v10
	v_fma_f32 v6, v0, s14, -v6
	v_fmac_f32_e32 v7, s15, v0
	v_addc_co_u32_e32 v13, vcc, v11, v13, vcc
	global_store_dwordx2 v[12:13], v[6:7], off
	v_mul_f32_e32 v6, s15, v1
	v_fma_f32 v11, v3, s14, -v6
	v_mul_f32_e32 v10, s14, v1
	v_add_co_u32_e32 v6, vcc, 0x80, v12
	v_fmac_f32_e32 v10, s15, v3
	v_addc_co_u32_e32 v7, vcc, 0, v13, vcc
	global_store_dword v[12:13], v11, off offset:128
	s_cbranch_execz .LBB103_7
	s_branch .LBB103_8
.LBB103_6:
                                        ; implicit-def: $vgpr10
                                        ; implicit-def: $vgpr6_vgpr7
.LBB103_7:
	s_mul_i32 s2, s8, s21
	s_mul_hi_u32 s3, s8, s20
	s_add_i32 s3, s3, s2
	s_mul_i32 s2, s8, s20
	s_lshl_b64 s[2:3], s[2:3], 3
	s_add_u32 s6, s16, s2
	s_addc_u32 s7, s17, s3
	v_mul_lo_u32 v10, v9, s18
	v_mul_lo_u32 v11, v8, s19
	v_mad_u64_u32 v[6:7], s[2:3], v8, s18, 0
	v_add3_u32 v7, v7, v11, v10
	v_lshlrev_b64 v[6:7], 3, v[6:7]
	v_mov_b32_e32 v10, s7
	v_add_co_u32_e32 v6, vcc, s6, v6
	v_addc_co_u32_e32 v7, vcc, v10, v7, vcc
	v_lshlrev_b64 v[4:5], 3, v[4:5]
	v_add_co_u32_e32 v6, vcc, v6, v4
	v_addc_co_u32_e32 v7, vcc, v7, v5, vcc
	global_load_dwordx2 v[10:11], v[6:7], off
	v_mul_lo_u32 v12, v9, s0
	v_mul_lo_u32 v13, v8, s1
	v_mad_u64_u32 v[8:9], s[2:3], v8, s0, 0
	v_add3_u32 v9, v9, v13, v12
	v_lshlrev_b64 v[8:9], 3, v[8:9]
	v_mov_b32_e32 v16, s5
	v_add_co_u32_e32 v8, vcc, s4, v8
	v_addc_co_u32_e32 v9, vcc, v16, v9, vcc
	v_add_co_u32_e32 v4, vcc, v8, v4
	v_mul_f32_e32 v17, s15, v19
	v_mul_f32_e32 v19, s14, v19
	v_addc_co_u32_e32 v5, vcc, v9, v5, vcc
	v_fma_f32 v12, v18, s14, -v17
	v_fmac_f32_e32 v19, s15, v18
	s_lshl_b64 s[2:3], s[18:19], 7
	s_lshl_b64 s[0:1], s[0:1], 7
	s_waitcnt vmcnt(0)
	v_mul_f32_e32 v8, s11, v11
	v_mul_f32_e32 v9, s10, v11
	v_fma_f32 v8, v10, s10, -v8
	v_fmac_f32_e32 v9, s11, v10
	v_add_f32_e32 v8, v12, v8
	v_add_f32_e32 v9, v19, v9
	global_store_dwordx2 v[4:5], v[8:9], off
	global_load_dwordx2 v[8:9], v[6:7], off offset:128
	v_mov_b32_e32 v12, s3
	v_add_co_u32_e32 v6, vcc, s2, v6
	v_mul_f32_e32 v10, s15, v15
	v_mul_f32_e32 v11, s14, v15
	v_addc_co_u32_e32 v7, vcc, v7, v12, vcc
	v_fma_f32 v10, v14, s14, -v10
	v_fmac_f32_e32 v11, s15, v14
	s_waitcnt vmcnt(0)
	v_mul_f32_e32 v12, s11, v9
	v_mul_f32_e32 v9, s10, v9
	v_fma_f32 v12, v8, s10, -v12
	v_fmac_f32_e32 v9, s11, v8
	v_add_f32_e32 v8, v10, v12
	v_add_f32_e32 v9, v11, v9
	global_store_dwordx2 v[4:5], v[8:9], off offset:128
	global_load_dwordx2 v[8:9], v[6:7], off
	v_pk_mul_f32 v[10:11], v[2:3], s[14:15] op_sel_hi:[0,1]
	v_pk_fma_f32 v[12:13], v[0:1], s[14:15], v[10:11] op_sel:[0,0,1] op_sel_hi:[1,1,0] neg_lo:[0,0,1] neg_hi:[0,0,1]
	v_pk_fma_f32 v[10:11], v[0:1], s[14:15], v[10:11] op_sel:[0,0,1] op_sel_hi:[0,1,0]
	v_mov_b32_e32 v13, v11
	v_mov_b32_e32 v0, s1
	v_add_co_u32_e32 v4, vcc, s0, v4
	v_addc_co_u32_e32 v5, vcc, v5, v0, vcc
	v_mul_f32_e32 v0, s15, v1
	v_mul_f32_e32 v2, s14, v1
	v_fmac_f32_e32 v2, s15, v3
	s_waitcnt vmcnt(0)
	v_pk_mul_f32 v[10:11], v[8:9], s[10:11] op_sel:[0,1]
	v_pk_fma_f32 v[14:15], v[8:9], s[10:11], v[10:11] op_sel:[0,0,1] op_sel_hi:[1,1,0] neg_lo:[0,0,1] neg_hi:[0,0,1]
	v_pk_fma_f32 v[8:9], v[8:9], s[10:11], v[10:11] op_sel:[0,0,1] op_sel_hi:[1,0,0]
	v_mov_b32_e32 v15, v9
	v_pk_add_f32 v[8:9], v[12:13], v[14:15]
	global_store_dwordx2 v[4:5], v[8:9], off
	global_load_dwordx2 v[8:9], v[6:7], off offset:128
	v_fma_f32 v7, v3, s14, -v0
	v_add_co_u32_e32 v6, vcc, 0x80, v4
	s_waitcnt vmcnt(0)
	v_mul_f32_e32 v3, s10, v8
	v_pk_mul_f32 v[0:1], v[8:9], s[10:11] op_sel:[0,1] op_sel_hi:[1,0]
	v_fma_f32 v3, -v9, s11, v3
	v_add_f32_e32 v0, v0, v1
	v_add_f32_e32 v1, v7, v3
	;; [unrolled: 1-line block ×3, first 2 shown]
	v_addc_co_u32_e32 v7, vcc, 0, v5, vcc
	global_store_dword v[4:5], v1, off offset:128
.LBB103_8:
	global_store_dword v[6:7], v10, off offset:4
	s_endpgm
	.section	.rodata,"a",@progbits
	.p2align	6, 0x0
	.amdhsa_kernel _ZN12_GLOBAL__N_127rocblas_gemm_batched_kernelI19rocblas_complex_numIfELi16ELi16ELi32ELi32ELi8ELi32ELi8ELi8ELi32ELc67ELc78EKS2_S3_S2_EEvlllT_PT11_llS6_llS4_PT12_llPT13_lli
		.amdhsa_group_segment_fixed_size 4096
		.amdhsa_private_segment_fixed_size 0
		.amdhsa_kernarg_size 140
		.amdhsa_user_sgpr_count 6
		.amdhsa_user_sgpr_private_segment_buffer 1
		.amdhsa_user_sgpr_dispatch_ptr 0
		.amdhsa_user_sgpr_queue_ptr 0
		.amdhsa_user_sgpr_kernarg_segment_ptr 1
		.amdhsa_user_sgpr_dispatch_id 0
		.amdhsa_user_sgpr_flat_scratch_init 0
		.amdhsa_user_sgpr_kernarg_preload_length 0
		.amdhsa_user_sgpr_kernarg_preload_offset 0
		.amdhsa_user_sgpr_private_segment_size 0
		.amdhsa_uses_dynamic_stack 0
		.amdhsa_system_sgpr_private_segment_wavefront_offset 0
		.amdhsa_system_sgpr_workgroup_id_x 1
		.amdhsa_system_sgpr_workgroup_id_y 1
		.amdhsa_system_sgpr_workgroup_id_z 1
		.amdhsa_system_sgpr_workgroup_info 0
		.amdhsa_system_vgpr_workitem_id 1
		.amdhsa_next_free_vgpr 90
		.amdhsa_next_free_sgpr 30
		.amdhsa_accum_offset 92
		.amdhsa_reserve_vcc 1
		.amdhsa_reserve_flat_scratch 0
		.amdhsa_float_round_mode_32 0
		.amdhsa_float_round_mode_16_64 0
		.amdhsa_float_denorm_mode_32 3
		.amdhsa_float_denorm_mode_16_64 3
		.amdhsa_dx10_clamp 1
		.amdhsa_ieee_mode 1
		.amdhsa_fp16_overflow 0
		.amdhsa_tg_split 0
		.amdhsa_exception_fp_ieee_invalid_op 0
		.amdhsa_exception_fp_denorm_src 0
		.amdhsa_exception_fp_ieee_div_zero 0
		.amdhsa_exception_fp_ieee_overflow 0
		.amdhsa_exception_fp_ieee_underflow 0
		.amdhsa_exception_fp_ieee_inexact 0
		.amdhsa_exception_int_div_zero 0
	.end_amdhsa_kernel
	.section	.text._ZN12_GLOBAL__N_127rocblas_gemm_batched_kernelI19rocblas_complex_numIfELi16ELi16ELi32ELi32ELi8ELi32ELi8ELi8ELi32ELc67ELc78EKS2_S3_S2_EEvlllT_PT11_llS6_llS4_PT12_llPT13_lli,"axG",@progbits,_ZN12_GLOBAL__N_127rocblas_gemm_batched_kernelI19rocblas_complex_numIfELi16ELi16ELi32ELi32ELi8ELi32ELi8ELi8ELi32ELc67ELc78EKS2_S3_S2_EEvlllT_PT11_llS6_llS4_PT12_llPT13_lli,comdat
.Lfunc_end103:
	.size	_ZN12_GLOBAL__N_127rocblas_gemm_batched_kernelI19rocblas_complex_numIfELi16ELi16ELi32ELi32ELi8ELi32ELi8ELi8ELi32ELc67ELc78EKS2_S3_S2_EEvlllT_PT11_llS6_llS4_PT12_llPT13_lli, .Lfunc_end103-_ZN12_GLOBAL__N_127rocblas_gemm_batched_kernelI19rocblas_complex_numIfELi16ELi16ELi32ELi32ELi8ELi32ELi8ELi8ELi32ELc67ELc78EKS2_S3_S2_EEvlllT_PT11_llS6_llS4_PT12_llPT13_lli
                                        ; -- End function
	.section	.AMDGPU.csdata,"",@progbits
; Kernel info:
; codeLenInByte = 2408
; NumSgprs: 34
; NumVgprs: 90
; NumAgprs: 0
; TotalNumVgprs: 90
; ScratchSize: 0
; MemoryBound: 0
; FloatMode: 240
; IeeeMode: 1
; LDSByteSize: 4096 bytes/workgroup (compile time only)
; SGPRBlocks: 4
; VGPRBlocks: 11
; NumSGPRsForWavesPerEU: 34
; NumVGPRsForWavesPerEU: 90
; AccumOffset: 92
; Occupancy: 5
; WaveLimiterHint : 1
; COMPUTE_PGM_RSRC2:SCRATCH_EN: 0
; COMPUTE_PGM_RSRC2:USER_SGPR: 6
; COMPUTE_PGM_RSRC2:TRAP_HANDLER: 0
; COMPUTE_PGM_RSRC2:TGID_X_EN: 1
; COMPUTE_PGM_RSRC2:TGID_Y_EN: 1
; COMPUTE_PGM_RSRC2:TGID_Z_EN: 1
; COMPUTE_PGM_RSRC2:TIDIG_COMP_CNT: 1
; COMPUTE_PGM_RSRC3_GFX90A:ACCUM_OFFSET: 22
; COMPUTE_PGM_RSRC3_GFX90A:TG_SPLIT: 0
	.section	.text._ZN12_GLOBAL__N_127rocblas_gemm_batched_kernelI19rocblas_complex_numIfELi16ELi16ELi32ELi32ELi8ELi32ELi8ELi8ELi32ELc67ELc84EKS2_S3_S2_EEvlllT_PT11_llS6_llS4_PT12_llPT13_lli,"axG",@progbits,_ZN12_GLOBAL__N_127rocblas_gemm_batched_kernelI19rocblas_complex_numIfELi16ELi16ELi32ELi32ELi8ELi32ELi8ELi8ELi32ELc67ELc84EKS2_S3_S2_EEvlllT_PT11_llS6_llS4_PT12_llPT13_lli,comdat
	.globl	_ZN12_GLOBAL__N_127rocblas_gemm_batched_kernelI19rocblas_complex_numIfELi16ELi16ELi32ELi32ELi8ELi32ELi8ELi8ELi32ELc67ELc84EKS2_S3_S2_EEvlllT_PT11_llS6_llS4_PT12_llPT13_lli ; -- Begin function _ZN12_GLOBAL__N_127rocblas_gemm_batched_kernelI19rocblas_complex_numIfELi16ELi16ELi32ELi32ELi8ELi32ELi8ELi8ELi32ELc67ELc84EKS2_S3_S2_EEvlllT_PT11_llS6_llS4_PT12_llPT13_lli
	.p2align	8
	.type	_ZN12_GLOBAL__N_127rocblas_gemm_batched_kernelI19rocblas_complex_numIfELi16ELi16ELi32ELi32ELi8ELi32ELi8ELi8ELi32ELc67ELc84EKS2_S3_S2_EEvlllT_PT11_llS6_llS4_PT12_llPT13_lli,@function
_ZN12_GLOBAL__N_127rocblas_gemm_batched_kernelI19rocblas_complex_numIfELi16ELi16ELi32ELi32ELi8ELi32ELi8ELi8ELi32ELc67ELc84EKS2_S3_S2_EEvlllT_PT11_llS6_llS4_PT12_llPT13_lli: ; @_ZN12_GLOBAL__N_127rocblas_gemm_batched_kernelI19rocblas_complex_numIfELi16ELi16ELi32ELi32ELi8ELi32ELi8ELi8ELi32ELc67ELc84EKS2_S3_S2_EEvlllT_PT11_llS6_llS4_PT12_llPT13_lli
; %bb.0:
	s_load_dwordx16 s[12:27], s[4:5], 0x10
	s_load_dwordx2 s[10:11], s[4:5], 0x50
	s_mov_b32 s0, s7
	s_ashr_i32 s1, s0, 31
	s_ashr_i32 s7, s6, 31
	s_lshl_b64 s[28:29], s[0:1], 5
	s_waitcnt lgkmcnt(0)
	v_cmp_lt_i64_e64 s[0:1], s[12:13], 1
	v_bfe_u32 v49, v0, 10, 10
	v_and_b32_e32 v48, 0x3ff, v0
	s_lshl_b64 s[6:7], s[6:7], 5
	s_and_b64 vcc, exec, s[0:1]
	s_cbranch_vccnz .LBB104_3
; %bb.1:
	v_lshl_add_u32 v4, v49, 4, v48
	v_lshrrev_b32_e32 v5, 3, v4
	v_mov_b32_e32 v1, s29
	v_add_co_u32_e32 v0, vcc, s28, v5
	v_addc_co_u32_e32 v1, vcc, 0, v1, vcc
	v_and_b32_e32 v6, 7, v48
	v_mad_u64_u32 v[0:1], s[0:1], v6, s24, v[0:1]
	v_mov_b32_e32 v2, v1
	v_mad_u64_u32 v[2:3], s[0:1], v6, s25, v[2:3]
	v_mov_b32_e32 v1, v2
	v_and_b32_e32 v2, 31, v4
	v_lshrrev_b32_e32 v4, 5, v4
	v_lshlrev_b32_e32 v3, 3, v2
	v_lshl_or_b32 v52, v4, 8, v3
	v_lshlrev_b32_e32 v3, 3, v6
	v_lshl_or_b32 v3, v5, 6, v3
	v_add_u32_e32 v53, 0x800, v3
	v_mov_b32_e32 v3, 0x800
	v_lshl_add_u32 v55, v49, 6, v3
	v_mov_b32_e32 v3, s7
	v_add_co_u32_e32 v2, vcc, s6, v2
	v_addc_co_u32_e32 v3, vcc, 0, v3, vcc
	v_mul_lo_u32 v5, s19, v2
	v_mul_lo_u32 v6, s18, v3
	v_mad_u64_u32 v[2:3], s[0:1], s18, v2, 0
	s_mul_i32 s0, s21, s8
	s_mul_hi_u32 s1, s20, s8
	v_add3_u32 v3, v3, v6, v5
	s_add_i32 s1, s1, s0
	s_mul_i32 s0, s20, s8
	v_lshlrev_b64 v[2:3], 3, v[2:3]
	s_lshl_b64 s[0:1], s[0:1], 3
	v_mov_b32_e32 v5, s1
	v_add_co_u32_e32 v2, vcc, s0, v2
	v_addc_co_u32_e32 v3, vcc, v3, v5, vcc
	v_lshlrev_b32_e32 v4, 3, v4
	v_add_co_u32_e32 v2, vcc, v2, v4
	v_addc_co_u32_e32 v3, vcc, 0, v3, vcc
	s_mul_i32 s0, s27, s8
	s_mul_hi_u32 s1, s26, s8
	v_mov_b32_e32 v4, s17
	v_add_co_u32_e32 v2, vcc, s16, v2
	s_add_i32 s1, s1, s0
	s_mul_i32 s0, s26, s8
	v_addc_co_u32_e32 v3, vcc, v3, v4, vcc
	s_lshl_b64 s[0:1], s[0:1], 3
	v_add_co_u32_e32 v40, vcc, 4, v2
	s_add_u32 s0, s22, s0
	v_addc_co_u32_e32 v41, vcc, 0, v3, vcc
	v_lshlrev_b64 v[0:1], 3, v[0:1]
	s_addc_u32 s1, s23, s1
	v_mov_b32_e32 v2, s1
	v_add_co_u32_e32 v42, vcc, s0, v0
	s_lshl_b64 s[0:1], s[24:25], 6
	v_lshlrev_b32_e32 v54, 3, v48
	v_addc_co_u32_e32 v43, vcc, v2, v1, vcc
	s_mov_b64 s[2:3], 0
	v_mov_b32_e32 v37, 0
	v_mov_b32_e32 v56, s1
	v_pk_mov_b32 v[44:45], s[12:13], s[12:13] op_sel:[0,1]
	v_mov_b32_e32 v39, 0
	v_mov_b32_e32 v38, 0
	;; [unrolled: 1-line block ×7, first 2 shown]
.LBB104_2:                              ; =>This Inner Loop Header: Depth=1
	global_load_dwordx2 v[0:1], v[40:41], off offset:-4
	global_load_dwordx2 v[2:3], v[42:43], off
	v_add_co_u32_e32 v40, vcc, 64, v40
	v_addc_co_u32_e32 v41, vcc, 0, v41, vcc
	s_add_u32 s2, s2, 8
	v_add_co_u32_e32 v42, vcc, s0, v42
	v_addc_co_u32_e32 v43, vcc, v43, v56, vcc
	s_addc_u32 s3, s3, 0
	v_cmp_lt_i64_e32 vcc, s[2:3], v[44:45]
	s_and_b64 vcc, exec, vcc
	s_waitcnt vmcnt(1)
	v_xor_b32_e32 v1, 0x80000000, v1
	s_waitcnt vmcnt(0)
	ds_write_b64 v53, v[2:3]
	ds_write_b64 v52, v[0:1]
	s_waitcnt lgkmcnt(0)
	s_barrier
	ds_read_b128 v[4:7], v55
	ds_read_b128 v[0:3], v55 offset:16
	ds_read2_b64 v[8:11], v54 offset1:16
	ds_read2_b64 v[12:15], v54 offset0:32 offset1:48
	ds_read2_b64 v[16:19], v54 offset0:64 offset1:80
	ds_read_b128 v[24:27], v55 offset:1024
	ds_read_b128 v[20:23], v55 offset:1040
	ds_read2_b64 v[28:31], v54 offset0:96 offset1:112
	ds_read2_b64 v[32:35], v54 offset0:128 offset1:144
	;; [unrolled: 1-line block ×3, first 2 shown]
	ds_read_b128 v[62:65], v55 offset:32
	ds_read_b128 v[66:69], v55 offset:48
	ds_read2_b64 v[70:73], v54 offset0:192 offset1:208
	ds_read_b128 v[74:77], v55 offset:1056
	ds_read_b128 v[78:81], v55 offset:1072
	s_waitcnt lgkmcnt(12)
	v_mul_f32_e32 v57, v5, v9
	v_mul_f32_e32 v82, v4, v9
	;; [unrolled: 1-line block ×4, first 2 shown]
	s_waitcnt lgkmcnt(9)
	v_mul_f32_e32 v85, v25, v9
	v_mul_f32_e32 v9, v24, v9
	;; [unrolled: 1-line block ×5, first 2 shown]
	v_fma_f32 v57, v4, v8, -v57
	v_fmac_f32_e32 v82, v5, v8
	v_fma_f32 v4, v4, v10, -v83
	v_fmac_f32_e32 v84, v5, v10
	;; [unrolled: 2-line block ×4, first 2 shown]
	v_mul_f32_e32 v10, v6, v15
	v_mul_f32_e32 v87, v7, v13
	;; [unrolled: 1-line block ×6, first 2 shown]
	v_fmac_f32_e32 v88, v7, v12
	v_fmac_f32_e32 v10, v7, v14
	v_mul_f32_e32 v7, v26, v15
	v_fma_f32 v83, v6, v12, -v87
	v_fma_f32 v6, v6, v14, -v89
	v_mul_f32_e32 v15, v1, v17
	v_mul_f32_e32 v85, v0, v17
	;; [unrolled: 1-line block ×3, first 2 shown]
	v_fma_f32 v24, v26, v12, -v24
	v_fmac_f32_e32 v13, v27, v12
	v_fma_f32 v12, v26, v14, -v25
	v_fmac_f32_e32 v7, v27, v14
	v_mul_f32_e32 v14, v0, v19
	s_waitcnt lgkmcnt(8)
	v_mul_f32_e32 v25, v21, v17
	v_mul_f32_e32 v17, v20, v17
	;; [unrolled: 1-line block ×4, first 2 shown]
	s_waitcnt lgkmcnt(7)
	v_mul_f32_e32 v27, v3, v29
	v_mul_f32_e32 v87, v2, v29
	;; [unrolled: 1-line block ×3, first 2 shown]
	v_fma_f32 v15, v0, v16, -v15
	v_fmac_f32_e32 v85, v1, v16
	v_fma_f32 v86, v0, v18, -v86
	v_fmac_f32_e32 v14, v1, v18
	;; [unrolled: 2-line block ×4, first 2 shown]
	v_mul_f32_e32 v18, v2, v31
	v_mul_f32_e32 v0, v23, v29
	;; [unrolled: 1-line block ×4, first 2 shown]
	v_fma_f32 v21, v2, v28, -v27
	v_mul_f32_e32 v27, v22, v31
	v_fmac_f32_e32 v87, v3, v28
	v_fma_f32 v26, v2, v30, -v89
	v_fmac_f32_e32 v18, v3, v30
	s_waitcnt lgkmcnt(4)
	v_mul_f32_e32 v2, v63, v33
	v_mul_f32_e32 v29, v62, v33
	;; [unrolled: 1-line block ×3, first 2 shown]
	v_fma_f32 v31, v22, v28, -v0
	v_fmac_f32_e32 v20, v23, v28
	v_fma_f32 v22, v22, v30, -v1
	v_fmac_f32_e32 v27, v23, v30
	v_mul_f32_e32 v23, v62, v35
	s_waitcnt lgkmcnt(1)
	v_mul_f32_e32 v0, v75, v33
	v_mul_f32_e32 v28, v74, v33
	;; [unrolled: 1-line block ×7, first 2 shown]
	v_fma_f32 v90, v62, v32, -v2
	v_fmac_f32_e32 v29, v63, v32
	v_fma_f32 v62, v62, v34, -v3
	v_fmac_f32_e32 v23, v63, v34
	;; [unrolled: 2-line block ×4, first 2 shown]
	v_mul_f32_e32 v34, v64, v61
	v_mul_f32_e32 v0, v77, v59
	v_mul_f32_e32 v59, v76, v59
	v_mul_f32_e32 v1, v77, v61
	v_mul_f32_e32 v61, v76, v61
	v_fma_f32 v33, v64, v58, -v33
	v_fmac_f32_e32 v35, v65, v58
	v_fma_f32 v64, v64, v60, -v89
	v_fmac_f32_e32 v34, v65, v60
	v_mul_f32_e32 v2, v67, v71
	v_mul_f32_e32 v65, v66, v71
	;; [unrolled: 1-line block ×3, first 2 shown]
	v_fma_f32 v74, v76, v58, -v0
	v_fmac_f32_e32 v59, v77, v58
	v_fma_f32 v58, v76, v60, -v1
	v_fmac_f32_e32 v61, v77, v60
	v_mul_f32_e32 v60, v66, v73
	s_waitcnt lgkmcnt(0)
	v_mul_f32_e32 v0, v79, v71
	v_mul_f32_e32 v71, v78, v71
	;; [unrolled: 1-line block ×3, first 2 shown]
	v_fma_f32 v75, v66, v70, -v2
	v_fmac_f32_e32 v65, v67, v70
	v_fma_f32 v66, v66, v72, -v3
	v_fmac_f32_e32 v60, v67, v72
	;; [unrolled: 2-line block ×3, first 2 shown]
	v_fma_f32 v70, v78, v72, -v1
	ds_read2_b64 v[0:3], v54 offset0:224 offset1:240
	v_mul_f32_e32 v73, v78, v73
	v_fmac_f32_e32 v73, v79, v72
	v_add_f32_e32 v4, v46, v4
	v_add_f32_e32 v8, v39, v8
	s_waitcnt lgkmcnt(0)
	v_mul_f32_e32 v72, v69, v1
	v_mul_f32_e32 v77, v69, v3
	;; [unrolled: 1-line block ×3, first 2 shown]
	v_fma_f32 v72, v68, v0, -v72
	v_fma_f32 v77, v68, v2, -v77
	v_mul_f32_e32 v68, v68, v3
	v_fmac_f32_e32 v76, v69, v0
	v_fmac_f32_e32 v68, v69, v2
	v_mul_f32_e32 v69, v81, v1
	v_mul_f32_e32 v1, v80, v1
	;; [unrolled: 1-line block ×4, first 2 shown]
	v_fma_f32 v69, v80, v0, -v69
	v_fmac_f32_e32 v1, v81, v0
	v_fma_f32 v0, v80, v2, -v78
	v_fmac_f32_e32 v3, v81, v2
	v_add_f32_e32 v2, v36, v5
	v_add_f32_e32 v5, v38, v9
	;; [unrolled: 1-line block ×62, first 2 shown]
	s_barrier
	s_cbranch_vccnz .LBB104_2
	s_branch .LBB104_4
.LBB104_3:
	v_mov_b32_e32 v50, 0
	v_mov_b32_e32 v51, 0
	;; [unrolled: 1-line block ×8, first 2 shown]
.LBB104_4:
	s_load_dwordx4 s[0:3], s[4:5], 0x78
	s_load_dwordx8 s[16:23], s[4:5], 0x58
	v_mov_b32_e32 v0, s29
	v_add_co_u32_e32 v4, vcc, s28, v49
	s_waitcnt lgkmcnt(0)
	s_mul_i32 s3, s8, s3
	s_mul_hi_u32 s4, s8, s2
	s_mul_i32 s2, s8, s2
	s_add_i32 s3, s4, s3
	s_lshl_b64 s[2:3], s[2:3], 3
	s_add_u32 s4, s22, s2
	s_addc_u32 s5, s23, s3
	v_addc_co_u32_e32 v5, vcc, 0, v0, vcc
	s_or_b32 s2, s10, s11
	s_bitset0_b32 s2, 31
	v_mov_b32_e32 v1, s7
	v_add_co_u32_e32 v0, vcc, s6, v48
	s_cmp_lg_u32 s2, 0
	v_addc_co_u32_e32 v1, vcc, 0, v1, vcc
	s_cbranch_scc1 .LBB104_6
; %bb.5:
	v_mul_lo_u32 v6, v5, s0
	v_mul_lo_u32 v7, v4, s1
	v_mad_u64_u32 v[2:3], s[2:3], v4, s0, 0
	v_add3_u32 v3, v3, v7, v6
	v_lshlrev_b64 v[2:3], 3, v[2:3]
	v_mov_b32_e32 v6, s5
	v_add_co_u32_e32 v8, vcc, s4, v2
	v_addc_co_u32_e32 v9, vcc, v6, v3, vcc
	v_lshlrev_b64 v[6:7], 3, v[0:1]
	v_mul_f32_e32 v2, s15, v51
	v_mul_f32_e32 v3, s14, v51
	v_add_co_u32_e32 v6, vcc, v8, v6
	v_fma_f32 v2, v50, s14, -v2
	v_fmac_f32_e32 v3, s15, v50
	v_addc_co_u32_e32 v7, vcc, v9, v7, vcc
	global_store_dwordx2 v[6:7], v[2:3], off
	v_mul_f32_e32 v2, s15, v47
	v_mul_f32_e32 v3, s14, v47
	v_fma_f32 v2, v46, s14, -v2
	v_fmac_f32_e32 v3, s15, v46
	s_lshl_b64 s[2:3], s[0:1], 7
	global_store_dwordx2 v[6:7], v[2:3], off offset:128
	v_mul_f32_e32 v2, s15, v38
	v_mul_f32_e32 v3, s14, v38
	v_mov_b32_e32 v9, s3
	v_add_co_u32_e32 v8, vcc, s2, v6
	v_fma_f32 v2, v36, s14, -v2
	v_fmac_f32_e32 v3, s15, v36
	v_addc_co_u32_e32 v9, vcc, v7, v9, vcc
	global_store_dwordx2 v[8:9], v[2:3], off
	v_mul_f32_e32 v2, s15, v37
	v_fma_f32 v7, v39, s14, -v2
	v_mul_f32_e32 v6, s14, v37
	v_add_co_u32_e32 v2, vcc, 0x80, v8
	v_fmac_f32_e32 v6, s15, v39
	v_addc_co_u32_e32 v3, vcc, 0, v9, vcc
	global_store_dword v[8:9], v7, off offset:128
	s_cbranch_execz .LBB104_7
	s_branch .LBB104_8
.LBB104_6:
                                        ; implicit-def: $vgpr6
                                        ; implicit-def: $vgpr2_vgpr3
.LBB104_7:
	s_mul_i32 s2, s8, s21
	s_mul_hi_u32 s3, s8, s20
	s_add_i32 s3, s3, s2
	s_mul_i32 s2, s8, s20
	s_lshl_b64 s[2:3], s[2:3], 3
	s_add_u32 s6, s16, s2
	s_addc_u32 s7, s17, s3
	v_mul_lo_u32 v6, v5, s18
	v_mul_lo_u32 v7, v4, s19
	v_mad_u64_u32 v[2:3], s[2:3], v4, s18, 0
	v_add3_u32 v3, v3, v7, v6
	v_lshlrev_b64 v[2:3], 3, v[2:3]
	v_mov_b32_e32 v6, s7
	v_add_co_u32_e32 v2, vcc, s6, v2
	v_addc_co_u32_e32 v3, vcc, v6, v3, vcc
	v_lshlrev_b64 v[0:1], 3, v[0:1]
	v_add_co_u32_e32 v2, vcc, v2, v0
	v_addc_co_u32_e32 v3, vcc, v3, v1, vcc
	global_load_dwordx2 v[6:7], v[2:3], off
	v_mul_lo_u32 v8, v5, s0
	v_mul_lo_u32 v9, v4, s1
	v_mad_u64_u32 v[4:5], s[2:3], v4, s0, 0
	v_add3_u32 v5, v5, v9, v8
	v_lshlrev_b64 v[4:5], 3, v[4:5]
	v_mov_b32_e32 v10, s5
	v_add_co_u32_e32 v4, vcc, s4, v4
	v_addc_co_u32_e32 v5, vcc, v10, v5, vcc
	v_add_co_u32_e32 v0, vcc, v4, v0
	v_mul_f32_e32 v11, s15, v51
	v_mul_f32_e32 v12, s14, v51
	v_addc_co_u32_e32 v1, vcc, v5, v1, vcc
	v_fma_f32 v8, v50, s14, -v11
	v_fmac_f32_e32 v12, s15, v50
	s_lshl_b64 s[2:3], s[18:19], 7
	s_lshl_b64 s[0:1], s[0:1], 7
	s_waitcnt vmcnt(0)
	v_mul_f32_e32 v4, s11, v7
	v_mul_f32_e32 v5, s10, v7
	v_fma_f32 v4, v6, s10, -v4
	v_fmac_f32_e32 v5, s11, v6
	v_add_f32_e32 v4, v8, v4
	v_add_f32_e32 v5, v12, v5
	global_store_dwordx2 v[0:1], v[4:5], off
	global_load_dwordx2 v[4:5], v[2:3], off offset:128
	v_mov_b32_e32 v8, s3
	v_add_co_u32_e32 v2, vcc, s2, v2
	v_mul_f32_e32 v6, s15, v47
	v_mul_f32_e32 v7, s14, v47
	v_addc_co_u32_e32 v3, vcc, v3, v8, vcc
	v_fma_f32 v6, v46, s14, -v6
	v_fmac_f32_e32 v7, s15, v46
	s_waitcnt vmcnt(0)
	v_mul_f32_e32 v8, s11, v5
	v_mul_f32_e32 v5, s10, v5
	v_fma_f32 v8, v4, s10, -v8
	v_fmac_f32_e32 v5, s11, v4
	v_add_f32_e32 v4, v6, v8
	v_add_f32_e32 v5, v7, v5
	global_store_dwordx2 v[0:1], v[4:5], off offset:128
	global_load_dwordx2 v[4:5], v[2:3], off
	v_pk_mul_f32 v[6:7], v[38:39], s[14:15] op_sel_hi:[0,1]
	v_pk_fma_f32 v[8:9], v[36:37], s[14:15], v[6:7] op_sel:[0,0,1] op_sel_hi:[1,1,0] neg_lo:[0,0,1] neg_hi:[0,0,1]
	v_pk_fma_f32 v[6:7], v[36:37], s[14:15], v[6:7] op_sel:[0,0,1] op_sel_hi:[0,1,0]
	v_mov_b32_e32 v6, s1
	v_add_co_u32_e32 v0, vcc, s0, v0
	v_mov_b32_e32 v9, v7
	v_addc_co_u32_e32 v1, vcc, v1, v6, vcc
	s_waitcnt vmcnt(0)
	v_pk_mul_f32 v[6:7], v[4:5], s[10:11] op_sel:[0,1]
	v_pk_fma_f32 v[10:11], v[4:5], s[10:11], v[6:7] op_sel:[0,0,1] op_sel_hi:[1,1,0] neg_lo:[0,0,1] neg_hi:[0,0,1]
	v_pk_fma_f32 v[4:5], v[4:5], s[10:11], v[6:7] op_sel:[0,0,1] op_sel_hi:[1,0,0]
	v_mov_b32_e32 v11, v5
	v_pk_add_f32 v[4:5], v[8:9], v[10:11]
	global_store_dwordx2 v[0:1], v[4:5], off
	global_load_dwordx2 v[4:5], v[2:3], off offset:128
	v_mul_f32_e32 v2, s15, v37
	v_mul_f32_e32 v3, s14, v37
	v_fma_f32 v8, v39, s14, -v2
	v_fmac_f32_e32 v3, s15, v39
	v_add_co_u32_e32 v2, vcc, 0x80, v0
	s_waitcnt vmcnt(0)
	v_mul_f32_e32 v9, s10, v4
	v_pk_mul_f32 v[6:7], v[4:5], s[10:11] op_sel:[0,1] op_sel_hi:[1,0]
	v_fma_f32 v4, -v5, s11, v9
	v_add_f32_e32 v5, v6, v7
	v_add_f32_e32 v4, v8, v4
	;; [unrolled: 1-line block ×3, first 2 shown]
	v_addc_co_u32_e32 v3, vcc, 0, v1, vcc
	global_store_dword v[0:1], v4, off offset:128
.LBB104_8:
	global_store_dword v[2:3], v6, off offset:4
	s_endpgm
	.section	.rodata,"a",@progbits
	.p2align	6, 0x0
	.amdhsa_kernel _ZN12_GLOBAL__N_127rocblas_gemm_batched_kernelI19rocblas_complex_numIfELi16ELi16ELi32ELi32ELi8ELi32ELi8ELi8ELi32ELc67ELc84EKS2_S3_S2_EEvlllT_PT11_llS6_llS4_PT12_llPT13_lli
		.amdhsa_group_segment_fixed_size 4096
		.amdhsa_private_segment_fixed_size 0
		.amdhsa_kernarg_size 140
		.amdhsa_user_sgpr_count 6
		.amdhsa_user_sgpr_private_segment_buffer 1
		.amdhsa_user_sgpr_dispatch_ptr 0
		.amdhsa_user_sgpr_queue_ptr 0
		.amdhsa_user_sgpr_kernarg_segment_ptr 1
		.amdhsa_user_sgpr_dispatch_id 0
		.amdhsa_user_sgpr_flat_scratch_init 0
		.amdhsa_user_sgpr_kernarg_preload_length 0
		.amdhsa_user_sgpr_kernarg_preload_offset 0
		.amdhsa_user_sgpr_private_segment_size 0
		.amdhsa_uses_dynamic_stack 0
		.amdhsa_system_sgpr_private_segment_wavefront_offset 0
		.amdhsa_system_sgpr_workgroup_id_x 1
		.amdhsa_system_sgpr_workgroup_id_y 1
		.amdhsa_system_sgpr_workgroup_id_z 1
		.amdhsa_system_sgpr_workgroup_info 0
		.amdhsa_system_vgpr_workitem_id 1
		.amdhsa_next_free_vgpr 91
		.amdhsa_next_free_sgpr 30
		.amdhsa_accum_offset 92
		.amdhsa_reserve_vcc 1
		.amdhsa_reserve_flat_scratch 0
		.amdhsa_float_round_mode_32 0
		.amdhsa_float_round_mode_16_64 0
		.amdhsa_float_denorm_mode_32 3
		.amdhsa_float_denorm_mode_16_64 3
		.amdhsa_dx10_clamp 1
		.amdhsa_ieee_mode 1
		.amdhsa_fp16_overflow 0
		.amdhsa_tg_split 0
		.amdhsa_exception_fp_ieee_invalid_op 0
		.amdhsa_exception_fp_denorm_src 0
		.amdhsa_exception_fp_ieee_div_zero 0
		.amdhsa_exception_fp_ieee_overflow 0
		.amdhsa_exception_fp_ieee_underflow 0
		.amdhsa_exception_fp_ieee_inexact 0
		.amdhsa_exception_int_div_zero 0
	.end_amdhsa_kernel
	.section	.text._ZN12_GLOBAL__N_127rocblas_gemm_batched_kernelI19rocblas_complex_numIfELi16ELi16ELi32ELi32ELi8ELi32ELi8ELi8ELi32ELc67ELc84EKS2_S3_S2_EEvlllT_PT11_llS6_llS4_PT12_llPT13_lli,"axG",@progbits,_ZN12_GLOBAL__N_127rocblas_gemm_batched_kernelI19rocblas_complex_numIfELi16ELi16ELi32ELi32ELi8ELi32ELi8ELi8ELi32ELc67ELc84EKS2_S3_S2_EEvlllT_PT11_llS6_llS4_PT12_llPT13_lli,comdat
.Lfunc_end104:
	.size	_ZN12_GLOBAL__N_127rocblas_gemm_batched_kernelI19rocblas_complex_numIfELi16ELi16ELi32ELi32ELi8ELi32ELi8ELi8ELi32ELc67ELc84EKS2_S3_S2_EEvlllT_PT11_llS6_llS4_PT12_llPT13_lli, .Lfunc_end104-_ZN12_GLOBAL__N_127rocblas_gemm_batched_kernelI19rocblas_complex_numIfELi16ELi16ELi32ELi32ELi8ELi32ELi8ELi8ELi32ELc67ELc84EKS2_S3_S2_EEvlllT_PT11_llS6_llS4_PT12_llPT13_lli
                                        ; -- End function
	.section	.AMDGPU.csdata,"",@progbits
; Kernel info:
; codeLenInByte = 2396
; NumSgprs: 34
; NumVgprs: 91
; NumAgprs: 0
; TotalNumVgprs: 91
; ScratchSize: 0
; MemoryBound: 0
; FloatMode: 240
; IeeeMode: 1
; LDSByteSize: 4096 bytes/workgroup (compile time only)
; SGPRBlocks: 4
; VGPRBlocks: 11
; NumSGPRsForWavesPerEU: 34
; NumVGPRsForWavesPerEU: 91
; AccumOffset: 92
; Occupancy: 5
; WaveLimiterHint : 1
; COMPUTE_PGM_RSRC2:SCRATCH_EN: 0
; COMPUTE_PGM_RSRC2:USER_SGPR: 6
; COMPUTE_PGM_RSRC2:TRAP_HANDLER: 0
; COMPUTE_PGM_RSRC2:TGID_X_EN: 1
; COMPUTE_PGM_RSRC2:TGID_Y_EN: 1
; COMPUTE_PGM_RSRC2:TGID_Z_EN: 1
; COMPUTE_PGM_RSRC2:TIDIG_COMP_CNT: 1
; COMPUTE_PGM_RSRC3_GFX90A:ACCUM_OFFSET: 22
; COMPUTE_PGM_RSRC3_GFX90A:TG_SPLIT: 0
	.section	.text._ZN12_GLOBAL__N_127rocblas_gemm_batched_kernelI19rocblas_complex_numIfELi16ELi16ELi32ELi32ELi8ELi32ELi8ELi8ELi32ELc78ELc67EKS2_S3_S2_EEvlllT_PT11_llS6_llS4_PT12_llPT13_lli,"axG",@progbits,_ZN12_GLOBAL__N_127rocblas_gemm_batched_kernelI19rocblas_complex_numIfELi16ELi16ELi32ELi32ELi8ELi32ELi8ELi8ELi32ELc78ELc67EKS2_S3_S2_EEvlllT_PT11_llS6_llS4_PT12_llPT13_lli,comdat
	.globl	_ZN12_GLOBAL__N_127rocblas_gemm_batched_kernelI19rocblas_complex_numIfELi16ELi16ELi32ELi32ELi8ELi32ELi8ELi8ELi32ELc78ELc67EKS2_S3_S2_EEvlllT_PT11_llS6_llS4_PT12_llPT13_lli ; -- Begin function _ZN12_GLOBAL__N_127rocblas_gemm_batched_kernelI19rocblas_complex_numIfELi16ELi16ELi32ELi32ELi8ELi32ELi8ELi8ELi32ELc78ELc67EKS2_S3_S2_EEvlllT_PT11_llS6_llS4_PT12_llPT13_lli
	.p2align	8
	.type	_ZN12_GLOBAL__N_127rocblas_gemm_batched_kernelI19rocblas_complex_numIfELi16ELi16ELi32ELi32ELi8ELi32ELi8ELi8ELi32ELc78ELc67EKS2_S3_S2_EEvlllT_PT11_llS6_llS4_PT12_llPT13_lli,@function
_ZN12_GLOBAL__N_127rocblas_gemm_batched_kernelI19rocblas_complex_numIfELi16ELi16ELi32ELi32ELi8ELi32ELi8ELi8ELi32ELc78ELc67EKS2_S3_S2_EEvlllT_PT11_llS6_llS4_PT12_llPT13_lli: ; @_ZN12_GLOBAL__N_127rocblas_gemm_batched_kernelI19rocblas_complex_numIfELi16ELi16ELi32ELi32ELi8ELi32ELi8ELi8ELi32ELc78ELc67EKS2_S3_S2_EEvlllT_PT11_llS6_llS4_PT12_llPT13_lli
; %bb.0:
	s_load_dwordx16 s[12:27], s[4:5], 0x10
	s_load_dwordx2 s[10:11], s[4:5], 0x50
	s_mov_b32 s0, s7
	s_ashr_i32 s1, s0, 31
	s_ashr_i32 s7, s6, 31
	s_lshl_b64 s[28:29], s[0:1], 5
	s_waitcnt lgkmcnt(0)
	v_cmp_lt_i64_e64 s[0:1], s[12:13], 1
	v_bfe_u32 v49, v0, 10, 10
	v_and_b32_e32 v48, 0x3ff, v0
	s_lshl_b64 s[6:7], s[6:7], 5
	s_and_b64 vcc, exec, s[0:1]
	s_cbranch_vccnz .LBB105_3
; %bb.1:
	v_lshl_add_u32 v4, v49, 4, v48
	v_lshrrev_b32_e32 v5, 3, v4
	v_mov_b32_e32 v1, s29
	v_add_co_u32_e32 v0, vcc, s28, v5
	v_addc_co_u32_e32 v1, vcc, 0, v1, vcc
	v_and_b32_e32 v6, 7, v48
	v_mad_u64_u32 v[0:1], s[0:1], v6, s24, v[0:1]
	v_mov_b32_e32 v2, v1
	v_mad_u64_u32 v[2:3], s[0:1], v6, s25, v[2:3]
	v_and_b32_e32 v7, 31, v4
	v_mov_b32_e32 v1, v2
	v_lshrrev_b32_e32 v8, 5, v4
	v_lshlrev_b32_e32 v2, 3, v7
	v_lshl_or_b32 v52, v8, 8, v2
	v_lshlrev_b32_e32 v2, 3, v6
	v_lshl_or_b32 v2, v5, 6, v2
	v_add_u32_e32 v53, 0x800, v2
	v_mov_b32_e32 v2, 0x800
	v_lshl_add_u32 v55, v49, 6, v2
	v_pk_mov_b32 v[2:3], s[6:7], s[6:7] op_sel:[0,1]
	v_mad_u64_u32 v[2:3], s[2:3], v8, s18, v[2:3]
	s_mul_i32 s0, s21, s8
	s_mul_hi_u32 s1, s20, s8
	v_mov_b32_e32 v4, v3
	s_add_i32 s1, s1, s0
	s_mul_i32 s0, s20, s8
	v_mad_u64_u32 v[4:5], s[2:3], v8, s19, v[4:5]
	s_lshl_b64 s[0:1], s[0:1], 3
	v_mov_b32_e32 v3, v4
	v_add_co_u32_e32 v2, vcc, v2, v7
	v_addc_co_u32_e32 v3, vcc, 0, v3, vcc
	s_add_u32 s0, s16, s0
	s_mul_i32 s2, s27, s8
	s_mul_hi_u32 s3, s26, s8
	v_lshlrev_b64 v[2:3], 3, v[2:3]
	s_addc_u32 s1, s17, s1
	s_add_i32 s3, s3, s2
	s_mul_i32 s2, s26, s8
	v_mov_b32_e32 v4, s1
	v_add_co_u32_e32 v40, vcc, s0, v2
	s_lshl_b64 s[0:1], s[18:19], 6
	s_lshl_b64 s[2:3], s[2:3], 3
	s_add_u32 s2, s22, s2
	v_addc_co_u32_e32 v41, vcc, v4, v3, vcc
	v_lshlrev_b64 v[0:1], 3, v[0:1]
	s_addc_u32 s3, s23, s3
	v_mov_b32_e32 v2, s3
	v_add_co_u32_e32 v0, vcc, s2, v0
	v_addc_co_u32_e32 v1, vcc, v2, v1, vcc
	v_add_co_u32_e32 v42, vcc, 4, v0
	s_lshl_b64 s[2:3], s[24:25], 6
	v_lshlrev_b32_e32 v54, 3, v48
	v_addc_co_u32_e32 v43, vcc, 0, v1, vcc
	s_mov_b64 s[16:17], 0
	v_mov_b32_e32 v37, 0
	v_mov_b32_e32 v56, s1
	;; [unrolled: 1-line block ×3, first 2 shown]
	v_pk_mov_b32 v[44:45], s[12:13], s[12:13] op_sel:[0,1]
	v_mov_b32_e32 v39, 0
	v_mov_b32_e32 v38, 0
	;; [unrolled: 1-line block ×7, first 2 shown]
.LBB105_2:                              ; =>This Inner Loop Header: Depth=1
	global_load_dwordx2 v[0:1], v[40:41], off
	global_load_dwordx2 v[2:3], v[42:43], off offset:-4
	v_add_co_u32_e32 v40, vcc, s0, v40
	v_addc_co_u32_e32 v41, vcc, v41, v56, vcc
	s_add_u32 s16, s16, 8
	v_add_co_u32_e32 v42, vcc, s2, v42
	v_addc_co_u32_e32 v43, vcc, v43, v57, vcc
	s_addc_u32 s17, s17, 0
	v_cmp_lt_i64_e32 vcc, s[16:17], v[44:45]
	s_and_b64 vcc, exec, vcc
	s_waitcnt vmcnt(1)
	ds_write_b64 v52, v[0:1]
	s_waitcnt vmcnt(0)
	v_xor_b32_e32 v3, 0x80000000, v3
	ds_write_b64 v53, v[2:3]
	s_waitcnt lgkmcnt(0)
	s_barrier
	ds_read_b128 v[4:7], v55
	ds_read_b128 v[0:3], v55 offset:16
	ds_read2_b64 v[8:11], v54 offset1:16
	ds_read2_b64 v[12:15], v54 offset0:32 offset1:48
	ds_read2_b64 v[16:19], v54 offset0:64 offset1:80
	ds_read_b128 v[24:27], v55 offset:1024
	ds_read_b128 v[20:23], v55 offset:1040
	ds_read2_b64 v[28:31], v54 offset0:96 offset1:112
	ds_read2_b64 v[32:35], v54 offset0:128 offset1:144
	;; [unrolled: 1-line block ×3, first 2 shown]
	ds_read_b128 v[62:65], v55 offset:32
	ds_read_b128 v[66:69], v55 offset:48
	ds_read2_b64 v[70:73], v54 offset0:192 offset1:208
	ds_read_b128 v[74:77], v55 offset:1056
	ds_read_b128 v[78:81], v55 offset:1072
	s_waitcnt lgkmcnt(12)
	v_mul_f32_e32 v82, v5, v9
	v_mul_f32_e32 v83, v4, v9
	;; [unrolled: 1-line block ×4, first 2 shown]
	s_waitcnt lgkmcnt(9)
	v_mul_f32_e32 v86, v25, v9
	v_mul_f32_e32 v9, v24, v9
	;; [unrolled: 1-line block ×6, first 2 shown]
	v_fma_f32 v82, v4, v8, -v82
	v_fmac_f32_e32 v83, v5, v8
	v_fma_f32 v4, v4, v10, -v84
	v_fmac_f32_e32 v85, v5, v10
	;; [unrolled: 2-line block ×4, first 2 shown]
	v_mul_f32_e32 v10, v7, v15
	v_mul_f32_e32 v24, v6, v15
	;; [unrolled: 1-line block ×4, first 2 shown]
	v_fma_f32 v84, v6, v12, -v88
	v_fmac_f32_e32 v89, v7, v12
	v_fma_f32 v6, v6, v14, -v10
	v_fmac_f32_e32 v24, v7, v14
	v_mul_f32_e32 v7, v27, v15
	v_mul_f32_e32 v10, v26, v15
	;; [unrolled: 1-line block ×3, first 2 shown]
	v_fma_f32 v25, v26, v12, -v25
	v_fmac_f32_e32 v13, v27, v12
	v_mul_f32_e32 v12, v1, v19
	v_mul_f32_e32 v86, v0, v17
	v_fma_f32 v7, v26, v14, -v7
	v_fmac_f32_e32 v10, v27, v14
	v_mul_f32_e32 v14, v0, v19
	s_waitcnt lgkmcnt(8)
	v_mul_f32_e32 v26, v21, v17
	v_mul_f32_e32 v17, v20, v17
	;; [unrolled: 1-line block ×3, first 2 shown]
	v_fma_f32 v15, v0, v16, -v15
	v_fma_f32 v12, v0, v18, -v12
	s_waitcnt lgkmcnt(7)
	v_mul_f32_e32 v0, v3, v31
	v_mul_f32_e32 v19, v20, v19
	;; [unrolled: 1-line block ×3, first 2 shown]
	v_fmac_f32_e32 v86, v1, v16
	v_fmac_f32_e32 v14, v1, v18
	v_fma_f32 v26, v20, v16, -v26
	v_fmac_f32_e32 v17, v21, v16
	v_fma_f32 v16, v20, v18, -v27
	v_mul_f32_e32 v1, v23, v29
	v_fma_f32 v27, v2, v30, -v0
	v_mul_f32_e32 v0, v23, v31
	v_mul_f32_e32 v88, v2, v29
	v_fmac_f32_e32 v19, v21, v18
	v_mul_f32_e32 v18, v2, v31
	v_mul_f32_e32 v20, v22, v29
	v_fma_f32 v21, v2, v28, -v87
	v_mul_f32_e32 v29, v22, v31
	s_waitcnt lgkmcnt(4)
	v_mul_f32_e32 v2, v63, v33
	v_fma_f32 v87, v22, v28, -v1
	v_fma_f32 v22, v22, v30, -v0
	v_mul_f32_e32 v0, v63, v35
	v_fmac_f32_e32 v88, v3, v28
	v_fmac_f32_e32 v18, v3, v30
	v_mul_f32_e32 v31, v62, v33
	v_fmac_f32_e32 v20, v23, v28
	v_fmac_f32_e32 v29, v23, v30
	v_mul_f32_e32 v23, v62, v35
	s_waitcnt lgkmcnt(1)
	v_mul_f32_e32 v1, v75, v33
	v_mul_f32_e32 v28, v74, v33
	;; [unrolled: 1-line block ×5, first 2 shown]
	v_fma_f32 v90, v62, v32, -v2
	v_fma_f32 v62, v62, v34, -v0
	v_mul_f32_e32 v0, v65, v61
	v_mul_f32_e32 v35, v64, v59
	v_fmac_f32_e32 v31, v63, v32
	v_fmac_f32_e32 v23, v63, v34
	v_fma_f32 v63, v74, v32, -v1
	v_fmac_f32_e32 v28, v75, v32
	v_fma_f32 v32, v74, v34, -v3
	v_fmac_f32_e32 v30, v75, v34
	v_mul_f32_e32 v34, v64, v61
	v_mul_f32_e32 v1, v77, v59
	;; [unrolled: 1-line block ×3, first 2 shown]
	v_fma_f32 v33, v64, v58, -v33
	v_fma_f32 v64, v64, v60, -v0
	v_mul_f32_e32 v0, v77, v61
	v_mul_f32_e32 v61, v76, v61
	v_fmac_f32_e32 v35, v65, v58
	v_fmac_f32_e32 v34, v65, v60
	v_mul_f32_e32 v2, v67, v71
	v_mul_f32_e32 v65, v66, v71
	v_fma_f32 v74, v76, v58, -v1
	v_fmac_f32_e32 v59, v77, v58
	v_fma_f32 v58, v76, v60, -v0
	v_fmac_f32_e32 v61, v77, v60
	v_mul_f32_e32 v0, v67, v73
	v_mul_f32_e32 v60, v66, v73
	s_waitcnt lgkmcnt(0)
	v_mul_f32_e32 v1, v79, v71
	v_mul_f32_e32 v71, v78, v71
	;; [unrolled: 1-line block ×3, first 2 shown]
	v_fma_f32 v75, v66, v70, -v2
	v_fmac_f32_e32 v65, v67, v70
	v_fma_f32 v66, v66, v72, -v0
	v_fmac_f32_e32 v60, v67, v72
	;; [unrolled: 2-line block ×3, first 2 shown]
	v_fma_f32 v70, v78, v72, -v3
	ds_read2_b64 v[0:3], v54 offset0:224 offset1:240
	v_mul_f32_e32 v73, v78, v73
	v_fmac_f32_e32 v73, v79, v72
	v_add_f32_e32 v4, v46, v4
	v_add_f32_e32 v8, v39, v8
	s_waitcnt lgkmcnt(0)
	v_mul_f32_e32 v72, v69, v1
	v_mul_f32_e32 v77, v69, v3
	v_mul_f32_e32 v76, v68, v1
	v_fma_f32 v72, v68, v0, -v72
	v_fma_f32 v77, v68, v2, -v77
	v_mul_f32_e32 v68, v68, v3
	v_fmac_f32_e32 v76, v69, v0
	v_fmac_f32_e32 v68, v69, v2
	v_mul_f32_e32 v69, v81, v1
	v_mul_f32_e32 v1, v80, v1
	v_fma_f32 v69, v80, v0, -v69
	v_fmac_f32_e32 v1, v81, v0
	v_mul_f32_e32 v0, v81, v3
	v_mul_f32_e32 v3, v80, v3
	v_fma_f32 v0, v80, v2, -v0
	v_fmac_f32_e32 v3, v81, v2
	v_add_f32_e32 v2, v36, v5
	v_add_f32_e32 v5, v38, v9
	;; [unrolled: 1-line block ×62, first 2 shown]
	s_barrier
	s_cbranch_vccnz .LBB105_2
	s_branch .LBB105_4
.LBB105_3:
	v_mov_b32_e32 v50, 0
	v_mov_b32_e32 v51, 0
	;; [unrolled: 1-line block ×8, first 2 shown]
.LBB105_4:
	s_load_dwordx4 s[0:3], s[4:5], 0x78
	s_load_dwordx8 s[16:23], s[4:5], 0x58
	v_mov_b32_e32 v0, s29
	v_add_co_u32_e32 v4, vcc, s28, v49
	s_waitcnt lgkmcnt(0)
	s_mul_i32 s3, s8, s3
	s_mul_hi_u32 s4, s8, s2
	s_mul_i32 s2, s8, s2
	s_add_i32 s3, s4, s3
	s_lshl_b64 s[2:3], s[2:3], 3
	s_add_u32 s4, s22, s2
	s_addc_u32 s5, s23, s3
	v_addc_co_u32_e32 v5, vcc, 0, v0, vcc
	s_or_b32 s2, s10, s11
	s_bitset0_b32 s2, 31
	v_mov_b32_e32 v1, s7
	v_add_co_u32_e32 v0, vcc, s6, v48
	s_cmp_lg_u32 s2, 0
	v_addc_co_u32_e32 v1, vcc, 0, v1, vcc
	s_cbranch_scc1 .LBB105_6
; %bb.5:
	v_mul_lo_u32 v6, v5, s0
	v_mul_lo_u32 v7, v4, s1
	v_mad_u64_u32 v[2:3], s[2:3], v4, s0, 0
	v_add3_u32 v3, v3, v7, v6
	v_lshlrev_b64 v[2:3], 3, v[2:3]
	v_mov_b32_e32 v6, s5
	v_add_co_u32_e32 v8, vcc, s4, v2
	v_addc_co_u32_e32 v9, vcc, v6, v3, vcc
	v_lshlrev_b64 v[6:7], 3, v[0:1]
	v_mul_f32_e32 v2, s15, v51
	v_mul_f32_e32 v3, s14, v51
	v_add_co_u32_e32 v6, vcc, v8, v6
	v_fma_f32 v2, v50, s14, -v2
	v_fmac_f32_e32 v3, s15, v50
	v_addc_co_u32_e32 v7, vcc, v9, v7, vcc
	global_store_dwordx2 v[6:7], v[2:3], off
	v_mul_f32_e32 v2, s15, v47
	v_mul_f32_e32 v3, s14, v47
	v_fma_f32 v2, v46, s14, -v2
	v_fmac_f32_e32 v3, s15, v46
	s_lshl_b64 s[2:3], s[0:1], 7
	global_store_dwordx2 v[6:7], v[2:3], off offset:128
	v_mul_f32_e32 v2, s15, v38
	v_mul_f32_e32 v3, s14, v38
	v_mov_b32_e32 v9, s3
	v_add_co_u32_e32 v8, vcc, s2, v6
	v_fma_f32 v2, v36, s14, -v2
	v_fmac_f32_e32 v3, s15, v36
	v_addc_co_u32_e32 v9, vcc, v7, v9, vcc
	global_store_dwordx2 v[8:9], v[2:3], off
	v_mul_f32_e32 v2, s15, v37
	v_fma_f32 v7, v39, s14, -v2
	v_mul_f32_e32 v6, s14, v37
	v_add_co_u32_e32 v2, vcc, 0x80, v8
	v_fmac_f32_e32 v6, s15, v39
	v_addc_co_u32_e32 v3, vcc, 0, v9, vcc
	global_store_dword v[8:9], v7, off offset:128
	s_cbranch_execz .LBB105_7
	s_branch .LBB105_8
.LBB105_6:
                                        ; implicit-def: $vgpr6
                                        ; implicit-def: $vgpr2_vgpr3
.LBB105_7:
	s_mul_i32 s2, s8, s21
	s_mul_hi_u32 s3, s8, s20
	s_add_i32 s3, s3, s2
	s_mul_i32 s2, s8, s20
	s_lshl_b64 s[2:3], s[2:3], 3
	s_add_u32 s6, s16, s2
	s_addc_u32 s7, s17, s3
	v_mul_lo_u32 v6, v5, s18
	v_mul_lo_u32 v7, v4, s19
	v_mad_u64_u32 v[2:3], s[2:3], v4, s18, 0
	v_add3_u32 v3, v3, v7, v6
	v_lshlrev_b64 v[2:3], 3, v[2:3]
	v_mov_b32_e32 v6, s7
	v_add_co_u32_e32 v2, vcc, s6, v2
	v_addc_co_u32_e32 v3, vcc, v6, v3, vcc
	v_lshlrev_b64 v[0:1], 3, v[0:1]
	v_add_co_u32_e32 v2, vcc, v2, v0
	v_addc_co_u32_e32 v3, vcc, v3, v1, vcc
	global_load_dwordx2 v[6:7], v[2:3], off
	v_mul_lo_u32 v8, v5, s0
	v_mul_lo_u32 v9, v4, s1
	v_mad_u64_u32 v[4:5], s[2:3], v4, s0, 0
	v_add3_u32 v5, v5, v9, v8
	v_lshlrev_b64 v[4:5], 3, v[4:5]
	v_mov_b32_e32 v10, s5
	v_add_co_u32_e32 v4, vcc, s4, v4
	v_addc_co_u32_e32 v5, vcc, v10, v5, vcc
	v_add_co_u32_e32 v0, vcc, v4, v0
	v_mul_f32_e32 v11, s15, v51
	v_mul_f32_e32 v12, s14, v51
	v_addc_co_u32_e32 v1, vcc, v5, v1, vcc
	v_fma_f32 v8, v50, s14, -v11
	v_fmac_f32_e32 v12, s15, v50
	s_lshl_b64 s[2:3], s[18:19], 7
	s_lshl_b64 s[0:1], s[0:1], 7
	s_waitcnt vmcnt(0)
	v_mul_f32_e32 v4, s11, v7
	v_mul_f32_e32 v5, s10, v7
	v_fma_f32 v4, v6, s10, -v4
	v_fmac_f32_e32 v5, s11, v6
	v_add_f32_e32 v4, v8, v4
	v_add_f32_e32 v5, v12, v5
	global_store_dwordx2 v[0:1], v[4:5], off
	global_load_dwordx2 v[4:5], v[2:3], off offset:128
	v_mov_b32_e32 v8, s3
	v_add_co_u32_e32 v2, vcc, s2, v2
	v_mul_f32_e32 v6, s15, v47
	v_mul_f32_e32 v7, s14, v47
	v_addc_co_u32_e32 v3, vcc, v3, v8, vcc
	v_fma_f32 v6, v46, s14, -v6
	v_fmac_f32_e32 v7, s15, v46
	s_waitcnt vmcnt(0)
	v_mul_f32_e32 v8, s11, v5
	v_mul_f32_e32 v5, s10, v5
	v_fma_f32 v8, v4, s10, -v8
	v_fmac_f32_e32 v5, s11, v4
	v_add_f32_e32 v4, v6, v8
	v_add_f32_e32 v5, v7, v5
	global_store_dwordx2 v[0:1], v[4:5], off offset:128
	global_load_dwordx2 v[4:5], v[2:3], off
	v_pk_mul_f32 v[6:7], v[38:39], s[14:15] op_sel_hi:[0,1]
	v_pk_fma_f32 v[8:9], v[36:37], s[14:15], v[6:7] op_sel:[0,0,1] op_sel_hi:[1,1,0] neg_lo:[0,0,1] neg_hi:[0,0,1]
	v_pk_fma_f32 v[6:7], v[36:37], s[14:15], v[6:7] op_sel:[0,0,1] op_sel_hi:[0,1,0]
	v_mov_b32_e32 v6, s1
	v_add_co_u32_e32 v0, vcc, s0, v0
	v_mov_b32_e32 v9, v7
	v_addc_co_u32_e32 v1, vcc, v1, v6, vcc
	s_waitcnt vmcnt(0)
	v_pk_mul_f32 v[6:7], v[4:5], s[10:11] op_sel:[0,1]
	v_pk_fma_f32 v[10:11], v[4:5], s[10:11], v[6:7] op_sel:[0,0,1] op_sel_hi:[1,1,0] neg_lo:[0,0,1] neg_hi:[0,0,1]
	v_pk_fma_f32 v[4:5], v[4:5], s[10:11], v[6:7] op_sel:[0,0,1] op_sel_hi:[1,0,0]
	v_mov_b32_e32 v11, v5
	v_pk_add_f32 v[4:5], v[8:9], v[10:11]
	global_store_dwordx2 v[0:1], v[4:5], off
	global_load_dwordx2 v[4:5], v[2:3], off offset:128
	v_mul_f32_e32 v2, s15, v37
	v_mul_f32_e32 v3, s14, v37
	v_fma_f32 v8, v39, s14, -v2
	v_fmac_f32_e32 v3, s15, v39
	v_add_co_u32_e32 v2, vcc, 0x80, v0
	s_waitcnt vmcnt(0)
	v_mul_f32_e32 v9, s10, v4
	v_pk_mul_f32 v[6:7], v[4:5], s[10:11] op_sel:[0,1] op_sel_hi:[1,0]
	v_fma_f32 v4, -v5, s11, v9
	v_add_f32_e32 v5, v6, v7
	v_add_f32_e32 v4, v8, v4
	;; [unrolled: 1-line block ×3, first 2 shown]
	v_addc_co_u32_e32 v3, vcc, 0, v1, vcc
	global_store_dword v[0:1], v4, off offset:128
.LBB105_8:
	global_store_dword v[2:3], v6, off offset:4
	s_endpgm
	.section	.rodata,"a",@progbits
	.p2align	6, 0x0
	.amdhsa_kernel _ZN12_GLOBAL__N_127rocblas_gemm_batched_kernelI19rocblas_complex_numIfELi16ELi16ELi32ELi32ELi8ELi32ELi8ELi8ELi32ELc78ELc67EKS2_S3_S2_EEvlllT_PT11_llS6_llS4_PT12_llPT13_lli
		.amdhsa_group_segment_fixed_size 4096
		.amdhsa_private_segment_fixed_size 0
		.amdhsa_kernarg_size 140
		.amdhsa_user_sgpr_count 6
		.amdhsa_user_sgpr_private_segment_buffer 1
		.amdhsa_user_sgpr_dispatch_ptr 0
		.amdhsa_user_sgpr_queue_ptr 0
		.amdhsa_user_sgpr_kernarg_segment_ptr 1
		.amdhsa_user_sgpr_dispatch_id 0
		.amdhsa_user_sgpr_flat_scratch_init 0
		.amdhsa_user_sgpr_kernarg_preload_length 0
		.amdhsa_user_sgpr_kernarg_preload_offset 0
		.amdhsa_user_sgpr_private_segment_size 0
		.amdhsa_uses_dynamic_stack 0
		.amdhsa_system_sgpr_private_segment_wavefront_offset 0
		.amdhsa_system_sgpr_workgroup_id_x 1
		.amdhsa_system_sgpr_workgroup_id_y 1
		.amdhsa_system_sgpr_workgroup_id_z 1
		.amdhsa_system_sgpr_workgroup_info 0
		.amdhsa_system_vgpr_workitem_id 1
		.amdhsa_next_free_vgpr 91
		.amdhsa_next_free_sgpr 30
		.amdhsa_accum_offset 92
		.amdhsa_reserve_vcc 1
		.amdhsa_reserve_flat_scratch 0
		.amdhsa_float_round_mode_32 0
		.amdhsa_float_round_mode_16_64 0
		.amdhsa_float_denorm_mode_32 3
		.amdhsa_float_denorm_mode_16_64 3
		.amdhsa_dx10_clamp 1
		.amdhsa_ieee_mode 1
		.amdhsa_fp16_overflow 0
		.amdhsa_tg_split 0
		.amdhsa_exception_fp_ieee_invalid_op 0
		.amdhsa_exception_fp_denorm_src 0
		.amdhsa_exception_fp_ieee_div_zero 0
		.amdhsa_exception_fp_ieee_overflow 0
		.amdhsa_exception_fp_ieee_underflow 0
		.amdhsa_exception_fp_ieee_inexact 0
		.amdhsa_exception_int_div_zero 0
	.end_amdhsa_kernel
	.section	.text._ZN12_GLOBAL__N_127rocblas_gemm_batched_kernelI19rocblas_complex_numIfELi16ELi16ELi32ELi32ELi8ELi32ELi8ELi8ELi32ELc78ELc67EKS2_S3_S2_EEvlllT_PT11_llS6_llS4_PT12_llPT13_lli,"axG",@progbits,_ZN12_GLOBAL__N_127rocblas_gemm_batched_kernelI19rocblas_complex_numIfELi16ELi16ELi32ELi32ELi8ELi32ELi8ELi8ELi32ELc78ELc67EKS2_S3_S2_EEvlllT_PT11_llS6_llS4_PT12_llPT13_lli,comdat
.Lfunc_end105:
	.size	_ZN12_GLOBAL__N_127rocblas_gemm_batched_kernelI19rocblas_complex_numIfELi16ELi16ELi32ELi32ELi8ELi32ELi8ELi8ELi32ELc78ELc67EKS2_S3_S2_EEvlllT_PT11_llS6_llS4_PT12_llPT13_lli, .Lfunc_end105-_ZN12_GLOBAL__N_127rocblas_gemm_batched_kernelI19rocblas_complex_numIfELi16ELi16ELi32ELi32ELi8ELi32ELi8ELi8ELi32ELc78ELc67EKS2_S3_S2_EEvlllT_PT11_llS6_llS4_PT12_llPT13_lli
                                        ; -- End function
	.section	.AMDGPU.csdata,"",@progbits
; Kernel info:
; codeLenInByte = 2384
; NumSgprs: 34
; NumVgprs: 91
; NumAgprs: 0
; TotalNumVgprs: 91
; ScratchSize: 0
; MemoryBound: 0
; FloatMode: 240
; IeeeMode: 1
; LDSByteSize: 4096 bytes/workgroup (compile time only)
; SGPRBlocks: 4
; VGPRBlocks: 11
; NumSGPRsForWavesPerEU: 34
; NumVGPRsForWavesPerEU: 91
; AccumOffset: 92
; Occupancy: 5
; WaveLimiterHint : 1
; COMPUTE_PGM_RSRC2:SCRATCH_EN: 0
; COMPUTE_PGM_RSRC2:USER_SGPR: 6
; COMPUTE_PGM_RSRC2:TRAP_HANDLER: 0
; COMPUTE_PGM_RSRC2:TGID_X_EN: 1
; COMPUTE_PGM_RSRC2:TGID_Y_EN: 1
; COMPUTE_PGM_RSRC2:TGID_Z_EN: 1
; COMPUTE_PGM_RSRC2:TIDIG_COMP_CNT: 1
; COMPUTE_PGM_RSRC3_GFX90A:ACCUM_OFFSET: 22
; COMPUTE_PGM_RSRC3_GFX90A:TG_SPLIT: 0
	.section	.text._ZN12_GLOBAL__N_127rocblas_gemm_batched_kernelI19rocblas_complex_numIfELi16ELi16ELi32ELi32ELi8ELi32ELi8ELi8ELi32ELc84ELc67EKS2_S3_S2_EEvlllT_PT11_llS6_llS4_PT12_llPT13_lli,"axG",@progbits,_ZN12_GLOBAL__N_127rocblas_gemm_batched_kernelI19rocblas_complex_numIfELi16ELi16ELi32ELi32ELi8ELi32ELi8ELi8ELi32ELc84ELc67EKS2_S3_S2_EEvlllT_PT11_llS6_llS4_PT12_llPT13_lli,comdat
	.globl	_ZN12_GLOBAL__N_127rocblas_gemm_batched_kernelI19rocblas_complex_numIfELi16ELi16ELi32ELi32ELi8ELi32ELi8ELi8ELi32ELc84ELc67EKS2_S3_S2_EEvlllT_PT11_llS6_llS4_PT12_llPT13_lli ; -- Begin function _ZN12_GLOBAL__N_127rocblas_gemm_batched_kernelI19rocblas_complex_numIfELi16ELi16ELi32ELi32ELi8ELi32ELi8ELi8ELi32ELc84ELc67EKS2_S3_S2_EEvlllT_PT11_llS6_llS4_PT12_llPT13_lli
	.p2align	8
	.type	_ZN12_GLOBAL__N_127rocblas_gemm_batched_kernelI19rocblas_complex_numIfELi16ELi16ELi32ELi32ELi8ELi32ELi8ELi8ELi32ELc84ELc67EKS2_S3_S2_EEvlllT_PT11_llS6_llS4_PT12_llPT13_lli,@function
_ZN12_GLOBAL__N_127rocblas_gemm_batched_kernelI19rocblas_complex_numIfELi16ELi16ELi32ELi32ELi8ELi32ELi8ELi8ELi32ELc84ELc67EKS2_S3_S2_EEvlllT_PT11_llS6_llS4_PT12_llPT13_lli: ; @_ZN12_GLOBAL__N_127rocblas_gemm_batched_kernelI19rocblas_complex_numIfELi16ELi16ELi32ELi32ELi8ELi32ELi8ELi8ELi32ELc84ELc67EKS2_S3_S2_EEvlllT_PT11_llS6_llS4_PT12_llPT13_lli
; %bb.0:
	s_load_dwordx16 s[12:27], s[4:5], 0x10
	s_load_dwordx2 s[10:11], s[4:5], 0x50
	s_mov_b32 s0, s7
	s_ashr_i32 s1, s0, 31
	s_ashr_i32 s7, s6, 31
	s_lshl_b64 s[28:29], s[0:1], 5
	s_waitcnt lgkmcnt(0)
	v_cmp_lt_i64_e64 s[0:1], s[12:13], 1
	v_bfe_u32 v49, v0, 10, 10
	v_and_b32_e32 v48, 0x3ff, v0
	s_lshl_b64 s[6:7], s[6:7], 5
	s_and_b64 vcc, exec, s[0:1]
	s_cbranch_vccnz .LBB106_3
; %bb.1:
	v_lshl_add_u32 v4, v49, 4, v48
	v_lshrrev_b32_e32 v5, 3, v4
	v_mov_b32_e32 v1, s29
	v_add_co_u32_e32 v0, vcc, s28, v5
	v_addc_co_u32_e32 v1, vcc, 0, v1, vcc
	v_and_b32_e32 v6, 7, v48
	v_mad_u64_u32 v[0:1], s[0:1], v6, s24, v[0:1]
	v_mov_b32_e32 v2, v1
	v_mad_u64_u32 v[2:3], s[0:1], v6, s25, v[2:3]
	v_mov_b32_e32 v1, v2
	v_and_b32_e32 v2, 31, v4
	v_lshrrev_b32_e32 v4, 5, v4
	v_lshlrev_b32_e32 v3, 3, v2
	v_lshl_or_b32 v52, v4, 8, v3
	v_lshlrev_b32_e32 v3, 3, v6
	v_lshl_or_b32 v3, v5, 6, v3
	v_add_u32_e32 v53, 0x800, v3
	v_mov_b32_e32 v3, 0x800
	v_lshl_add_u32 v55, v49, 6, v3
	v_mov_b32_e32 v3, s7
	v_add_co_u32_e32 v2, vcc, s6, v2
	v_addc_co_u32_e32 v3, vcc, 0, v3, vcc
	v_mul_lo_u32 v5, s19, v2
	v_mul_lo_u32 v6, s18, v3
	v_mad_u64_u32 v[2:3], s[0:1], s18, v2, 0
	s_mul_i32 s0, s21, s8
	s_mul_hi_u32 s1, s20, s8
	v_add3_u32 v3, v3, v6, v5
	s_add_i32 s1, s1, s0
	s_mul_i32 s0, s20, s8
	v_lshlrev_b64 v[2:3], 3, v[2:3]
	s_lshl_b64 s[0:1], s[0:1], 3
	v_mov_b32_e32 v5, s1
	v_add_co_u32_e32 v2, vcc, s0, v2
	v_addc_co_u32_e32 v3, vcc, v3, v5, vcc
	v_lshlrev_b32_e32 v4, 3, v4
	s_mul_i32 s0, s27, s8
	s_mul_hi_u32 s1, s26, s8
	v_add_co_u32_e32 v2, vcc, v2, v4
	s_add_i32 s1, s1, s0
	s_mul_i32 s0, s26, s8
	v_addc_co_u32_e32 v3, vcc, 0, v3, vcc
	s_lshl_b64 s[0:1], s[0:1], 3
	v_mov_b32_e32 v4, s17
	v_add_co_u32_e32 v40, vcc, s16, v2
	s_add_u32 s0, s22, s0
	v_addc_co_u32_e32 v41, vcc, v4, v3, vcc
	v_lshlrev_b64 v[0:1], 3, v[0:1]
	s_addc_u32 s1, s23, s1
	v_mov_b32_e32 v2, s1
	v_add_co_u32_e32 v0, vcc, s0, v0
	v_addc_co_u32_e32 v1, vcc, v2, v1, vcc
	v_add_co_u32_e32 v42, vcc, 4, v0
	s_lshl_b64 s[0:1], s[24:25], 6
	v_lshlrev_b32_e32 v54, 3, v48
	v_addc_co_u32_e32 v43, vcc, 0, v1, vcc
	s_mov_b64 s[2:3], 0
	v_mov_b32_e32 v37, 0
	v_mov_b32_e32 v56, s1
	v_pk_mov_b32 v[44:45], s[12:13], s[12:13] op_sel:[0,1]
	v_mov_b32_e32 v39, 0
	v_mov_b32_e32 v38, 0
	v_mov_b32_e32 v36, 0
	v_mov_b32_e32 v47, 0
	v_mov_b32_e32 v46, 0
	v_mov_b32_e32 v51, 0
	v_mov_b32_e32 v50, 0
.LBB106_2:                              ; =>This Inner Loop Header: Depth=1
	global_load_dwordx2 v[0:1], v[40:41], off
	global_load_dwordx2 v[2:3], v[42:43], off offset:-4
	v_add_co_u32_e32 v40, vcc, 64, v40
	v_addc_co_u32_e32 v41, vcc, 0, v41, vcc
	s_add_u32 s2, s2, 8
	v_add_co_u32_e32 v42, vcc, s0, v42
	v_addc_co_u32_e32 v43, vcc, v43, v56, vcc
	s_addc_u32 s3, s3, 0
	v_cmp_lt_i64_e32 vcc, s[2:3], v[44:45]
	s_and_b64 vcc, exec, vcc
	s_waitcnt vmcnt(1)
	ds_write_b64 v52, v[0:1]
	s_waitcnt vmcnt(0)
	v_xor_b32_e32 v3, 0x80000000, v3
	ds_write_b64 v53, v[2:3]
	s_waitcnt lgkmcnt(0)
	s_barrier
	ds_read_b128 v[4:7], v55
	ds_read_b128 v[0:3], v55 offset:16
	ds_read2_b64 v[8:11], v54 offset1:16
	ds_read2_b64 v[12:15], v54 offset0:32 offset1:48
	ds_read2_b64 v[16:19], v54 offset0:64 offset1:80
	ds_read_b128 v[24:27], v55 offset:1024
	ds_read_b128 v[20:23], v55 offset:1040
	ds_read2_b64 v[28:31], v54 offset0:96 offset1:112
	ds_read2_b64 v[32:35], v54 offset0:128 offset1:144
	;; [unrolled: 1-line block ×3, first 2 shown]
	ds_read_b128 v[62:65], v55 offset:32
	ds_read_b128 v[66:69], v55 offset:48
	ds_read2_b64 v[70:73], v54 offset0:192 offset1:208
	ds_read_b128 v[74:77], v55 offset:1056
	ds_read_b128 v[78:81], v55 offset:1072
	s_waitcnt lgkmcnt(12)
	v_mul_f32_e32 v57, v5, v9
	v_mul_f32_e32 v82, v4, v9
	;; [unrolled: 1-line block ×4, first 2 shown]
	s_waitcnt lgkmcnt(9)
	v_mul_f32_e32 v85, v25, v9
	v_mul_f32_e32 v9, v24, v9
	;; [unrolled: 1-line block ×5, first 2 shown]
	v_fma_f32 v57, v4, v8, -v57
	v_fmac_f32_e32 v82, v5, v8
	v_fma_f32 v4, v4, v10, -v83
	v_fmac_f32_e32 v84, v5, v10
	;; [unrolled: 2-line block ×4, first 2 shown]
	v_mul_f32_e32 v10, v6, v15
	v_mul_f32_e32 v87, v7, v13
	;; [unrolled: 1-line block ×6, first 2 shown]
	v_fmac_f32_e32 v88, v7, v12
	v_fmac_f32_e32 v10, v7, v14
	v_mul_f32_e32 v7, v26, v15
	v_fma_f32 v83, v6, v12, -v87
	v_fma_f32 v6, v6, v14, -v89
	v_mul_f32_e32 v15, v1, v17
	v_mul_f32_e32 v85, v0, v17
	;; [unrolled: 1-line block ×3, first 2 shown]
	v_fma_f32 v24, v26, v12, -v24
	v_fmac_f32_e32 v13, v27, v12
	v_fma_f32 v12, v26, v14, -v25
	v_fmac_f32_e32 v7, v27, v14
	v_mul_f32_e32 v14, v0, v19
	s_waitcnt lgkmcnt(8)
	v_mul_f32_e32 v25, v21, v17
	v_mul_f32_e32 v17, v20, v17
	;; [unrolled: 1-line block ×4, first 2 shown]
	s_waitcnt lgkmcnt(7)
	v_mul_f32_e32 v27, v3, v29
	v_mul_f32_e32 v87, v2, v29
	;; [unrolled: 1-line block ×3, first 2 shown]
	v_fma_f32 v15, v0, v16, -v15
	v_fmac_f32_e32 v85, v1, v16
	v_fma_f32 v86, v0, v18, -v86
	v_fmac_f32_e32 v14, v1, v18
	;; [unrolled: 2-line block ×4, first 2 shown]
	v_mul_f32_e32 v18, v2, v31
	v_mul_f32_e32 v0, v23, v29
	;; [unrolled: 1-line block ×4, first 2 shown]
	v_fma_f32 v21, v2, v28, -v27
	v_mul_f32_e32 v27, v22, v31
	v_fmac_f32_e32 v87, v3, v28
	v_fma_f32 v26, v2, v30, -v89
	v_fmac_f32_e32 v18, v3, v30
	s_waitcnt lgkmcnt(4)
	v_mul_f32_e32 v2, v63, v33
	v_mul_f32_e32 v29, v62, v33
	;; [unrolled: 1-line block ×3, first 2 shown]
	v_fma_f32 v31, v22, v28, -v0
	v_fmac_f32_e32 v20, v23, v28
	v_fma_f32 v22, v22, v30, -v1
	v_fmac_f32_e32 v27, v23, v30
	v_mul_f32_e32 v23, v62, v35
	s_waitcnt lgkmcnt(1)
	v_mul_f32_e32 v0, v75, v33
	v_mul_f32_e32 v28, v74, v33
	v_mul_f32_e32 v1, v75, v35
	v_mul_f32_e32 v30, v74, v35
	v_mul_f32_e32 v33, v65, v59
	v_mul_f32_e32 v35, v64, v59
	v_mul_f32_e32 v89, v65, v61
	v_fma_f32 v90, v62, v32, -v2
	v_fmac_f32_e32 v29, v63, v32
	v_fma_f32 v62, v62, v34, -v3
	v_fmac_f32_e32 v23, v63, v34
	;; [unrolled: 2-line block ×4, first 2 shown]
	v_mul_f32_e32 v34, v64, v61
	v_mul_f32_e32 v0, v77, v59
	;; [unrolled: 1-line block ×5, first 2 shown]
	v_fma_f32 v33, v64, v58, -v33
	v_fmac_f32_e32 v35, v65, v58
	v_fma_f32 v64, v64, v60, -v89
	v_fmac_f32_e32 v34, v65, v60
	v_mul_f32_e32 v2, v67, v71
	v_mul_f32_e32 v65, v66, v71
	;; [unrolled: 1-line block ×3, first 2 shown]
	v_fma_f32 v74, v76, v58, -v0
	v_fmac_f32_e32 v59, v77, v58
	v_fma_f32 v58, v76, v60, -v1
	v_fmac_f32_e32 v61, v77, v60
	v_mul_f32_e32 v60, v66, v73
	s_waitcnt lgkmcnt(0)
	v_mul_f32_e32 v0, v79, v71
	v_mul_f32_e32 v71, v78, v71
	;; [unrolled: 1-line block ×3, first 2 shown]
	v_fma_f32 v75, v66, v70, -v2
	v_fmac_f32_e32 v65, v67, v70
	v_fma_f32 v66, v66, v72, -v3
	v_fmac_f32_e32 v60, v67, v72
	;; [unrolled: 2-line block ×3, first 2 shown]
	v_fma_f32 v70, v78, v72, -v1
	ds_read2_b64 v[0:3], v54 offset0:224 offset1:240
	v_mul_f32_e32 v73, v78, v73
	v_fmac_f32_e32 v73, v79, v72
	v_add_f32_e32 v4, v46, v4
	v_add_f32_e32 v8, v39, v8
	s_waitcnt lgkmcnt(0)
	v_mul_f32_e32 v72, v69, v1
	v_mul_f32_e32 v77, v69, v3
	;; [unrolled: 1-line block ×3, first 2 shown]
	v_fma_f32 v72, v68, v0, -v72
	v_fma_f32 v77, v68, v2, -v77
	v_mul_f32_e32 v68, v68, v3
	v_fmac_f32_e32 v76, v69, v0
	v_fmac_f32_e32 v68, v69, v2
	v_mul_f32_e32 v69, v81, v1
	v_mul_f32_e32 v1, v80, v1
	;; [unrolled: 1-line block ×4, first 2 shown]
	v_fma_f32 v69, v80, v0, -v69
	v_fmac_f32_e32 v1, v81, v0
	v_fma_f32 v0, v80, v2, -v78
	v_fmac_f32_e32 v3, v81, v2
	v_add_f32_e32 v2, v36, v5
	v_add_f32_e32 v5, v38, v9
	;; [unrolled: 1-line block ×62, first 2 shown]
	s_barrier
	s_cbranch_vccnz .LBB106_2
	s_branch .LBB106_4
.LBB106_3:
	v_mov_b32_e32 v50, 0
	v_mov_b32_e32 v51, 0
	;; [unrolled: 1-line block ×8, first 2 shown]
.LBB106_4:
	s_load_dwordx4 s[0:3], s[4:5], 0x78
	s_load_dwordx8 s[16:23], s[4:5], 0x58
	v_mov_b32_e32 v0, s29
	v_add_co_u32_e32 v4, vcc, s28, v49
	s_waitcnt lgkmcnt(0)
	s_mul_i32 s3, s8, s3
	s_mul_hi_u32 s4, s8, s2
	s_mul_i32 s2, s8, s2
	s_add_i32 s3, s4, s3
	s_lshl_b64 s[2:3], s[2:3], 3
	s_add_u32 s4, s22, s2
	s_addc_u32 s5, s23, s3
	v_addc_co_u32_e32 v5, vcc, 0, v0, vcc
	s_or_b32 s2, s10, s11
	s_bitset0_b32 s2, 31
	v_mov_b32_e32 v1, s7
	v_add_co_u32_e32 v0, vcc, s6, v48
	s_cmp_lg_u32 s2, 0
	v_addc_co_u32_e32 v1, vcc, 0, v1, vcc
	s_cbranch_scc1 .LBB106_6
; %bb.5:
	v_mul_lo_u32 v6, v5, s0
	v_mul_lo_u32 v7, v4, s1
	v_mad_u64_u32 v[2:3], s[2:3], v4, s0, 0
	v_add3_u32 v3, v3, v7, v6
	v_lshlrev_b64 v[2:3], 3, v[2:3]
	v_mov_b32_e32 v6, s5
	v_add_co_u32_e32 v8, vcc, s4, v2
	v_addc_co_u32_e32 v9, vcc, v6, v3, vcc
	v_lshlrev_b64 v[6:7], 3, v[0:1]
	v_mul_f32_e32 v2, s15, v51
	v_mul_f32_e32 v3, s14, v51
	v_add_co_u32_e32 v6, vcc, v8, v6
	v_fma_f32 v2, v50, s14, -v2
	v_fmac_f32_e32 v3, s15, v50
	v_addc_co_u32_e32 v7, vcc, v9, v7, vcc
	global_store_dwordx2 v[6:7], v[2:3], off
	v_mul_f32_e32 v2, s15, v47
	v_mul_f32_e32 v3, s14, v47
	v_fma_f32 v2, v46, s14, -v2
	v_fmac_f32_e32 v3, s15, v46
	s_lshl_b64 s[2:3], s[0:1], 7
	global_store_dwordx2 v[6:7], v[2:3], off offset:128
	v_mul_f32_e32 v2, s15, v38
	v_mul_f32_e32 v3, s14, v38
	v_mov_b32_e32 v9, s3
	v_add_co_u32_e32 v8, vcc, s2, v6
	v_fma_f32 v2, v36, s14, -v2
	v_fmac_f32_e32 v3, s15, v36
	v_addc_co_u32_e32 v9, vcc, v7, v9, vcc
	global_store_dwordx2 v[8:9], v[2:3], off
	v_mul_f32_e32 v2, s15, v37
	v_fma_f32 v7, v39, s14, -v2
	v_mul_f32_e32 v6, s14, v37
	v_add_co_u32_e32 v2, vcc, 0x80, v8
	v_fmac_f32_e32 v6, s15, v39
	v_addc_co_u32_e32 v3, vcc, 0, v9, vcc
	global_store_dword v[8:9], v7, off offset:128
	s_cbranch_execz .LBB106_7
	s_branch .LBB106_8
.LBB106_6:
                                        ; implicit-def: $vgpr6
                                        ; implicit-def: $vgpr2_vgpr3
.LBB106_7:
	s_mul_i32 s2, s8, s21
	s_mul_hi_u32 s3, s8, s20
	s_add_i32 s3, s3, s2
	s_mul_i32 s2, s8, s20
	s_lshl_b64 s[2:3], s[2:3], 3
	s_add_u32 s6, s16, s2
	s_addc_u32 s7, s17, s3
	v_mul_lo_u32 v6, v5, s18
	v_mul_lo_u32 v7, v4, s19
	v_mad_u64_u32 v[2:3], s[2:3], v4, s18, 0
	v_add3_u32 v3, v3, v7, v6
	v_lshlrev_b64 v[2:3], 3, v[2:3]
	v_mov_b32_e32 v6, s7
	v_add_co_u32_e32 v2, vcc, s6, v2
	v_addc_co_u32_e32 v3, vcc, v6, v3, vcc
	v_lshlrev_b64 v[0:1], 3, v[0:1]
	v_add_co_u32_e32 v2, vcc, v2, v0
	v_addc_co_u32_e32 v3, vcc, v3, v1, vcc
	global_load_dwordx2 v[6:7], v[2:3], off
	v_mul_lo_u32 v8, v5, s0
	v_mul_lo_u32 v9, v4, s1
	v_mad_u64_u32 v[4:5], s[2:3], v4, s0, 0
	v_add3_u32 v5, v5, v9, v8
	v_lshlrev_b64 v[4:5], 3, v[4:5]
	v_mov_b32_e32 v10, s5
	v_add_co_u32_e32 v4, vcc, s4, v4
	v_addc_co_u32_e32 v5, vcc, v10, v5, vcc
	v_add_co_u32_e32 v0, vcc, v4, v0
	v_mul_f32_e32 v11, s15, v51
	v_mul_f32_e32 v12, s14, v51
	v_addc_co_u32_e32 v1, vcc, v5, v1, vcc
	v_fma_f32 v8, v50, s14, -v11
	v_fmac_f32_e32 v12, s15, v50
	s_lshl_b64 s[2:3], s[18:19], 7
	s_lshl_b64 s[0:1], s[0:1], 7
	s_waitcnt vmcnt(0)
	v_mul_f32_e32 v4, s11, v7
	v_mul_f32_e32 v5, s10, v7
	v_fma_f32 v4, v6, s10, -v4
	v_fmac_f32_e32 v5, s11, v6
	v_add_f32_e32 v4, v8, v4
	v_add_f32_e32 v5, v12, v5
	global_store_dwordx2 v[0:1], v[4:5], off
	global_load_dwordx2 v[4:5], v[2:3], off offset:128
	v_mov_b32_e32 v8, s3
	v_add_co_u32_e32 v2, vcc, s2, v2
	v_mul_f32_e32 v6, s15, v47
	v_mul_f32_e32 v7, s14, v47
	v_addc_co_u32_e32 v3, vcc, v3, v8, vcc
	v_fma_f32 v6, v46, s14, -v6
	v_fmac_f32_e32 v7, s15, v46
	s_waitcnt vmcnt(0)
	v_mul_f32_e32 v8, s11, v5
	v_mul_f32_e32 v5, s10, v5
	v_fma_f32 v8, v4, s10, -v8
	v_fmac_f32_e32 v5, s11, v4
	v_add_f32_e32 v4, v6, v8
	v_add_f32_e32 v5, v7, v5
	global_store_dwordx2 v[0:1], v[4:5], off offset:128
	global_load_dwordx2 v[4:5], v[2:3], off
	v_pk_mul_f32 v[6:7], v[38:39], s[14:15] op_sel_hi:[0,1]
	v_pk_fma_f32 v[8:9], v[36:37], s[14:15], v[6:7] op_sel:[0,0,1] op_sel_hi:[1,1,0] neg_lo:[0,0,1] neg_hi:[0,0,1]
	v_pk_fma_f32 v[6:7], v[36:37], s[14:15], v[6:7] op_sel:[0,0,1] op_sel_hi:[0,1,0]
	v_mov_b32_e32 v6, s1
	v_add_co_u32_e32 v0, vcc, s0, v0
	v_mov_b32_e32 v9, v7
	v_addc_co_u32_e32 v1, vcc, v1, v6, vcc
	s_waitcnt vmcnt(0)
	v_pk_mul_f32 v[6:7], v[4:5], s[10:11] op_sel:[0,1]
	v_pk_fma_f32 v[10:11], v[4:5], s[10:11], v[6:7] op_sel:[0,0,1] op_sel_hi:[1,1,0] neg_lo:[0,0,1] neg_hi:[0,0,1]
	v_pk_fma_f32 v[4:5], v[4:5], s[10:11], v[6:7] op_sel:[0,0,1] op_sel_hi:[1,0,0]
	v_mov_b32_e32 v11, v5
	v_pk_add_f32 v[4:5], v[8:9], v[10:11]
	global_store_dwordx2 v[0:1], v[4:5], off
	global_load_dwordx2 v[4:5], v[2:3], off offset:128
	v_mul_f32_e32 v2, s15, v37
	v_mul_f32_e32 v3, s14, v37
	v_fma_f32 v8, v39, s14, -v2
	v_fmac_f32_e32 v3, s15, v39
	v_add_co_u32_e32 v2, vcc, 0x80, v0
	s_waitcnt vmcnt(0)
	v_mul_f32_e32 v9, s10, v4
	v_pk_mul_f32 v[6:7], v[4:5], s[10:11] op_sel:[0,1] op_sel_hi:[1,0]
	v_fma_f32 v4, -v5, s11, v9
	v_add_f32_e32 v5, v6, v7
	v_add_f32_e32 v4, v8, v4
	;; [unrolled: 1-line block ×3, first 2 shown]
	v_addc_co_u32_e32 v3, vcc, 0, v1, vcc
	global_store_dword v[0:1], v4, off offset:128
.LBB106_8:
	global_store_dword v[2:3], v6, off offset:4
	s_endpgm
	.section	.rodata,"a",@progbits
	.p2align	6, 0x0
	.amdhsa_kernel _ZN12_GLOBAL__N_127rocblas_gemm_batched_kernelI19rocblas_complex_numIfELi16ELi16ELi32ELi32ELi8ELi32ELi8ELi8ELi32ELc84ELc67EKS2_S3_S2_EEvlllT_PT11_llS6_llS4_PT12_llPT13_lli
		.amdhsa_group_segment_fixed_size 4096
		.amdhsa_private_segment_fixed_size 0
		.amdhsa_kernarg_size 140
		.amdhsa_user_sgpr_count 6
		.amdhsa_user_sgpr_private_segment_buffer 1
		.amdhsa_user_sgpr_dispatch_ptr 0
		.amdhsa_user_sgpr_queue_ptr 0
		.amdhsa_user_sgpr_kernarg_segment_ptr 1
		.amdhsa_user_sgpr_dispatch_id 0
		.amdhsa_user_sgpr_flat_scratch_init 0
		.amdhsa_user_sgpr_kernarg_preload_length 0
		.amdhsa_user_sgpr_kernarg_preload_offset 0
		.amdhsa_user_sgpr_private_segment_size 0
		.amdhsa_uses_dynamic_stack 0
		.amdhsa_system_sgpr_private_segment_wavefront_offset 0
		.amdhsa_system_sgpr_workgroup_id_x 1
		.amdhsa_system_sgpr_workgroup_id_y 1
		.amdhsa_system_sgpr_workgroup_id_z 1
		.amdhsa_system_sgpr_workgroup_info 0
		.amdhsa_system_vgpr_workitem_id 1
		.amdhsa_next_free_vgpr 91
		.amdhsa_next_free_sgpr 30
		.amdhsa_accum_offset 92
		.amdhsa_reserve_vcc 1
		.amdhsa_reserve_flat_scratch 0
		.amdhsa_float_round_mode_32 0
		.amdhsa_float_round_mode_16_64 0
		.amdhsa_float_denorm_mode_32 3
		.amdhsa_float_denorm_mode_16_64 3
		.amdhsa_dx10_clamp 1
		.amdhsa_ieee_mode 1
		.amdhsa_fp16_overflow 0
		.amdhsa_tg_split 0
		.amdhsa_exception_fp_ieee_invalid_op 0
		.amdhsa_exception_fp_denorm_src 0
		.amdhsa_exception_fp_ieee_div_zero 0
		.amdhsa_exception_fp_ieee_overflow 0
		.amdhsa_exception_fp_ieee_underflow 0
		.amdhsa_exception_fp_ieee_inexact 0
		.amdhsa_exception_int_div_zero 0
	.end_amdhsa_kernel
	.section	.text._ZN12_GLOBAL__N_127rocblas_gemm_batched_kernelI19rocblas_complex_numIfELi16ELi16ELi32ELi32ELi8ELi32ELi8ELi8ELi32ELc84ELc67EKS2_S3_S2_EEvlllT_PT11_llS6_llS4_PT12_llPT13_lli,"axG",@progbits,_ZN12_GLOBAL__N_127rocblas_gemm_batched_kernelI19rocblas_complex_numIfELi16ELi16ELi32ELi32ELi8ELi32ELi8ELi8ELi32ELc84ELc67EKS2_S3_S2_EEvlllT_PT11_llS6_llS4_PT12_llPT13_lli,comdat
.Lfunc_end106:
	.size	_ZN12_GLOBAL__N_127rocblas_gemm_batched_kernelI19rocblas_complex_numIfELi16ELi16ELi32ELi32ELi8ELi32ELi8ELi8ELi32ELc84ELc67EKS2_S3_S2_EEvlllT_PT11_llS6_llS4_PT12_llPT13_lli, .Lfunc_end106-_ZN12_GLOBAL__N_127rocblas_gemm_batched_kernelI19rocblas_complex_numIfELi16ELi16ELi32ELi32ELi8ELi32ELi8ELi8ELi32ELc84ELc67EKS2_S3_S2_EEvlllT_PT11_llS6_llS4_PT12_llPT13_lli
                                        ; -- End function
	.section	.AMDGPU.csdata,"",@progbits
; Kernel info:
; codeLenInByte = 2396
; NumSgprs: 34
; NumVgprs: 91
; NumAgprs: 0
; TotalNumVgprs: 91
; ScratchSize: 0
; MemoryBound: 0
; FloatMode: 240
; IeeeMode: 1
; LDSByteSize: 4096 bytes/workgroup (compile time only)
; SGPRBlocks: 4
; VGPRBlocks: 11
; NumSGPRsForWavesPerEU: 34
; NumVGPRsForWavesPerEU: 91
; AccumOffset: 92
; Occupancy: 5
; WaveLimiterHint : 1
; COMPUTE_PGM_RSRC2:SCRATCH_EN: 0
; COMPUTE_PGM_RSRC2:USER_SGPR: 6
; COMPUTE_PGM_RSRC2:TRAP_HANDLER: 0
; COMPUTE_PGM_RSRC2:TGID_X_EN: 1
; COMPUTE_PGM_RSRC2:TGID_Y_EN: 1
; COMPUTE_PGM_RSRC2:TGID_Z_EN: 1
; COMPUTE_PGM_RSRC2:TIDIG_COMP_CNT: 1
; COMPUTE_PGM_RSRC3_GFX90A:ACCUM_OFFSET: 22
; COMPUTE_PGM_RSRC3_GFX90A:TG_SPLIT: 0
	.section	.text._ZN12_GLOBAL__N_135rocblas_gemm_batched_general_kernelI19rocblas_complex_numIfELi16ELi16ELi32ELi32ELi8ELi32ELi8ELi8ELi32ELc78ELc78EKS2_S3_S2_EEvlllT_PT11_llS6_llS4_PT12_llPT13_lli,"axG",@progbits,_ZN12_GLOBAL__N_135rocblas_gemm_batched_general_kernelI19rocblas_complex_numIfELi16ELi16ELi32ELi32ELi8ELi32ELi8ELi8ELi32ELc78ELc78EKS2_S3_S2_EEvlllT_PT11_llS6_llS4_PT12_llPT13_lli,comdat
	.globl	_ZN12_GLOBAL__N_135rocblas_gemm_batched_general_kernelI19rocblas_complex_numIfELi16ELi16ELi32ELi32ELi8ELi32ELi8ELi8ELi32ELc78ELc78EKS2_S3_S2_EEvlllT_PT11_llS6_llS4_PT12_llPT13_lli ; -- Begin function _ZN12_GLOBAL__N_135rocblas_gemm_batched_general_kernelI19rocblas_complex_numIfELi16ELi16ELi32ELi32ELi8ELi32ELi8ELi8ELi32ELc78ELc78EKS2_S3_S2_EEvlllT_PT11_llS6_llS4_PT12_llPT13_lli
	.p2align	8
	.type	_ZN12_GLOBAL__N_135rocblas_gemm_batched_general_kernelI19rocblas_complex_numIfELi16ELi16ELi32ELi32ELi8ELi32ELi8ELi8ELi32ELc78ELc78EKS2_S3_S2_EEvlllT_PT11_llS6_llS4_PT12_llPT13_lli,@function
_ZN12_GLOBAL__N_135rocblas_gemm_batched_general_kernelI19rocblas_complex_numIfELi16ELi16ELi32ELi32ELi8ELi32ELi8ELi8ELi32ELc78ELc78EKS2_S3_S2_EEvlllT_PT11_llS6_llS4_PT12_llPT13_lli: ; @_ZN12_GLOBAL__N_135rocblas_gemm_batched_general_kernelI19rocblas_complex_numIfELi16ELi16ELi32ELi32ELi8ELi32ELi8ELi8ELi32ELc78ELc78EKS2_S3_S2_EEvlllT_PT11_llS6_llS4_PT12_llPT13_lli
; %bb.0:
	s_load_dwordx16 s[16:31], s[4:5], 0x0
	s_load_dwordx2 s[34:35], s[4:5], 0x50
	s_add_u32 s0, s0, s11
	s_mov_b32 s6, s9
	s_addc_u32 s1, s1, 0
	s_ashr_i32 s7, s6, 31
	v_mov_b32_e32 v29, 0
	s_ashr_i32 s9, s8, 31
	s_lshl_b64 s[38:39], s[6:7], 5
	s_waitcnt lgkmcnt(0)
	v_cmp_lt_i64_e64 s[6:7], s[20:21], 1
	v_and_b32_e32 v31, 0x3ff, v0
	v_bfe_u32 v33, v0, 10, 10
	s_lshl_b64 s[36:37], s[8:9], 5
	s_and_b64 vcc, exec, s[6:7]
	v_mov_b32_e32 v28, v29
	buffer_store_dword v29, off, s[0:3], 0 offset:4
	buffer_store_dword v29, off, s[0:3], 0
	buffer_store_dword v29, off, s[0:3], 0 offset:12
	buffer_store_dword v29, off, s[0:3], 0 offset:8
	;; [unrolled: 1-line block ×4, first 2 shown]
	s_cbranch_vccnz .LBB107_7
; %bb.1:
	v_lshl_add_u32 v2, v33, 4, v31
	s_load_dwordx4 s[40:43], s[4:5], 0x40
	v_and_b32_e32 v5, 31, v2
	v_lshrrev_b32_e32 v30, 5, v2
	v_and_b32_e32 v32, 7, v31
	v_lshrrev_b32_e32 v4, 3, v2
	v_mov_b32_e32 v3, s37
	v_or_b32_e32 v2, s36, v5
	v_cmp_gt_i64_e64 s[6:7], s[16:17], v[2:3]
	v_lshlrev_b32_e32 v2, 3, v32
	v_mov_b32_e32 v1, s39
	v_add_co_u32_e32 v0, vcc, s38, v4
	v_lshl_or_b32 v3, v4, 6, v2
	v_addc_co_u32_e32 v1, vcc, 0, v1, vcc
	v_add_u32_e32 v79, 0x800, v3
	v_mov_b32_e32 v3, 0x800
	v_cmp_gt_i64_e64 s[12:13], s[18:19], v[0:1]
	v_lshl_add_u32 v81, v33, 6, v3
	s_waitcnt lgkmcnt(0)
	v_mul_lo_u32 v3, s41, v0
	v_mul_lo_u32 v4, s40, v1
	v_mad_u64_u32 v[0:1], s[14:15], s40, v0, 0
	s_mul_i32 s11, s43, s10
	s_mul_hi_u32 s14, s42, s10
	v_add3_u32 v1, v1, v4, v3
	s_add_i32 s15, s14, s11
	s_mul_i32 s14, s42, s10
	v_lshlrev_b64 v[0:1], 3, v[0:1]
	s_lshl_b64 s[14:15], s[14:15], 3
	v_mov_b32_e32 v3, s15
	v_add_co_u32_e32 v0, vcc, s14, v0
	v_addc_co_u32_e32 v1, vcc, v1, v3, vcc
	v_add_co_u32_e32 v0, vcc, v0, v2
	v_addc_co_u32_e32 v1, vcc, 0, v1, vcc
	v_mov_b32_e32 v2, s31
	v_add_co_u32_e32 v34, vcc, s30, v0
	v_addc_co_u32_e32 v35, vcc, v2, v1, vcc
	v_mad_u64_u32 v[0:1], s[14:15], s26, v30, 0
	v_mov_b32_e32 v2, v1
	v_mad_u64_u32 v[2:3], s[14:15], s27, v30, v[2:3]
	s_mul_i32 s11, s29, s10
	s_mul_hi_u32 s14, s28, s10
	s_add_i32 s15, s14, s11
	s_mul_i32 s14, s28, s10
	s_lshl_b64 s[14:15], s[14:15], 3
	s_lshl_b64 s[8:9], s[8:9], 8
	v_mov_b32_e32 v1, v2
	s_add_u32 s8, s8, s14
	v_lshlrev_b64 v[0:1], 3, v[0:1]
	s_addc_u32 s9, s9, s15
	v_mov_b32_e32 v2, s9
	v_add_co_u32_e32 v0, vcc, s8, v0
	v_lshlrev_b32_e32 v5, 3, v5
	v_addc_co_u32_e32 v1, vcc, v2, v1, vcc
	v_add_co_u32_e32 v0, vcc, v0, v5
	v_addc_co_u32_e32 v1, vcc, 0, v1, vcc
	v_mov_b32_e32 v28, 0
	v_mov_b32_e32 v2, s25
	v_add_co_u32_e32 v36, vcc, s24, v0
	v_lshl_or_b32 v78, v30, 8, v5
	v_lshlrev_b32_e32 v80, 3, v31
	v_addc_co_u32_e32 v37, vcc, v2, v1, vcc
	s_lshl_b64 s[8:9], s[26:27], 6
	s_mov_b64 s[14:15], 0
	v_mov_b32_e32 v29, v28
	s_branch .LBB107_3
.LBB107_2:                              ;   in Loop: Header=BB107_3 Depth=1
	s_or_b64 exec, exec, s[24:25]
	s_waitcnt vmcnt(0)
	ds_write_b64 v79, v[0:1]
	s_waitcnt lgkmcnt(0)
	s_barrier
	ds_read2_b64 v[12:15], v80 offset0:32 offset1:48
	ds_read2_b64 v[16:19], v80 offset0:64 offset1:80
	;; [unrolled: 1-line block ×3, first 2 shown]
	ds_read_b128 v[4:7], v81
	ds_read_b128 v[0:3], v81 offset:16
	ds_read_b128 v[82:85], v81 offset:1024
	;; [unrolled: 1-line block ×3, first 2 shown]
	s_waitcnt lgkmcnt(6)
	v_mov_b32_e32 v49, v12
	s_waitcnt lgkmcnt(3)
	v_pk_mul_f32 v[20:21], v[6:7], v[12:13] op_sel:[0,1]
	v_pk_fma_f32 v[40:41], v[6:7], v[12:13], v[20:21] op_sel:[0,0,1] op_sel_hi:[1,0,0] neg_lo:[0,0,1] neg_hi:[0,0,1]
	v_pk_fma_f32 v[42:43], v[6:7], v[12:13], v[20:21] op_sel:[0,0,1] op_sel_hi:[1,0,0]
	v_mul_f32_e32 v12, v6, v14
	v_mov_b32_e32 v53, v13
	v_mov_b32_e32 v54, v13
	v_fma_f32 v120, -v7, v15, v12
	s_waitcnt lgkmcnt(2)
	v_pk_mul_f32 v[12:13], v[0:1], v[16:17] op_sel:[0,1]
	v_pk_fma_f32 v[56:57], v[0:1], v[16:17], v[12:13] op_sel:[0,0,1] op_sel_hi:[1,0,0] neg_lo:[0,0,1] neg_hi:[0,0,1]
	v_pk_fma_f32 v[58:59], v[0:1], v[16:17], v[12:13] op_sel:[0,0,1] op_sel_hi:[1,0,0]
	v_mul_f32_e32 v12, v0, v18
	v_fma_f32 v58, -v1, v19, v12
	v_pk_mul_f32 v[12:13], v[2:3], v[8:9] op_sel:[0,1]
	v_mov_b32_e32 v39, v8
	v_pk_fma_f32 v[64:65], v[2:3], v[8:9], v[12:13] op_sel:[0,0,1] op_sel_hi:[1,0,0] neg_lo:[0,0,1] neg_hi:[0,0,1]
	v_pk_fma_f32 v[66:67], v[2:3], v[8:9], v[12:13] op_sel:[0,0,1] op_sel_hi:[1,0,0]
	v_mul_f32_e32 v8, v2, v10
	s_waitcnt lgkmcnt(0)
	v_mul_f32_e32 v123, v27, v10
	v_mov_b32_e32 v38, v10
	v_mov_b32_e32 v94, v11
	;; [unrolled: 1-line block ×5, first 2 shown]
	ds_read2_b64 v[70:73], v80 offset0:128 offset1:144
	v_fma_f32 v66, -v3, v11, v8
	v_fmac_f32_e32 v123, v26, v11
	ds_read_b128 v[8:11], v81 offset:32
	ds_read_b128 v[20:23], v81 offset:1056
	v_mul_f32_e32 v122, v25, v18
	ds_read2_b64 v[86:89], v80 offset0:160 offset1:176
	v_mov_b32_e32 v44, v18
	v_mov_b32_e32 v45, v16
	v_mov_b32_e32 v50, v19
	v_mov_b32_e32 v51, v17
	v_mov_b32_e32 v46, v17
	v_mov_b32_e32 v47, v19
	v_fmac_f32_e32 v122, v24, v19
	ds_read_b128 v[16:19], v81 offset:48
	ds_read2_b64 v[90:93], v80 offset0:192 offset1:208
	s_waitcnt lgkmcnt(4)
	v_pk_mul_f32 v[12:13], v[8:9], v[70:71] op_sel:[0,1]
	v_mul_f32_e32 v121, v85, v14
	v_pk_fma_f32 v[98:99], v[8:9], v[70:71], v[12:13] op_sel:[0,0,1] op_sel_hi:[1,0,0] neg_lo:[0,0,1] neg_hi:[0,0,1]
	v_pk_fma_f32 v[100:101], v[8:9], v[70:71], v[12:13] op_sel:[0,0,1] op_sel_hi:[1,0,0]
	v_mul_f32_e32 v12, v8, v72
	v_mov_b32_e32 v48, v14
	v_mov_b32_e32 v52, v15
	;; [unrolled: 1-line block ×3, first 2 shown]
	v_fmac_f32_e32 v121, v84, v15
	v_fma_f32 v100, -v9, v73, v12
	ds_read_b128 v[12:15], v81 offset:1072
	s_waitcnt lgkmcnt(4)
	v_mul_f32_e32 v124, v21, v72
	v_mov_b32_e32 v60, v72
	v_mov_b32_e32 v68, v73
	;; [unrolled: 1-line block ×3, first 2 shown]
	v_fmac_f32_e32 v124, v20, v73
	s_waitcnt lgkmcnt(3)
	v_pk_mul_f32 v[72:73], v[10:11], v[86:87] op_sel:[0,1]
	v_mov_b32_e32 v69, v71
	v_mov_b32_e32 v62, v71
	;; [unrolled: 1-line block ×5, first 2 shown]
	v_pk_fma_f32 v[104:105], v[10:11], v[86:87], v[72:73] op_sel:[0,0,1] op_sel_hi:[1,0,0] neg_lo:[0,0,1] neg_hi:[0,0,1]
	v_pk_fma_f32 v[106:107], v[10:11], v[86:87], v[72:73] op_sel:[0,0,1] op_sel_hi:[1,0,0]
	v_mul_f32_e32 v41, v10, v88
	v_mul_f32_e32 v125, v23, v88
	s_waitcnt lgkmcnt(1)
	v_pk_mul_f32 v[86:87], v[16:17], v[90:91] op_sel:[0,1]
	v_mov_b32_e32 v61, v70
	v_mov_b32_e32 v70, v88
	;; [unrolled: 1-line block ×4, first 2 shown]
	v_fma_f32 v106, -v11, v89, v41
	v_fmac_f32_e32 v125, v22, v89
	v_mov_b32_e32 v73, v90
	v_mov_b32_e32 v77, v91
	;; [unrolled: 1-line block ×3, first 2 shown]
	v_pk_fma_f32 v[110:111], v[16:17], v[90:91], v[86:87] op_sel:[0,0,1] op_sel_hi:[1,0,0] neg_lo:[0,0,1] neg_hi:[0,0,1]
	v_pk_fma_f32 v[90:91], v[16:17], v[90:91], v[86:87] op_sel:[0,0,1] op_sel_hi:[1,0,0]
	ds_read2_b64 v[86:89], v80 offset1:16
	v_mul_f32_e32 v41, v16, v92
	s_waitcnt lgkmcnt(1)
	v_mul_f32_e32 v126, v13, v92
	v_mov_b32_e32 v72, v92
	v_mov_b32_e32 v76, v93
	;; [unrolled: 1-line block ×3, first 2 shown]
	v_fma_f32 v90, -v17, v93, v41
	v_fmac_f32_e32 v126, v12, v93
	s_waitcnt lgkmcnt(0)
	v_mov_b32_e32 v92, v89
	v_mov_b32_e32 v93, v87
	;; [unrolled: 1-line block ×4, first 2 shown]
	v_pk_mul_f32 v[116:117], v[4:5], v[86:87] op_sel:[0,1]
	v_pk_mul_f32 v[92:93], v[112:113], v[92:93]
	v_mov_b32_e32 v113, v86
	v_mov_b32_e32 v114, v87
	v_pk_fma_f32 v[118:119], v[4:5], v[86:87], v[116:117] op_sel:[0,0,1] op_sel_hi:[1,0,0] neg_lo:[0,0,1] neg_hi:[0,0,1]
	v_pk_fma_f32 v[86:87], v[4:5], v[86:87], v[116:117] op_sel:[0,0,1] op_sel_hi:[1,0,0]
	v_mul_f32_e32 v4, v4, v88
	v_fma_f32 v86, -v5, v89, v4
	v_mul_f32_e32 v116, v83, v88
	v_mov_b32_e32 v4, v5
	v_mov_b32_e32 v112, v88
	;; [unrolled: 1-line block ×3, first 2 shown]
	v_fmac_f32_e32 v116, v82, v89
	v_pk_fma_f32 v[88:89], v[4:5], v[88:89], v[92:93]
	v_mov_b32_e32 v5, v82
	v_pk_fma_f32 v[4:5], v[4:5], v[112:113], v[92:93] neg_lo:[0,0,1] neg_hi:[0,0,1]
	v_pk_mul_f32 v[92:93], v[82:83], v[112:113]
	v_pk_fma_f32 v[112:113], v[82:83], v[114:115], v[92:93] op_sel:[0,0,1] op_sel_hi:[1,1,0]
	v_pk_fma_f32 v[82:83], v[82:83], v[114:115], v[92:93] op_sel:[0,0,1] op_sel_hi:[1,1,0] neg_lo:[1,0,0] neg_hi:[1,0,0]
	v_pk_mul_f32 v[92:93], v[84:85], v[48:49]
	v_pk_fma_f32 v[114:115], v[84:85], v[54:55], v[92:93] op_sel:[0,0,1] op_sel_hi:[1,1,0]
	v_pk_fma_f32 v[54:55], v[84:85], v[54:55], v[92:93] op_sel:[0,0,1] op_sel_hi:[1,1,0] neg_lo:[1,0,0] neg_hi:[1,0,0]
	v_mov_b32_e32 v93, v84
	v_mov_b32_e32 v84, v6
	;; [unrolled: 1-line block ×4, first 2 shown]
	v_pk_mul_f32 v[6:7], v[84:85], v[52:53]
	v_pk_fma_f32 v[52:53], v[4:5], v[48:49], v[6:7]
	v_pk_fma_f32 v[6:7], v[92:93], v[48:49], v[6:7] neg_lo:[0,0,1] neg_hi:[0,0,1]
	buffer_load_dword v92, off, s[0:3], 0 offset:12
	buffer_load_dword v93, off, s[0:3], 0 offset:16
	buffer_load_dword v6, off, s[0:3], 0
	v_mov_b32_e32 v48, v0
	v_mov_b32_e32 v49, v25
	v_pk_mul_f32 v[48:49], v[48:49], v[50:51]
	v_mov_b32_e32 v0, v1
	v_mov_b32_e32 v50, v1
	;; [unrolled: 1-line block ×3, first 2 shown]
	v_pk_fma_f32 v[84:85], v[0:1], v[44:45], v[48:49]
	v_pk_mul_f32 v[0:1], v[24:25], v[44:45]
	v_pk_fma_f32 v[48:49], v[50:51], v[44:45], v[48:49] neg_lo:[0,0,1] neg_hi:[0,0,1]
	v_pk_fma_f32 v[44:45], v[24:25], v[46:47], v[0:1] op_sel:[0,0,1] op_sel_hi:[1,1,0]
	v_pk_fma_f32 v[24:25], v[24:25], v[46:47], v[0:1] op_sel:[0,0,1] op_sel_hi:[1,1,0] neg_lo:[1,0,0] neg_hi:[1,0,0]
	v_pk_mul_f32 v[0:1], v[26:27], v[38:39]
	v_pk_fma_f32 v[46:47], v[26:27], v[96:97], v[0:1] op_sel:[0,0,1] op_sel_hi:[1,1,0]
	v_pk_fma_f32 v[50:51], v[26:27], v[96:97], v[0:1] op_sel:[0,0,1] op_sel_hi:[1,1,0] neg_lo:[1,0,0] neg_hi:[1,0,0]
	v_mov_b32_e32 v1, v27
	v_mov_b32_e32 v0, v2
	;; [unrolled: 1-line block ×4, first 2 shown]
	v_pk_mul_f32 v[0:1], v[0:1], v[94:95]
	v_mov_b32_e32 v2, v3
	v_pk_fma_f32 v[26:27], v[26:27], v[38:39], v[0:1] neg_lo:[0,0,1] neg_hi:[0,0,1]
	v_pk_fma_f32 v[94:95], v[2:3], v[38:39], v[0:1]
	buffer_load_dword v26, off, s[0:3], 0 offset:20
	buffer_load_dword v38, off, s[0:3], 0 offset:4
	;; [unrolled: 1-line block ×3, first 2 shown]
	v_mov_b32_e32 v119, v87
	v_pk_add_f32 v[0:1], v[28:29], v[118:119]
	v_mov_b32_e32 v41, v43
	v_pk_add_f32 v[0:1], v[0:1], v[40:41]
	;; [unrolled: 2-line block ×5, first 2 shown]
	ds_read2_b64 v[0:3], v80 offset0:224 offset1:240
	v_mov_b32_e32 v113, v83
	v_mov_b32_e32 v115, v55
	v_mov_b32_e32 v105, v107
	v_mov_b32_e32 v45, v25
	s_waitcnt lgkmcnt(0)
	v_pk_mul_f32 v[40:41], v[18:19], v[0:1] op_sel:[0,1]
	v_pk_fma_f32 v[42:43], v[18:19], v[0:1], v[40:41] op_sel:[0,0,1] op_sel_hi:[1,0,0] neg_lo:[0,0,1] neg_hi:[0,0,1]
	v_pk_fma_f32 v[40:41], v[18:19], v[0:1], v[40:41] op_sel:[0,0,1] op_sel_hi:[1,0,0]
	v_mov_b32_e32 v43, v41
	v_pk_add_f32 v[28:29], v[28:29], v[104:105]
	v_mov_b32_e32 v111, v91
	v_pk_add_f32 v[28:29], v[28:29], v[110:111]
	;; [unrolled: 2-line block ×3, first 2 shown]
	v_mov_b32_e32 v42, v9
	v_mov_b32_e32 v89, v5
	v_mov_b32_e32 v43, v20
	v_mov_b32_e32 v47, v51
	v_mov_b32_e32 v53, v7
	v_mov_b32_e32 v85, v49
	v_mov_b32_e32 v95, v27
	v_add_co_u32_e32 v34, vcc, 64, v34
	v_addc_co_u32_e32 v35, vcc, 0, v35, vcc
	s_add_u32 s14, s14, 8
	v_add_co_u32_e32 v36, vcc, s8, v36
	s_addc_u32 s15, s15, 0
	s_waitcnt vmcnt(4)
	v_pk_add_f32 v[40:41], v[92:93], v[112:113]
	v_pk_add_f32 v[40:41], v[40:41], v[114:115]
	;; [unrolled: 1-line block ×3, first 2 shown]
	v_mov_b32_e32 v40, v8
	v_mov_b32_e32 v41, v21
	v_pk_mul_f32 v[40:41], v[40:41], v[68:69]
	v_pk_fma_f32 v[8:9], v[4:5], v[60:61], v[40:41]
	s_waitcnt vmcnt(3)
	v_add_f32_e32 v4, v6, v86
	v_add_f32_e32 v4, v4, v120
	;; [unrolled: 1-line block ×6, first 2 shown]
	v_mul_f32_e32 v5, v18, v2
	v_add_f32_e32 v4, v4, v90
	v_fma_f32 v5, -v19, v3, v5
	v_pk_fma_f32 v[40:41], v[42:43], v[60:61], v[40:41] neg_lo:[0,0,1] neg_hi:[0,0,1]
	v_pk_mul_f32 v[42:43], v[20:21], v[60:61]
	v_add_f32_e32 v4, v4, v5
	v_pk_fma_f32 v[44:45], v[20:21], v[62:63], v[42:43] op_sel:[0,0,1] op_sel_hi:[1,1,0]
	v_pk_fma_f32 v[20:21], v[20:21], v[62:63], v[42:43] op_sel:[0,0,1] op_sel_hi:[1,1,0] neg_lo:[1,0,0] neg_hi:[1,0,0]
	buffer_store_dword v4, off, s[0:3], 0
	s_waitcnt vmcnt(3)
	v_add_f32_e32 v4, v26, v116
	v_pk_add_f32 v[24:25], v[24:25], v[46:47]
	v_mov_b32_e32 v45, v21
	v_add_f32_e32 v4, v4, v121
	v_pk_add_f32 v[20:21], v[24:25], v[44:45]
	v_pk_mul_f32 v[24:25], v[22:23], v[70:71]
	v_add_f32_e32 v4, v4, v122
	v_pk_fma_f32 v[42:43], v[22:23], v[102:103], v[24:25] op_sel:[0,0,1] op_sel_hi:[1,1,0]
	v_pk_fma_f32 v[24:25], v[22:23], v[102:103], v[24:25] op_sel:[0,0,1] op_sel_hi:[1,1,0] neg_lo:[1,0,0] neg_hi:[1,0,0]
	v_add_f32_e32 v4, v4, v123
	v_mov_b32_e32 v43, v25
	v_pk_mul_f32 v[24:25], v[12:13], v[72:73]
	v_add_f32_e32 v4, v4, v124
	v_pk_add_f32 v[20:21], v[20:21], v[42:43]
	v_pk_fma_f32 v[42:43], v[12:13], v[108:109], v[24:25] op_sel:[0,0,1] op_sel_hi:[1,1,0]
	v_pk_fma_f32 v[24:25], v[12:13], v[108:109], v[24:25] op_sel:[0,0,1] op_sel_hi:[1,1,0] neg_lo:[1,0,0] neg_hi:[1,0,0]
	v_add_f32_e32 v4, v4, v125
	v_mov_b32_e32 v43, v25
	v_add_f32_e32 v25, v4, v126
	s_waitcnt vmcnt(1)
	v_pk_add_f32 v[4:5], v[38:39], v[88:89]
	v_pk_add_f32 v[4:5], v[4:5], v[52:53]
	v_pk_add_f32 v[4:5], v[4:5], v[84:85]
	v_pk_add_f32 v[4:5], v[4:5], v[94:95]
	v_mov_b32_e32 v9, v41
	v_pk_add_f32 v[4:5], v[4:5], v[8:9]
	v_mov_b32_e32 v8, v10
	v_mov_b32_e32 v9, v23
	;; [unrolled: 1-line block ×3, first 2 shown]
	v_pk_mul_f32 v[8:9], v[8:9], v[74:75]
	v_mov_b32_e32 v10, v11
	v_mov_b32_e32 v11, v22
	v_pk_fma_f32 v[6:7], v[6:7], v[70:71], v[8:9]
	v_pk_fma_f32 v[8:9], v[10:11], v[70:71], v[8:9] neg_lo:[0,0,1] neg_hi:[0,0,1]
	v_mov_b32_e32 v7, v9
	v_pk_add_f32 v[4:5], v[4:5], v[6:7]
	v_mov_b32_e32 v6, v16
	v_mov_b32_e32 v7, v13
	;; [unrolled: 1-line block ×3, first 2 shown]
	v_pk_mul_f32 v[6:7], v[6:7], v[76:77]
	v_mov_b32_e32 v8, v17
	v_mov_b32_e32 v9, v12
	v_pk_fma_f32 v[10:11], v[24:25], v[72:73], v[6:7]
	v_pk_fma_f32 v[6:7], v[8:9], v[72:73], v[6:7] neg_lo:[0,0,1] neg_hi:[0,0,1]
	v_mov_b32_e32 v38, v3
	v_mov_b32_e32 v39, v1
	v_mov_b32_e32 v45, v0
	v_mov_b32_e32 v0, v19
	v_mov_b32_e32 v6, v19
	v_mov_b32_e32 v19, v15
	v_mov_b32_e32 v44, v2
	v_mov_b32_e32 v11, v7
	v_mov_b32_e32 v7, v14
	v_pk_mul_f32 v[8:9], v[18:19], v[38:39]
	v_pk_add_f32 v[20:21], v[20:21], v[42:43]
	v_mov_b32_e32 v42, v1
	v_pk_fma_f32 v[0:1], v[0:1], v[44:45], v[8:9]
	v_pk_fma_f32 v[6:7], v[6:7], v[44:45], v[8:9] neg_lo:[0,0,1] neg_hi:[0,0,1]
	v_pk_add_f32 v[4:5], v[4:5], v[10:11]
	v_mov_b32_e32 v1, v7
	v_pk_add_f32 v[0:1], v[4:5], v[0:1]
	v_mov_b32_e32 v43, v3
	buffer_store_dword v1, off, s[0:3], 0 offset:8
	buffer_store_dword v0, off, s[0:3], 0 offset:4
	v_pk_mul_f32 v[0:1], v[14:15], v[44:45]
	v_pk_fma_f32 v[4:5], v[14:15], v[42:43], v[0:1] op_sel:[0,0,1] op_sel_hi:[1,1,0]
	v_pk_fma_f32 v[0:1], v[14:15], v[42:43], v[0:1] op_sel:[0,0,1] op_sel_hi:[1,1,0] neg_lo:[1,0,0] neg_hi:[1,0,0]
	v_mov_b32_e32 v5, v1
	v_mul_f32_e32 v2, v15, v2
	v_fmac_f32_e32 v2, v14, v3
	v_pk_add_f32 v[0:1], v[20:21], v[4:5]
	v_add_f32_e32 v2, v25, v2
	buffer_store_dword v0, off, s[0:3], 0 offset:12
	buffer_store_dword v1, off, s[0:3], 0 offset:16
	;; [unrolled: 1-line block ×3, first 2 shown]
	v_mov_b32_e32 v0, s9
	v_addc_co_u32_e32 v37, vcc, v37, v0, vcc
	v_pk_mov_b32 v[0:1], s[20:21], s[20:21] op_sel:[0,1]
	v_cmp_lt_i64_e32 vcc, s[14:15], v[0:1]
	s_barrier
	s_cbranch_vccz .LBB107_7
.LBB107_3:                              ; =>This Inner Loop Header: Depth=1
	v_mov_b32_e32 v1, s15
	v_add_co_u32_e32 v0, vcc, s14, v30
	v_addc_co_u32_e32 v1, vcc, 0, v1, vcc
	v_cmp_gt_i64_e32 vcc, s[20:21], v[0:1]
	s_and_b64 s[26:27], s[6:7], vcc
	v_mov_b32_e32 v0, 0
	v_mov_b32_e32 v1, 0
	s_and_saveexec_b64 s[24:25], s[26:27]
	s_cbranch_execz .LBB107_5
; %bb.4:                                ;   in Loop: Header=BB107_3 Depth=1
	global_load_dwordx2 v[0:1], v[36:37], off
.LBB107_5:                              ;   in Loop: Header=BB107_3 Depth=1
	s_or_b64 exec, exec, s[24:25]
	s_waitcnt vmcnt(0)
	ds_write_b64 v78, v[0:1]
	v_mov_b32_e32 v1, s15
	v_add_co_u32_e32 v0, vcc, s14, v32
	v_addc_co_u32_e32 v1, vcc, 0, v1, vcc
	v_cmp_gt_i64_e32 vcc, s[20:21], v[0:1]
	s_and_b64 s[26:27], vcc, s[12:13]
	v_mov_b32_e32 v0, 0
	v_mov_b32_e32 v1, 0
	s_and_saveexec_b64 s[24:25], s[26:27]
	s_cbranch_execz .LBB107_2
; %bb.6:                                ;   in Loop: Header=BB107_3 Depth=1
	global_load_dwordx2 v[0:1], v[34:35], off
	s_branch .LBB107_2
.LBB107_7:
	s_load_dwordx4 s[12:15], s[4:5], 0x78
	s_load_dwordx8 s[24:31], s[4:5], 0x58
	v_mov_b32_e32 v1, s39
	v_add_co_u32_e32 v0, vcc, s38, v33
	s_waitcnt lgkmcnt(0)
	s_mul_i32 s5, s10, s15
	s_mul_hi_u32 s6, s10, s14
	s_mul_i32 s4, s10, s14
	s_add_i32 s5, s6, s5
	s_lshl_b64 s[4:5], s[4:5], 3
	s_add_u32 s11, s30, s4
	s_addc_u32 s30, s31, s5
	s_or_b32 s4, s34, s35
	v_addc_co_u32_e32 v1, vcc, 0, v1, vcc
	s_bitset0_b32 s4, 31
	s_cmp_lg_u32 s4, 0
	v_cmp_gt_i64_e64 s[4:5], s[18:19], v[0:1]
	s_mov_b64 s[6:7], -1
	s_cbranch_scc1 .LBB107_19
; %bb.8:
	s_and_saveexec_b64 s[14:15], s[4:5]
	s_cbranch_execz .LBB107_18
; %bb.9:
	v_mov_b32_e32 v2, s37
	v_add_co_u32_e32 v4, vcc, s36, v31
	v_addc_co_u32_e32 v5, vcc, 0, v2, vcc
	v_mul_lo_u32 v6, v1, s12
	v_mul_lo_u32 v7, v0, s13
	v_mad_u64_u32 v[2:3], s[6:7], v0, s12, 0
	v_add3_u32 v3, v3, v7, v6
	v_lshlrev_b64 v[2:3], 3, v[2:3]
	v_mov_b32_e32 v7, s30
	v_add_co_u32_e64 v6, s[6:7], s11, v2
	v_cmp_gt_i64_e32 vcc, s[16:17], v[4:5]
	v_addc_co_u32_e64 v7, s[6:7], v7, v3, s[6:7]
	v_lshlrev_b64 v[2:3], 3, v[4:5]
	s_and_saveexec_b64 s[8:9], vcc
	s_cbranch_execz .LBB107_11
; %bb.10:
	v_mul_f32_e32 v8, s23, v29
	v_mul_f32_e32 v9, s22, v29
	v_add_co_u32_e64 v10, s[6:7], v6, v2
	v_fma_f32 v8, v28, s22, -v8
	v_fmac_f32_e32 v9, s23, v28
	v_addc_co_u32_e64 v11, s[6:7], v7, v3, s[6:7]
	global_store_dwordx2 v[10:11], v[8:9], off
.LBB107_11:
	s_or_b64 exec, exec, s[8:9]
	v_add_co_u32_e64 v4, s[6:7], 16, v4
	v_addc_co_u32_e64 v5, s[6:7], 0, v5, s[6:7]
	v_cmp_gt_i64_e64 s[6:7], s[16:17], v[4:5]
	s_and_saveexec_b64 s[20:21], s[6:7]
	s_cbranch_execz .LBB107_13
; %bb.12:
	buffer_load_dword v4, off, s[0:3], 0 offset:4
	buffer_load_dword v8, off, s[0:3], 0
	s_waitcnt vmcnt(1)
	v_mul_f32_e32 v9, s23, v4
	v_mul_f32_e32 v5, s22, v4
	s_waitcnt vmcnt(0)
	v_fma_f32 v4, v8, s22, -v9
	v_fmac_f32_e32 v5, s23, v8
	v_add_co_u32_e64 v8, s[8:9], v6, v2
	v_addc_co_u32_e64 v9, s[8:9], v7, v3, s[8:9]
	global_store_dwordx2 v[8:9], v[4:5], off offset:128
.LBB107_13:
	s_or_b64 exec, exec, s[20:21]
	v_add_co_u32_e64 v4, s[8:9], 16, v0
	v_addc_co_u32_e64 v5, s[8:9], 0, v1, s[8:9]
	v_cmp_gt_i64_e64 s[8:9], s[18:19], v[4:5]
	s_and_b64 exec, exec, s[8:9]
	s_cbranch_execz .LBB107_18
; %bb.14:
	buffer_load_dword v4, off, s[0:3], 0 offset:16
	buffer_load_dword v5, off, s[0:3], 0 offset:20
	s_lshl_b64 s[8:9], s[12:13], 7
	v_mov_b32_e32 v8, s9
	v_add_co_u32_e64 v6, s[8:9], s8, v6
	v_addc_co_u32_e64 v7, s[8:9], v7, v8, s[8:9]
	v_add_co_u32_e64 v2, s[8:9], v6, v2
	v_addc_co_u32_e64 v3, s[8:9], v7, v3, s[8:9]
	s_and_saveexec_b64 s[8:9], vcc
	s_cbranch_execz .LBB107_16
; %bb.15:
	buffer_load_dword v6, off, s[0:3], 0 offset:12
	buffer_load_dword v8, off, s[0:3], 0 offset:8
	s_waitcnt vmcnt(1)
	v_mul_f32_e32 v9, s23, v6
	v_mul_f32_e32 v7, s22, v6
	s_waitcnt vmcnt(0)
	v_fma_f32 v6, v8, s22, -v9
	v_fmac_f32_e32 v7, s23, v8
	global_store_dwordx2 v[2:3], v[6:7], off
.LBB107_16:
	s_or_b64 exec, exec, s[8:9]
	s_and_b64 exec, exec, s[6:7]
	s_cbranch_execz .LBB107_18
; %bb.17:
	s_waitcnt vmcnt(0)
	v_mul_f32_e32 v6, s23, v5
	v_mul_f32_e32 v7, s22, v5
	v_fma_f32 v6, v4, s22, -v6
	v_fmac_f32_e32 v7, s23, v4
	global_store_dwordx2 v[2:3], v[6:7], off offset:128
.LBB107_18:
	s_or_b64 exec, exec, s[14:15]
	s_mov_b64 s[6:7], 0
.LBB107_19:
	s_andn2_b64 vcc, exec, s[6:7]
	s_cbranch_vccnz .LBB107_30
; %bb.20:
	s_and_saveexec_b64 s[6:7], s[4:5]
	s_cbranch_execz .LBB107_30
; %bb.21:
	s_mul_i32 s4, s10, s29
	s_mul_hi_u32 s5, s10, s28
	s_add_i32 s5, s5, s4
	s_mul_i32 s4, s10, s28
	s_lshl_b64 s[4:5], s[4:5], 3
	s_add_u32 s6, s24, s4
	v_mov_b32_e32 v2, s37
	s_waitcnt vmcnt(1)
	v_add_co_u32_e32 v4, vcc, s36, v31
	s_addc_u32 s7, s25, s5
	s_waitcnt vmcnt(0)
	v_addc_co_u32_e32 v5, vcc, 0, v2, vcc
	v_mul_lo_u32 v6, v1, s26
	v_mul_lo_u32 v7, v0, s27
	v_mad_u64_u32 v[2:3], s[4:5], v0, s26, 0
	v_add3_u32 v3, v3, v7, v6
	v_mul_lo_u32 v6, v1, s12
	v_mul_lo_u32 v7, v0, s13
	v_mad_u64_u32 v[8:9], s[4:5], v0, s12, 0
	v_lshlrev_b64 v[2:3], 3, v[2:3]
	v_add3_u32 v9, v9, v7, v6
	v_mov_b32_e32 v7, s7
	v_add_co_u32_e64 v6, s[4:5], s6, v2
	v_addc_co_u32_e64 v7, s[4:5], v7, v3, s[4:5]
	v_lshlrev_b64 v[2:3], 3, v[8:9]
	v_mov_b32_e32 v9, s30
	v_add_co_u32_e64 v8, s[4:5], s11, v2
	v_cmp_gt_i64_e32 vcc, s[16:17], v[4:5]
	v_addc_co_u32_e64 v9, s[4:5], v9, v3, s[4:5]
	v_lshlrev_b64 v[2:3], 3, v[4:5]
	s_and_saveexec_b64 s[6:7], vcc
	s_cbranch_execz .LBB107_23
; %bb.22:
	v_add_co_u32_e64 v10, s[4:5], v6, v2
	v_addc_co_u32_e64 v11, s[4:5], v7, v3, s[4:5]
	global_load_dwordx2 v[10:11], v[10:11], off
	v_mul_f32_e32 v12, s23, v29
	v_mul_f32_e32 v13, s22, v29
	v_fma_f32 v12, v28, s22, -v12
	v_fmac_f32_e32 v13, s23, v28
	s_waitcnt vmcnt(0)
	v_mul_f32_e32 v14, s35, v11
	v_mul_f32_e32 v11, s34, v11
	v_fma_f32 v14, v10, s34, -v14
	v_fmac_f32_e32 v11, s35, v10
	v_add_f32_e32 v10, v12, v14
	v_add_co_u32_e64 v12, s[4:5], v8, v2
	v_add_f32_e32 v11, v13, v11
	v_addc_co_u32_e64 v13, s[4:5], v9, v3, s[4:5]
	global_store_dwordx2 v[12:13], v[10:11], off
.LBB107_23:
	s_or_b64 exec, exec, s[6:7]
	v_add_co_u32_e64 v4, s[4:5], 16, v4
	v_addc_co_u32_e64 v5, s[4:5], 0, v5, s[4:5]
	v_cmp_gt_i64_e64 s[4:5], s[16:17], v[4:5]
	s_and_saveexec_b64 s[8:9], s[4:5]
	s_cbranch_execz .LBB107_25
; %bb.24:
	v_add_co_u32_e64 v4, s[6:7], v6, v2
	buffer_load_dword v10, off, s[0:3], 0
	buffer_load_dword v11, off, s[0:3], 0 offset:4
	v_addc_co_u32_e64 v5, s[6:7], v7, v3, s[6:7]
	global_load_dwordx2 v[4:5], v[4:5], off offset:128
	s_waitcnt vmcnt(1)
	v_mul_f32_e32 v12, s23, v11
	v_mul_f32_e32 v11, s22, v11
	v_fma_f32 v12, v10, s22, -v12
	v_fmac_f32_e32 v11, s23, v10
	s_waitcnt vmcnt(0)
	v_mul_f32_e32 v10, s35, v5
	v_mul_f32_e32 v5, s34, v5
	v_fma_f32 v10, v4, s34, -v10
	v_fmac_f32_e32 v5, s35, v4
	v_add_f32_e32 v4, v12, v10
	v_add_co_u32_e64 v10, s[6:7], v8, v2
	v_add_f32_e32 v5, v11, v5
	v_addc_co_u32_e64 v11, s[6:7], v9, v3, s[6:7]
	global_store_dwordx2 v[10:11], v[4:5], off offset:128
.LBB107_25:
	s_or_b64 exec, exec, s[8:9]
	v_add_co_u32_e64 v0, s[6:7], 16, v0
	v_addc_co_u32_e64 v1, s[6:7], 0, v1, s[6:7]
	v_cmp_gt_i64_e64 s[6:7], s[18:19], v[0:1]
	s_and_b64 exec, exec, s[6:7]
	s_cbranch_execz .LBB107_30
; %bb.26:
	buffer_load_dword v10, off, s[0:3], 0 offset:16
	buffer_load_dword v11, off, s[0:3], 0 offset:20
	s_lshl_b64 s[6:7], s[26:27], 7
	v_mov_b32_e32 v0, s7
	v_add_co_u32_e64 v1, s[6:7], s6, v6
	v_addc_co_u32_e64 v0, s[6:7], v7, v0, s[6:7]
	s_lshl_b64 s[6:7], s[12:13], 7
	v_mov_b32_e32 v4, s7
	v_add_co_u32_e64 v6, s[6:7], s6, v8
	v_addc_co_u32_e64 v7, s[6:7], v9, v4, s[6:7]
	v_add_co_u32_e64 v4, s[6:7], v1, v2
	v_addc_co_u32_e64 v5, s[6:7], v0, v3, s[6:7]
	v_add_co_u32_e64 v0, s[6:7], v6, v2
	v_addc_co_u32_e64 v1, s[6:7], v7, v3, s[6:7]
	s_and_saveexec_b64 s[6:7], vcc
	s_cbranch_execz .LBB107_28
; %bb.27:
	buffer_load_dword v6, off, s[0:3], 0 offset:12
	buffer_load_dword v7, off, s[0:3], 0 offset:8
	global_load_dwordx2 v[2:3], v[4:5], off
	s_waitcnt vmcnt(2)
	v_mul_f32_e32 v8, s23, v6
	v_mul_f32_e32 v6, s22, v6
	s_waitcnt vmcnt(0)
	v_mul_f32_e32 v9, s35, v3
	v_mul_f32_e32 v3, s34, v3
	v_fma_f32 v8, v7, s22, -v8
	v_fmac_f32_e32 v6, s23, v7
	v_fma_f32 v7, v2, s34, -v9
	v_fmac_f32_e32 v3, s35, v2
	v_add_f32_e32 v2, v8, v7
	v_add_f32_e32 v3, v6, v3
	global_store_dwordx2 v[0:1], v[2:3], off
.LBB107_28:
	s_or_b64 exec, exec, s[6:7]
	s_and_b64 exec, exec, s[4:5]
	s_cbranch_execz .LBB107_30
; %bb.29:
	global_load_dwordx2 v[2:3], v[4:5], off offset:128
	s_waitcnt vmcnt(1)
	v_mul_f32_e32 v4, s23, v11
	v_mul_f32_e32 v5, s22, v11
	v_fma_f32 v4, v10, s22, -v4
	v_fmac_f32_e32 v5, s23, v10
	s_waitcnt vmcnt(0)
	v_mul_f32_e32 v6, s35, v3
	v_mul_f32_e32 v3, s34, v3
	v_fma_f32 v6, v2, s34, -v6
	v_fmac_f32_e32 v3, s35, v2
	v_add_f32_e32 v2, v4, v6
	v_add_f32_e32 v3, v5, v3
	global_store_dwordx2 v[0:1], v[2:3], off offset:128
.LBB107_30:
	s_endpgm
	.section	.rodata,"a",@progbits
	.p2align	6, 0x0
	.amdhsa_kernel _ZN12_GLOBAL__N_135rocblas_gemm_batched_general_kernelI19rocblas_complex_numIfELi16ELi16ELi32ELi32ELi8ELi32ELi8ELi8ELi32ELc78ELc78EKS2_S3_S2_EEvlllT_PT11_llS6_llS4_PT12_llPT13_lli
		.amdhsa_group_segment_fixed_size 4096
		.amdhsa_private_segment_fixed_size 32
		.amdhsa_kernarg_size 140
		.amdhsa_user_sgpr_count 8
		.amdhsa_user_sgpr_private_segment_buffer 1
		.amdhsa_user_sgpr_dispatch_ptr 0
		.amdhsa_user_sgpr_queue_ptr 0
		.amdhsa_user_sgpr_kernarg_segment_ptr 1
		.amdhsa_user_sgpr_dispatch_id 0
		.amdhsa_user_sgpr_flat_scratch_init 1
		.amdhsa_user_sgpr_kernarg_preload_length 0
		.amdhsa_user_sgpr_kernarg_preload_offset 0
		.amdhsa_user_sgpr_private_segment_size 0
		.amdhsa_uses_dynamic_stack 0
		.amdhsa_system_sgpr_private_segment_wavefront_offset 1
		.amdhsa_system_sgpr_workgroup_id_x 1
		.amdhsa_system_sgpr_workgroup_id_y 1
		.amdhsa_system_sgpr_workgroup_id_z 1
		.amdhsa_system_sgpr_workgroup_info 0
		.amdhsa_system_vgpr_workitem_id 1
		.amdhsa_next_free_vgpr 127
		.amdhsa_next_free_sgpr 44
		.amdhsa_accum_offset 128
		.amdhsa_reserve_vcc 1
		.amdhsa_reserve_flat_scratch 0
		.amdhsa_float_round_mode_32 0
		.amdhsa_float_round_mode_16_64 0
		.amdhsa_float_denorm_mode_32 3
		.amdhsa_float_denorm_mode_16_64 3
		.amdhsa_dx10_clamp 1
		.amdhsa_ieee_mode 1
		.amdhsa_fp16_overflow 0
		.amdhsa_tg_split 0
		.amdhsa_exception_fp_ieee_invalid_op 0
		.amdhsa_exception_fp_denorm_src 0
		.amdhsa_exception_fp_ieee_div_zero 0
		.amdhsa_exception_fp_ieee_overflow 0
		.amdhsa_exception_fp_ieee_underflow 0
		.amdhsa_exception_fp_ieee_inexact 0
		.amdhsa_exception_int_div_zero 0
	.end_amdhsa_kernel
	.section	.text._ZN12_GLOBAL__N_135rocblas_gemm_batched_general_kernelI19rocblas_complex_numIfELi16ELi16ELi32ELi32ELi8ELi32ELi8ELi8ELi32ELc78ELc78EKS2_S3_S2_EEvlllT_PT11_llS6_llS4_PT12_llPT13_lli,"axG",@progbits,_ZN12_GLOBAL__N_135rocblas_gemm_batched_general_kernelI19rocblas_complex_numIfELi16ELi16ELi32ELi32ELi8ELi32ELi8ELi8ELi32ELc78ELc78EKS2_S3_S2_EEvlllT_PT11_llS6_llS4_PT12_llPT13_lli,comdat
.Lfunc_end107:
	.size	_ZN12_GLOBAL__N_135rocblas_gemm_batched_general_kernelI19rocblas_complex_numIfELi16ELi16ELi32ELi32ELi8ELi32ELi8ELi8ELi32ELc78ELc78EKS2_S3_S2_EEvlllT_PT11_llS6_llS4_PT12_llPT13_lli, .Lfunc_end107-_ZN12_GLOBAL__N_135rocblas_gemm_batched_general_kernelI19rocblas_complex_numIfELi16ELi16ELi32ELi32ELi8ELi32ELi8ELi8ELi32ELc78ELc78EKS2_S3_S2_EEvlllT_PT11_llS6_llS4_PT12_llPT13_lli
                                        ; -- End function
	.section	.AMDGPU.csdata,"",@progbits
; Kernel info:
; codeLenInByte = 3676
; NumSgprs: 48
; NumVgprs: 127
; NumAgprs: 0
; TotalNumVgprs: 127
; ScratchSize: 32
; MemoryBound: 0
; FloatMode: 240
; IeeeMode: 1
; LDSByteSize: 4096 bytes/workgroup (compile time only)
; SGPRBlocks: 5
; VGPRBlocks: 15
; NumSGPRsForWavesPerEU: 48
; NumVGPRsForWavesPerEU: 127
; AccumOffset: 128
; Occupancy: 4
; WaveLimiterHint : 1
; COMPUTE_PGM_RSRC2:SCRATCH_EN: 1
; COMPUTE_PGM_RSRC2:USER_SGPR: 8
; COMPUTE_PGM_RSRC2:TRAP_HANDLER: 0
; COMPUTE_PGM_RSRC2:TGID_X_EN: 1
; COMPUTE_PGM_RSRC2:TGID_Y_EN: 1
; COMPUTE_PGM_RSRC2:TGID_Z_EN: 1
; COMPUTE_PGM_RSRC2:TIDIG_COMP_CNT: 1
; COMPUTE_PGM_RSRC3_GFX90A:ACCUM_OFFSET: 31
; COMPUTE_PGM_RSRC3_GFX90A:TG_SPLIT: 0
	.section	.text._ZN12_GLOBAL__N_135rocblas_gemm_batched_general_kernelI19rocblas_complex_numIfELi16ELi16ELi32ELi32ELi8ELi32ELi8ELi8ELi32ELc84ELc78EKS2_S3_S2_EEvlllT_PT11_llS6_llS4_PT12_llPT13_lli,"axG",@progbits,_ZN12_GLOBAL__N_135rocblas_gemm_batched_general_kernelI19rocblas_complex_numIfELi16ELi16ELi32ELi32ELi8ELi32ELi8ELi8ELi32ELc84ELc78EKS2_S3_S2_EEvlllT_PT11_llS6_llS4_PT12_llPT13_lli,comdat
	.globl	_ZN12_GLOBAL__N_135rocblas_gemm_batched_general_kernelI19rocblas_complex_numIfELi16ELi16ELi32ELi32ELi8ELi32ELi8ELi8ELi32ELc84ELc78EKS2_S3_S2_EEvlllT_PT11_llS6_llS4_PT12_llPT13_lli ; -- Begin function _ZN12_GLOBAL__N_135rocblas_gemm_batched_general_kernelI19rocblas_complex_numIfELi16ELi16ELi32ELi32ELi8ELi32ELi8ELi8ELi32ELc84ELc78EKS2_S3_S2_EEvlllT_PT11_llS6_llS4_PT12_llPT13_lli
	.p2align	8
	.type	_ZN12_GLOBAL__N_135rocblas_gemm_batched_general_kernelI19rocblas_complex_numIfELi16ELi16ELi32ELi32ELi8ELi32ELi8ELi8ELi32ELc84ELc78EKS2_S3_S2_EEvlllT_PT11_llS6_llS4_PT12_llPT13_lli,@function
_ZN12_GLOBAL__N_135rocblas_gemm_batched_general_kernelI19rocblas_complex_numIfELi16ELi16ELi32ELi32ELi8ELi32ELi8ELi8ELi32ELc84ELc78EKS2_S3_S2_EEvlllT_PT11_llS6_llS4_PT12_llPT13_lli: ; @_ZN12_GLOBAL__N_135rocblas_gemm_batched_general_kernelI19rocblas_complex_numIfELi16ELi16ELi32ELi32ELi8ELi32ELi8ELi8ELi32ELc84ELc78EKS2_S3_S2_EEvlllT_PT11_llS6_llS4_PT12_llPT13_lli
; %bb.0:
	s_load_dwordx16 s[12:27], s[4:5], 0x0
	s_load_dwordx2 s[34:35], s[4:5], 0x50
	s_add_u32 s0, s0, s11
	s_mov_b32 s6, s9
	s_addc_u32 s1, s1, 0
	s_ashr_i32 s7, s6, 31
	v_mov_b32_e32 v29, 0
	s_ashr_i32 s9, s8, 31
	s_lshl_b64 s[38:39], s[6:7], 5
	s_waitcnt lgkmcnt(0)
	v_cmp_lt_i64_e64 s[6:7], s[16:17], 1
	v_and_b32_e32 v31, 0x3ff, v0
	v_bfe_u32 v33, v0, 10, 10
	s_lshl_b64 s[36:37], s[8:9], 5
	s_and_b64 vcc, exec, s[6:7]
	v_mov_b32_e32 v28, v29
	buffer_store_dword v29, off, s[0:3], 0 offset:4
	buffer_store_dword v29, off, s[0:3], 0
	buffer_store_dword v29, off, s[0:3], 0 offset:12
	buffer_store_dword v29, off, s[0:3], 0 offset:8
	;; [unrolled: 1-line block ×4, first 2 shown]
	s_cbranch_vccnz .LBB108_7
; %bb.1:
	v_lshl_add_u32 v2, v33, 4, v31
	v_and_b32_e32 v5, 31, v2
	s_load_dwordx4 s[28:31], s[4:5], 0x40
	v_lshrrev_b32_e32 v30, 5, v2
	v_lshrrev_b32_e32 v4, 3, v2
	v_mov_b32_e32 v3, s37
	v_or_b32_e32 v2, s36, v5
	v_and_b32_e32 v32, 7, v31
	v_cmp_gt_i64_e64 s[6:7], s[12:13], v[2:3]
	v_lshlrev_b32_e32 v2, 3, v5
	v_lshl_or_b32 v78, v30, 8, v2
	v_lshlrev_b32_e32 v2, 3, v32
	v_mov_b32_e32 v1, s39
	v_add_co_u32_e32 v0, vcc, s38, v4
	v_lshl_or_b32 v3, v4, 6, v2
	v_addc_co_u32_e32 v1, vcc, 0, v1, vcc
	v_add_u32_e32 v79, 0x800, v3
	v_mov_b32_e32 v3, 0x800
	v_cmp_gt_i64_e64 s[8:9], s[14:15], v[0:1]
	v_lshl_add_u32 v81, v33, 6, v3
	s_waitcnt lgkmcnt(0)
	v_mul_lo_u32 v3, s29, v0
	v_mul_lo_u32 v4, s28, v1
	v_mad_u64_u32 v[0:1], s[28:29], s28, v0, 0
	s_mul_i32 s11, s31, s10
	s_mul_hi_u32 s28, s30, s10
	v_add3_u32 v1, v1, v4, v3
	s_add_i32 s29, s28, s11
	s_mul_i32 s28, s30, s10
	v_lshlrev_b64 v[0:1], 3, v[0:1]
	s_lshl_b64 s[28:29], s[28:29], 3
	v_mov_b32_e32 v3, s29
	v_add_co_u32_e32 v0, vcc, s28, v0
	v_addc_co_u32_e32 v1, vcc, v1, v3, vcc
	v_add_co_u32_e32 v0, vcc, v0, v2
	v_addc_co_u32_e32 v1, vcc, 0, v1, vcc
	v_mov_b32_e32 v2, s27
	v_add_co_u32_e32 v34, vcc, s26, v0
	v_addc_co_u32_e32 v35, vcc, v2, v1, vcc
	v_mov_b32_e32 v0, s37
	v_add_co_u32_e32 v1, vcc, s36, v5
	v_addc_co_u32_e32 v0, vcc, 0, v0, vcc
	v_mul_lo_u32 v2, s23, v1
	v_mul_lo_u32 v3, s22, v0
	v_mad_u64_u32 v[0:1], s[22:23], s22, v1, 0
	s_mul_i32 s11, s25, s10
	s_mul_hi_u32 s22, s24, s10
	v_add3_u32 v1, v1, v3, v2
	s_add_i32 s23, s22, s11
	s_mul_i32 s22, s24, s10
	v_lshlrev_b64 v[0:1], 3, v[0:1]
	s_lshl_b64 s[22:23], s[22:23], 3
	v_mov_b32_e32 v2, s23
	v_add_co_u32_e32 v0, vcc, s22, v0
	v_addc_co_u32_e32 v1, vcc, v1, v2, vcc
	v_lshlrev_b32_e32 v2, 3, v30
	v_add_co_u32_e32 v0, vcc, v0, v2
	v_addc_co_u32_e32 v1, vcc, 0, v1, vcc
	v_mov_b32_e32 v28, 0
	v_mov_b32_e32 v2, s21
	v_add_co_u32_e32 v36, vcc, s20, v0
	v_lshlrev_b32_e32 v80, 3, v31
	v_addc_co_u32_e32 v37, vcc, v2, v1, vcc
	s_mov_b64 s[20:21], 0
	v_mov_b32_e32 v29, v28
	s_branch .LBB108_3
.LBB108_2:                              ;   in Loop: Header=BB108_3 Depth=1
	s_or_b64 exec, exec, s[22:23]
	s_waitcnt vmcnt(0)
	ds_write_b64 v79, v[0:1]
	s_waitcnt lgkmcnt(0)
	s_barrier
	ds_read2_b64 v[12:15], v80 offset0:32 offset1:48
	ds_read2_b64 v[16:19], v80 offset0:64 offset1:80
	;; [unrolled: 1-line block ×3, first 2 shown]
	ds_read_b128 v[4:7], v81
	ds_read_b128 v[0:3], v81 offset:16
	ds_read_b128 v[82:85], v81 offset:1024
	;; [unrolled: 1-line block ×3, first 2 shown]
	s_waitcnt lgkmcnt(6)
	v_mov_b32_e32 v49, v12
	s_waitcnt lgkmcnt(3)
	v_pk_mul_f32 v[20:21], v[6:7], v[12:13] op_sel:[0,1]
	v_pk_fma_f32 v[40:41], v[6:7], v[12:13], v[20:21] op_sel:[0,0,1] op_sel_hi:[1,0,0] neg_lo:[0,0,1] neg_hi:[0,0,1]
	v_pk_fma_f32 v[42:43], v[6:7], v[12:13], v[20:21] op_sel:[0,0,1] op_sel_hi:[1,0,0]
	v_mul_f32_e32 v12, v6, v14
	v_mov_b32_e32 v53, v13
	v_mov_b32_e32 v54, v13
	v_fma_f32 v120, -v7, v15, v12
	s_waitcnt lgkmcnt(2)
	v_pk_mul_f32 v[12:13], v[0:1], v[16:17] op_sel:[0,1]
	v_pk_fma_f32 v[56:57], v[0:1], v[16:17], v[12:13] op_sel:[0,0,1] op_sel_hi:[1,0,0] neg_lo:[0,0,1] neg_hi:[0,0,1]
	v_pk_fma_f32 v[58:59], v[0:1], v[16:17], v[12:13] op_sel:[0,0,1] op_sel_hi:[1,0,0]
	v_mul_f32_e32 v12, v0, v18
	v_fma_f32 v58, -v1, v19, v12
	v_pk_mul_f32 v[12:13], v[2:3], v[8:9] op_sel:[0,1]
	v_mov_b32_e32 v39, v8
	v_pk_fma_f32 v[64:65], v[2:3], v[8:9], v[12:13] op_sel:[0,0,1] op_sel_hi:[1,0,0] neg_lo:[0,0,1] neg_hi:[0,0,1]
	v_pk_fma_f32 v[66:67], v[2:3], v[8:9], v[12:13] op_sel:[0,0,1] op_sel_hi:[1,0,0]
	v_mul_f32_e32 v8, v2, v10
	s_waitcnt lgkmcnt(0)
	v_mul_f32_e32 v123, v27, v10
	v_mov_b32_e32 v38, v10
	v_mov_b32_e32 v94, v11
	;; [unrolled: 1-line block ×5, first 2 shown]
	ds_read2_b64 v[70:73], v80 offset0:128 offset1:144
	v_fma_f32 v66, -v3, v11, v8
	v_fmac_f32_e32 v123, v26, v11
	ds_read_b128 v[8:11], v81 offset:32
	ds_read_b128 v[20:23], v81 offset:1056
	v_mul_f32_e32 v122, v25, v18
	ds_read2_b64 v[86:89], v80 offset0:160 offset1:176
	v_mov_b32_e32 v44, v18
	v_mov_b32_e32 v45, v16
	;; [unrolled: 1-line block ×6, first 2 shown]
	v_fmac_f32_e32 v122, v24, v19
	ds_read_b128 v[16:19], v81 offset:48
	ds_read2_b64 v[90:93], v80 offset0:192 offset1:208
	s_waitcnt lgkmcnt(4)
	v_pk_mul_f32 v[12:13], v[8:9], v[70:71] op_sel:[0,1]
	v_mul_f32_e32 v121, v85, v14
	v_pk_fma_f32 v[98:99], v[8:9], v[70:71], v[12:13] op_sel:[0,0,1] op_sel_hi:[1,0,0] neg_lo:[0,0,1] neg_hi:[0,0,1]
	v_pk_fma_f32 v[100:101], v[8:9], v[70:71], v[12:13] op_sel:[0,0,1] op_sel_hi:[1,0,0]
	v_mul_f32_e32 v12, v8, v72
	v_mov_b32_e32 v48, v14
	v_mov_b32_e32 v52, v15
	;; [unrolled: 1-line block ×3, first 2 shown]
	v_fmac_f32_e32 v121, v84, v15
	v_fma_f32 v100, -v9, v73, v12
	ds_read_b128 v[12:15], v81 offset:1072
	s_waitcnt lgkmcnt(4)
	v_mul_f32_e32 v124, v21, v72
	v_mov_b32_e32 v60, v72
	v_mov_b32_e32 v68, v73
	;; [unrolled: 1-line block ×3, first 2 shown]
	v_fmac_f32_e32 v124, v20, v73
	s_waitcnt lgkmcnt(3)
	v_pk_mul_f32 v[72:73], v[10:11], v[86:87] op_sel:[0,1]
	v_mov_b32_e32 v69, v71
	v_mov_b32_e32 v62, v71
	;; [unrolled: 1-line block ×5, first 2 shown]
	v_pk_fma_f32 v[104:105], v[10:11], v[86:87], v[72:73] op_sel:[0,0,1] op_sel_hi:[1,0,0] neg_lo:[0,0,1] neg_hi:[0,0,1]
	v_pk_fma_f32 v[106:107], v[10:11], v[86:87], v[72:73] op_sel:[0,0,1] op_sel_hi:[1,0,0]
	v_mul_f32_e32 v41, v10, v88
	v_mul_f32_e32 v125, v23, v88
	s_waitcnt lgkmcnt(1)
	v_pk_mul_f32 v[86:87], v[16:17], v[90:91] op_sel:[0,1]
	v_mov_b32_e32 v61, v70
	v_mov_b32_e32 v70, v88
	;; [unrolled: 1-line block ×4, first 2 shown]
	v_fma_f32 v106, -v11, v89, v41
	v_fmac_f32_e32 v125, v22, v89
	v_mov_b32_e32 v73, v90
	v_mov_b32_e32 v77, v91
	;; [unrolled: 1-line block ×3, first 2 shown]
	v_pk_fma_f32 v[110:111], v[16:17], v[90:91], v[86:87] op_sel:[0,0,1] op_sel_hi:[1,0,0] neg_lo:[0,0,1] neg_hi:[0,0,1]
	v_pk_fma_f32 v[90:91], v[16:17], v[90:91], v[86:87] op_sel:[0,0,1] op_sel_hi:[1,0,0]
	ds_read2_b64 v[86:89], v80 offset1:16
	v_mul_f32_e32 v41, v16, v92
	s_waitcnt lgkmcnt(1)
	v_mul_f32_e32 v126, v13, v92
	v_mov_b32_e32 v72, v92
	v_mov_b32_e32 v76, v93
	;; [unrolled: 1-line block ×3, first 2 shown]
	v_fma_f32 v90, -v17, v93, v41
	v_fmac_f32_e32 v126, v12, v93
	s_waitcnt lgkmcnt(0)
	v_mov_b32_e32 v92, v89
	v_mov_b32_e32 v93, v87
	;; [unrolled: 1-line block ×4, first 2 shown]
	v_pk_mul_f32 v[116:117], v[4:5], v[86:87] op_sel:[0,1]
	v_pk_mul_f32 v[92:93], v[112:113], v[92:93]
	v_mov_b32_e32 v113, v86
	v_mov_b32_e32 v114, v87
	v_pk_fma_f32 v[118:119], v[4:5], v[86:87], v[116:117] op_sel:[0,0,1] op_sel_hi:[1,0,0] neg_lo:[0,0,1] neg_hi:[0,0,1]
	v_pk_fma_f32 v[86:87], v[4:5], v[86:87], v[116:117] op_sel:[0,0,1] op_sel_hi:[1,0,0]
	v_mul_f32_e32 v4, v4, v88
	v_fma_f32 v86, -v5, v89, v4
	v_mul_f32_e32 v116, v83, v88
	v_mov_b32_e32 v4, v5
	v_mov_b32_e32 v112, v88
	;; [unrolled: 1-line block ×3, first 2 shown]
	v_fmac_f32_e32 v116, v82, v89
	v_pk_fma_f32 v[88:89], v[4:5], v[88:89], v[92:93]
	v_mov_b32_e32 v5, v82
	v_pk_fma_f32 v[4:5], v[4:5], v[112:113], v[92:93] neg_lo:[0,0,1] neg_hi:[0,0,1]
	v_pk_mul_f32 v[92:93], v[82:83], v[112:113]
	v_pk_fma_f32 v[112:113], v[82:83], v[114:115], v[92:93] op_sel:[0,0,1] op_sel_hi:[1,1,0]
	v_pk_fma_f32 v[82:83], v[82:83], v[114:115], v[92:93] op_sel:[0,0,1] op_sel_hi:[1,1,0] neg_lo:[1,0,0] neg_hi:[1,0,0]
	v_pk_mul_f32 v[92:93], v[84:85], v[48:49]
	v_pk_fma_f32 v[114:115], v[84:85], v[54:55], v[92:93] op_sel:[0,0,1] op_sel_hi:[1,1,0]
	v_pk_fma_f32 v[54:55], v[84:85], v[54:55], v[92:93] op_sel:[0,0,1] op_sel_hi:[1,1,0] neg_lo:[1,0,0] neg_hi:[1,0,0]
	v_mov_b32_e32 v93, v84
	v_mov_b32_e32 v84, v6
	;; [unrolled: 1-line block ×4, first 2 shown]
	v_pk_mul_f32 v[6:7], v[84:85], v[52:53]
	v_pk_fma_f32 v[52:53], v[4:5], v[48:49], v[6:7]
	v_pk_fma_f32 v[6:7], v[92:93], v[48:49], v[6:7] neg_lo:[0,0,1] neg_hi:[0,0,1]
	buffer_load_dword v92, off, s[0:3], 0 offset:12
	buffer_load_dword v93, off, s[0:3], 0 offset:16
	buffer_load_dword v6, off, s[0:3], 0
	v_mov_b32_e32 v48, v0
	v_mov_b32_e32 v49, v25
	v_pk_mul_f32 v[48:49], v[48:49], v[50:51]
	v_mov_b32_e32 v0, v1
	v_mov_b32_e32 v50, v1
	;; [unrolled: 1-line block ×3, first 2 shown]
	v_pk_fma_f32 v[84:85], v[0:1], v[44:45], v[48:49]
	v_pk_mul_f32 v[0:1], v[24:25], v[44:45]
	v_pk_fma_f32 v[48:49], v[50:51], v[44:45], v[48:49] neg_lo:[0,0,1] neg_hi:[0,0,1]
	v_pk_fma_f32 v[44:45], v[24:25], v[46:47], v[0:1] op_sel:[0,0,1] op_sel_hi:[1,1,0]
	v_pk_fma_f32 v[24:25], v[24:25], v[46:47], v[0:1] op_sel:[0,0,1] op_sel_hi:[1,1,0] neg_lo:[1,0,0] neg_hi:[1,0,0]
	v_pk_mul_f32 v[0:1], v[26:27], v[38:39]
	v_pk_fma_f32 v[46:47], v[26:27], v[96:97], v[0:1] op_sel:[0,0,1] op_sel_hi:[1,1,0]
	v_pk_fma_f32 v[50:51], v[26:27], v[96:97], v[0:1] op_sel:[0,0,1] op_sel_hi:[1,1,0] neg_lo:[1,0,0] neg_hi:[1,0,0]
	v_mov_b32_e32 v1, v27
	v_mov_b32_e32 v0, v2
	;; [unrolled: 1-line block ×4, first 2 shown]
	v_pk_mul_f32 v[0:1], v[0:1], v[94:95]
	v_mov_b32_e32 v2, v3
	v_pk_fma_f32 v[26:27], v[26:27], v[38:39], v[0:1] neg_lo:[0,0,1] neg_hi:[0,0,1]
	v_pk_fma_f32 v[94:95], v[2:3], v[38:39], v[0:1]
	buffer_load_dword v26, off, s[0:3], 0 offset:20
	buffer_load_dword v38, off, s[0:3], 0 offset:4
	;; [unrolled: 1-line block ×3, first 2 shown]
	v_mov_b32_e32 v119, v87
	v_pk_add_f32 v[0:1], v[28:29], v[118:119]
	v_mov_b32_e32 v41, v43
	v_pk_add_f32 v[0:1], v[0:1], v[40:41]
	;; [unrolled: 2-line block ×5, first 2 shown]
	ds_read2_b64 v[0:3], v80 offset0:224 offset1:240
	v_mov_b32_e32 v113, v83
	v_mov_b32_e32 v115, v55
	;; [unrolled: 1-line block ×4, first 2 shown]
	s_waitcnt lgkmcnt(0)
	v_pk_mul_f32 v[40:41], v[18:19], v[0:1] op_sel:[0,1]
	v_pk_fma_f32 v[42:43], v[18:19], v[0:1], v[40:41] op_sel:[0,0,1] op_sel_hi:[1,0,0] neg_lo:[0,0,1] neg_hi:[0,0,1]
	v_pk_fma_f32 v[40:41], v[18:19], v[0:1], v[40:41] op_sel:[0,0,1] op_sel_hi:[1,0,0]
	v_mov_b32_e32 v43, v41
	v_pk_add_f32 v[28:29], v[28:29], v[104:105]
	v_mov_b32_e32 v111, v91
	v_pk_add_f32 v[28:29], v[28:29], v[110:111]
	;; [unrolled: 2-line block ×3, first 2 shown]
	v_mov_b32_e32 v42, v9
	v_mov_b32_e32 v89, v5
	v_mov_b32_e32 v43, v20
	v_mov_b32_e32 v47, v51
	v_mov_b32_e32 v53, v7
	v_mov_b32_e32 v85, v49
	v_mov_b32_e32 v95, v27
	v_add_co_u32_e32 v34, vcc, 64, v34
	v_addc_co_u32_e32 v35, vcc, 0, v35, vcc
	s_add_u32 s20, s20, 8
	v_add_co_u32_e32 v36, vcc, 64, v36
	s_addc_u32 s21, s21, 0
	v_addc_co_u32_e32 v37, vcc, 0, v37, vcc
	s_waitcnt vmcnt(4)
	v_pk_add_f32 v[40:41], v[92:93], v[112:113]
	v_pk_add_f32 v[40:41], v[40:41], v[114:115]
	;; [unrolled: 1-line block ×3, first 2 shown]
	v_mov_b32_e32 v40, v8
	v_mov_b32_e32 v41, v21
	v_pk_mul_f32 v[40:41], v[40:41], v[68:69]
	v_pk_fma_f32 v[8:9], v[4:5], v[60:61], v[40:41]
	s_waitcnt vmcnt(3)
	v_add_f32_e32 v4, v6, v86
	v_add_f32_e32 v4, v4, v120
	;; [unrolled: 1-line block ×6, first 2 shown]
	v_mul_f32_e32 v5, v18, v2
	v_add_f32_e32 v4, v4, v90
	v_fma_f32 v5, -v19, v3, v5
	v_pk_fma_f32 v[40:41], v[42:43], v[60:61], v[40:41] neg_lo:[0,0,1] neg_hi:[0,0,1]
	v_pk_mul_f32 v[42:43], v[20:21], v[60:61]
	v_add_f32_e32 v4, v4, v5
	v_pk_fma_f32 v[44:45], v[20:21], v[62:63], v[42:43] op_sel:[0,0,1] op_sel_hi:[1,1,0]
	v_pk_fma_f32 v[20:21], v[20:21], v[62:63], v[42:43] op_sel:[0,0,1] op_sel_hi:[1,1,0] neg_lo:[1,0,0] neg_hi:[1,0,0]
	buffer_store_dword v4, off, s[0:3], 0
	s_waitcnt vmcnt(3)
	v_add_f32_e32 v4, v26, v116
	v_pk_add_f32 v[24:25], v[24:25], v[46:47]
	v_mov_b32_e32 v45, v21
	v_add_f32_e32 v4, v4, v121
	v_pk_add_f32 v[20:21], v[24:25], v[44:45]
	v_pk_mul_f32 v[24:25], v[22:23], v[70:71]
	v_add_f32_e32 v4, v4, v122
	v_pk_fma_f32 v[42:43], v[22:23], v[102:103], v[24:25] op_sel:[0,0,1] op_sel_hi:[1,1,0]
	v_pk_fma_f32 v[24:25], v[22:23], v[102:103], v[24:25] op_sel:[0,0,1] op_sel_hi:[1,1,0] neg_lo:[1,0,0] neg_hi:[1,0,0]
	v_add_f32_e32 v4, v4, v123
	v_mov_b32_e32 v43, v25
	v_pk_mul_f32 v[24:25], v[12:13], v[72:73]
	v_add_f32_e32 v4, v4, v124
	v_pk_add_f32 v[20:21], v[20:21], v[42:43]
	v_pk_fma_f32 v[42:43], v[12:13], v[108:109], v[24:25] op_sel:[0,0,1] op_sel_hi:[1,1,0]
	v_pk_fma_f32 v[24:25], v[12:13], v[108:109], v[24:25] op_sel:[0,0,1] op_sel_hi:[1,1,0] neg_lo:[1,0,0] neg_hi:[1,0,0]
	v_add_f32_e32 v4, v4, v125
	v_mov_b32_e32 v43, v25
	v_add_f32_e32 v25, v4, v126
	s_waitcnt vmcnt(1)
	v_pk_add_f32 v[4:5], v[38:39], v[88:89]
	v_pk_add_f32 v[4:5], v[4:5], v[52:53]
	;; [unrolled: 1-line block ×4, first 2 shown]
	v_mov_b32_e32 v9, v41
	v_pk_add_f32 v[4:5], v[4:5], v[8:9]
	v_mov_b32_e32 v8, v10
	v_mov_b32_e32 v9, v23
	;; [unrolled: 1-line block ×3, first 2 shown]
	v_pk_mul_f32 v[8:9], v[8:9], v[74:75]
	v_mov_b32_e32 v10, v11
	v_mov_b32_e32 v11, v22
	v_pk_fma_f32 v[6:7], v[6:7], v[70:71], v[8:9]
	v_pk_fma_f32 v[8:9], v[10:11], v[70:71], v[8:9] neg_lo:[0,0,1] neg_hi:[0,0,1]
	v_mov_b32_e32 v7, v9
	v_pk_add_f32 v[4:5], v[4:5], v[6:7]
	v_mov_b32_e32 v6, v16
	v_mov_b32_e32 v7, v13
	;; [unrolled: 1-line block ×3, first 2 shown]
	v_pk_mul_f32 v[6:7], v[6:7], v[76:77]
	v_mov_b32_e32 v8, v17
	v_mov_b32_e32 v9, v12
	v_pk_fma_f32 v[10:11], v[24:25], v[72:73], v[6:7]
	v_pk_fma_f32 v[6:7], v[8:9], v[72:73], v[6:7] neg_lo:[0,0,1] neg_hi:[0,0,1]
	v_mov_b32_e32 v38, v3
	v_mov_b32_e32 v39, v1
	;; [unrolled: 1-line block ×9, first 2 shown]
	v_pk_mul_f32 v[8:9], v[18:19], v[38:39]
	v_pk_add_f32 v[20:21], v[20:21], v[42:43]
	v_mov_b32_e32 v42, v1
	v_pk_fma_f32 v[0:1], v[0:1], v[44:45], v[8:9]
	v_pk_fma_f32 v[6:7], v[6:7], v[44:45], v[8:9] neg_lo:[0,0,1] neg_hi:[0,0,1]
	v_pk_add_f32 v[4:5], v[4:5], v[10:11]
	v_mov_b32_e32 v1, v7
	v_pk_add_f32 v[0:1], v[4:5], v[0:1]
	v_mov_b32_e32 v43, v3
	buffer_store_dword v1, off, s[0:3], 0 offset:8
	buffer_store_dword v0, off, s[0:3], 0 offset:4
	v_pk_mul_f32 v[0:1], v[14:15], v[44:45]
	v_pk_fma_f32 v[4:5], v[14:15], v[42:43], v[0:1] op_sel:[0,0,1] op_sel_hi:[1,1,0]
	v_pk_fma_f32 v[0:1], v[14:15], v[42:43], v[0:1] op_sel:[0,0,1] op_sel_hi:[1,1,0] neg_lo:[1,0,0] neg_hi:[1,0,0]
	v_mov_b32_e32 v5, v1
	v_mul_f32_e32 v2, v15, v2
	v_fmac_f32_e32 v2, v14, v3
	v_pk_add_f32 v[0:1], v[20:21], v[4:5]
	v_add_f32_e32 v2, v25, v2
	buffer_store_dword v0, off, s[0:3], 0 offset:12
	buffer_store_dword v1, off, s[0:3], 0 offset:16
	;; [unrolled: 1-line block ×3, first 2 shown]
	v_pk_mov_b32 v[0:1], s[16:17], s[16:17] op_sel:[0,1]
	v_cmp_lt_i64_e32 vcc, s[20:21], v[0:1]
	s_barrier
	s_cbranch_vccz .LBB108_7
.LBB108_3:                              ; =>This Inner Loop Header: Depth=1
	v_mov_b32_e32 v1, s21
	v_add_co_u32_e32 v0, vcc, s20, v30
	v_addc_co_u32_e32 v1, vcc, 0, v1, vcc
	v_cmp_gt_i64_e32 vcc, s[16:17], v[0:1]
	s_and_b64 s[24:25], s[6:7], vcc
	v_mov_b32_e32 v0, 0
	v_mov_b32_e32 v1, 0
	s_and_saveexec_b64 s[22:23], s[24:25]
	s_cbranch_execz .LBB108_5
; %bb.4:                                ;   in Loop: Header=BB108_3 Depth=1
	global_load_dwordx2 v[0:1], v[36:37], off
.LBB108_5:                              ;   in Loop: Header=BB108_3 Depth=1
	s_or_b64 exec, exec, s[22:23]
	s_waitcnt vmcnt(0)
	ds_write_b64 v78, v[0:1]
	v_mov_b32_e32 v1, s21
	v_add_co_u32_e32 v0, vcc, s20, v32
	v_addc_co_u32_e32 v1, vcc, 0, v1, vcc
	v_cmp_gt_i64_e32 vcc, s[16:17], v[0:1]
	s_and_b64 s[24:25], vcc, s[8:9]
	v_mov_b32_e32 v0, 0
	v_mov_b32_e32 v1, 0
	s_and_saveexec_b64 s[22:23], s[24:25]
	s_cbranch_execz .LBB108_2
; %bb.6:                                ;   in Loop: Header=BB108_3 Depth=1
	global_load_dwordx2 v[0:1], v[34:35], off
	s_branch .LBB108_2
.LBB108_7:
	s_load_dwordx4 s[28:31], s[4:5], 0x78
	s_load_dwordx8 s[20:27], s[4:5], 0x58
	v_mov_b32_e32 v1, s39
	v_add_co_u32_e32 v0, vcc, s38, v33
	s_waitcnt lgkmcnt(0)
	s_mul_i32 s5, s10, s31
	s_mul_hi_u32 s6, s10, s30
	s_mul_i32 s4, s10, s30
	s_add_i32 s5, s6, s5
	s_lshl_b64 s[4:5], s[4:5], 3
	s_add_u32 s11, s26, s4
	s_addc_u32 s30, s27, s5
	s_or_b32 s4, s34, s35
	v_addc_co_u32_e32 v1, vcc, 0, v1, vcc
	s_bitset0_b32 s4, 31
	s_cmp_lg_u32 s4, 0
	v_cmp_gt_i64_e64 s[4:5], s[14:15], v[0:1]
	s_mov_b64 s[6:7], -1
	s_cbranch_scc1 .LBB108_19
; %bb.8:
	s_and_saveexec_b64 s[16:17], s[4:5]
	s_cbranch_execz .LBB108_18
; %bb.9:
	v_mov_b32_e32 v2, s37
	v_add_co_u32_e32 v4, vcc, s36, v31
	v_addc_co_u32_e32 v5, vcc, 0, v2, vcc
	v_mul_lo_u32 v6, v1, s28
	v_mul_lo_u32 v7, v0, s29
	v_mad_u64_u32 v[2:3], s[6:7], v0, s28, 0
	v_add3_u32 v3, v3, v7, v6
	v_lshlrev_b64 v[2:3], 3, v[2:3]
	v_mov_b32_e32 v7, s30
	v_add_co_u32_e64 v6, s[6:7], s11, v2
	v_cmp_gt_i64_e32 vcc, s[12:13], v[4:5]
	v_addc_co_u32_e64 v7, s[6:7], v7, v3, s[6:7]
	v_lshlrev_b64 v[2:3], 3, v[4:5]
	s_and_saveexec_b64 s[8:9], vcc
	s_cbranch_execz .LBB108_11
; %bb.10:
	v_mul_f32_e32 v8, s19, v29
	v_mul_f32_e32 v9, s18, v29
	v_add_co_u32_e64 v10, s[6:7], v6, v2
	v_fma_f32 v8, v28, s18, -v8
	v_fmac_f32_e32 v9, s19, v28
	v_addc_co_u32_e64 v11, s[6:7], v7, v3, s[6:7]
	global_store_dwordx2 v[10:11], v[8:9], off
.LBB108_11:
	s_or_b64 exec, exec, s[8:9]
	v_add_co_u32_e64 v4, s[6:7], 16, v4
	v_addc_co_u32_e64 v5, s[6:7], 0, v5, s[6:7]
	v_cmp_gt_i64_e64 s[6:7], s[12:13], v[4:5]
	s_and_saveexec_b64 s[26:27], s[6:7]
	s_cbranch_execz .LBB108_13
; %bb.12:
	buffer_load_dword v4, off, s[0:3], 0 offset:4
	buffer_load_dword v8, off, s[0:3], 0
	s_waitcnt vmcnt(1)
	v_mul_f32_e32 v9, s19, v4
	v_mul_f32_e32 v5, s18, v4
	s_waitcnt vmcnt(0)
	v_fma_f32 v4, v8, s18, -v9
	v_fmac_f32_e32 v5, s19, v8
	v_add_co_u32_e64 v8, s[8:9], v6, v2
	v_addc_co_u32_e64 v9, s[8:9], v7, v3, s[8:9]
	global_store_dwordx2 v[8:9], v[4:5], off offset:128
.LBB108_13:
	s_or_b64 exec, exec, s[26:27]
	v_add_co_u32_e64 v4, s[8:9], 16, v0
	v_addc_co_u32_e64 v5, s[8:9], 0, v1, s[8:9]
	v_cmp_gt_i64_e64 s[8:9], s[14:15], v[4:5]
	s_and_b64 exec, exec, s[8:9]
	s_cbranch_execz .LBB108_18
; %bb.14:
	buffer_load_dword v4, off, s[0:3], 0 offset:16
	buffer_load_dword v5, off, s[0:3], 0 offset:20
	s_lshl_b64 s[8:9], s[28:29], 7
	v_mov_b32_e32 v8, s9
	v_add_co_u32_e64 v6, s[8:9], s8, v6
	v_addc_co_u32_e64 v7, s[8:9], v7, v8, s[8:9]
	v_add_co_u32_e64 v2, s[8:9], v6, v2
	v_addc_co_u32_e64 v3, s[8:9], v7, v3, s[8:9]
	s_and_saveexec_b64 s[8:9], vcc
	s_cbranch_execz .LBB108_16
; %bb.15:
	buffer_load_dword v6, off, s[0:3], 0 offset:12
	buffer_load_dword v8, off, s[0:3], 0 offset:8
	s_waitcnt vmcnt(1)
	v_mul_f32_e32 v9, s19, v6
	v_mul_f32_e32 v7, s18, v6
	s_waitcnt vmcnt(0)
	v_fma_f32 v6, v8, s18, -v9
	v_fmac_f32_e32 v7, s19, v8
	global_store_dwordx2 v[2:3], v[6:7], off
.LBB108_16:
	s_or_b64 exec, exec, s[8:9]
	s_and_b64 exec, exec, s[6:7]
	s_cbranch_execz .LBB108_18
; %bb.17:
	s_waitcnt vmcnt(0)
	v_mul_f32_e32 v6, s19, v5
	v_mul_f32_e32 v7, s18, v5
	v_fma_f32 v6, v4, s18, -v6
	v_fmac_f32_e32 v7, s19, v4
	global_store_dwordx2 v[2:3], v[6:7], off offset:128
.LBB108_18:
	s_or_b64 exec, exec, s[16:17]
	s_mov_b64 s[6:7], 0
.LBB108_19:
	s_andn2_b64 vcc, exec, s[6:7]
	s_cbranch_vccnz .LBB108_30
; %bb.20:
	s_and_saveexec_b64 s[6:7], s[4:5]
	s_cbranch_execz .LBB108_30
; %bb.21:
	s_mul_i32 s4, s10, s25
	s_mul_hi_u32 s5, s10, s24
	s_add_i32 s5, s5, s4
	s_mul_i32 s4, s10, s24
	s_lshl_b64 s[4:5], s[4:5], 3
	s_add_u32 s6, s20, s4
	v_mov_b32_e32 v2, s37
	s_waitcnt vmcnt(1)
	v_add_co_u32_e32 v4, vcc, s36, v31
	s_addc_u32 s7, s21, s5
	s_waitcnt vmcnt(0)
	v_addc_co_u32_e32 v5, vcc, 0, v2, vcc
	v_mul_lo_u32 v6, v1, s22
	v_mul_lo_u32 v7, v0, s23
	v_mad_u64_u32 v[2:3], s[4:5], v0, s22, 0
	v_add3_u32 v3, v3, v7, v6
	v_mul_lo_u32 v6, v1, s28
	v_mul_lo_u32 v7, v0, s29
	v_mad_u64_u32 v[8:9], s[4:5], v0, s28, 0
	v_lshlrev_b64 v[2:3], 3, v[2:3]
	v_add3_u32 v9, v9, v7, v6
	v_mov_b32_e32 v7, s7
	v_add_co_u32_e64 v6, s[4:5], s6, v2
	v_addc_co_u32_e64 v7, s[4:5], v7, v3, s[4:5]
	v_lshlrev_b64 v[2:3], 3, v[8:9]
	v_mov_b32_e32 v9, s30
	v_add_co_u32_e64 v8, s[4:5], s11, v2
	v_cmp_gt_i64_e32 vcc, s[12:13], v[4:5]
	v_addc_co_u32_e64 v9, s[4:5], v9, v3, s[4:5]
	v_lshlrev_b64 v[2:3], 3, v[4:5]
	s_and_saveexec_b64 s[6:7], vcc
	s_cbranch_execz .LBB108_23
; %bb.22:
	v_add_co_u32_e64 v10, s[4:5], v6, v2
	v_addc_co_u32_e64 v11, s[4:5], v7, v3, s[4:5]
	global_load_dwordx2 v[10:11], v[10:11], off
	v_mul_f32_e32 v12, s19, v29
	v_mul_f32_e32 v13, s18, v29
	v_fma_f32 v12, v28, s18, -v12
	v_fmac_f32_e32 v13, s19, v28
	s_waitcnt vmcnt(0)
	v_mul_f32_e32 v14, s35, v11
	v_mul_f32_e32 v11, s34, v11
	v_fma_f32 v14, v10, s34, -v14
	v_fmac_f32_e32 v11, s35, v10
	v_add_f32_e32 v10, v12, v14
	v_add_co_u32_e64 v12, s[4:5], v8, v2
	v_add_f32_e32 v11, v13, v11
	v_addc_co_u32_e64 v13, s[4:5], v9, v3, s[4:5]
	global_store_dwordx2 v[12:13], v[10:11], off
.LBB108_23:
	s_or_b64 exec, exec, s[6:7]
	v_add_co_u32_e64 v4, s[4:5], 16, v4
	v_addc_co_u32_e64 v5, s[4:5], 0, v5, s[4:5]
	v_cmp_gt_i64_e64 s[4:5], s[12:13], v[4:5]
	s_and_saveexec_b64 s[8:9], s[4:5]
	s_cbranch_execz .LBB108_25
; %bb.24:
	v_add_co_u32_e64 v4, s[6:7], v6, v2
	buffer_load_dword v10, off, s[0:3], 0
	buffer_load_dword v11, off, s[0:3], 0 offset:4
	v_addc_co_u32_e64 v5, s[6:7], v7, v3, s[6:7]
	global_load_dwordx2 v[4:5], v[4:5], off offset:128
	s_waitcnt vmcnt(1)
	v_mul_f32_e32 v12, s19, v11
	v_mul_f32_e32 v11, s18, v11
	v_fma_f32 v12, v10, s18, -v12
	v_fmac_f32_e32 v11, s19, v10
	s_waitcnt vmcnt(0)
	v_mul_f32_e32 v10, s35, v5
	v_mul_f32_e32 v5, s34, v5
	v_fma_f32 v10, v4, s34, -v10
	v_fmac_f32_e32 v5, s35, v4
	v_add_f32_e32 v4, v12, v10
	v_add_co_u32_e64 v10, s[6:7], v8, v2
	v_add_f32_e32 v5, v11, v5
	v_addc_co_u32_e64 v11, s[6:7], v9, v3, s[6:7]
	global_store_dwordx2 v[10:11], v[4:5], off offset:128
.LBB108_25:
	s_or_b64 exec, exec, s[8:9]
	v_add_co_u32_e64 v0, s[6:7], 16, v0
	v_addc_co_u32_e64 v1, s[6:7], 0, v1, s[6:7]
	v_cmp_gt_i64_e64 s[6:7], s[14:15], v[0:1]
	s_and_b64 exec, exec, s[6:7]
	s_cbranch_execz .LBB108_30
; %bb.26:
	buffer_load_dword v10, off, s[0:3], 0 offset:16
	buffer_load_dword v11, off, s[0:3], 0 offset:20
	s_lshl_b64 s[6:7], s[22:23], 7
	v_mov_b32_e32 v0, s7
	v_add_co_u32_e64 v1, s[6:7], s6, v6
	v_addc_co_u32_e64 v0, s[6:7], v7, v0, s[6:7]
	s_lshl_b64 s[6:7], s[28:29], 7
	v_mov_b32_e32 v4, s7
	v_add_co_u32_e64 v6, s[6:7], s6, v8
	v_addc_co_u32_e64 v7, s[6:7], v9, v4, s[6:7]
	v_add_co_u32_e64 v4, s[6:7], v1, v2
	v_addc_co_u32_e64 v5, s[6:7], v0, v3, s[6:7]
	;; [unrolled: 2-line block ×3, first 2 shown]
	s_and_saveexec_b64 s[6:7], vcc
	s_cbranch_execz .LBB108_28
; %bb.27:
	buffer_load_dword v6, off, s[0:3], 0 offset:12
	buffer_load_dword v7, off, s[0:3], 0 offset:8
	global_load_dwordx2 v[2:3], v[4:5], off
	s_waitcnt vmcnt(2)
	v_mul_f32_e32 v8, s19, v6
	v_mul_f32_e32 v6, s18, v6
	s_waitcnt vmcnt(0)
	v_mul_f32_e32 v9, s35, v3
	v_mul_f32_e32 v3, s34, v3
	v_fma_f32 v8, v7, s18, -v8
	v_fmac_f32_e32 v6, s19, v7
	v_fma_f32 v7, v2, s34, -v9
	v_fmac_f32_e32 v3, s35, v2
	v_add_f32_e32 v2, v8, v7
	v_add_f32_e32 v3, v6, v3
	global_store_dwordx2 v[0:1], v[2:3], off
.LBB108_28:
	s_or_b64 exec, exec, s[6:7]
	s_and_b64 exec, exec, s[4:5]
	s_cbranch_execz .LBB108_30
; %bb.29:
	global_load_dwordx2 v[2:3], v[4:5], off offset:128
	s_waitcnt vmcnt(1)
	v_mul_f32_e32 v4, s19, v11
	v_mul_f32_e32 v5, s18, v11
	v_fma_f32 v4, v10, s18, -v4
	v_fmac_f32_e32 v5, s19, v10
	s_waitcnt vmcnt(0)
	v_mul_f32_e32 v6, s35, v3
	v_mul_f32_e32 v3, s34, v3
	v_fma_f32 v6, v2, s34, -v6
	v_fmac_f32_e32 v3, s35, v2
	v_add_f32_e32 v2, v4, v6
	v_add_f32_e32 v3, v5, v3
	global_store_dwordx2 v[0:1], v[2:3], off offset:128
.LBB108_30:
	s_endpgm
	.section	.rodata,"a",@progbits
	.p2align	6, 0x0
	.amdhsa_kernel _ZN12_GLOBAL__N_135rocblas_gemm_batched_general_kernelI19rocblas_complex_numIfELi16ELi16ELi32ELi32ELi8ELi32ELi8ELi8ELi32ELc84ELc78EKS2_S3_S2_EEvlllT_PT11_llS6_llS4_PT12_llPT13_lli
		.amdhsa_group_segment_fixed_size 4096
		.amdhsa_private_segment_fixed_size 32
		.amdhsa_kernarg_size 140
		.amdhsa_user_sgpr_count 8
		.amdhsa_user_sgpr_private_segment_buffer 1
		.amdhsa_user_sgpr_dispatch_ptr 0
		.amdhsa_user_sgpr_queue_ptr 0
		.amdhsa_user_sgpr_kernarg_segment_ptr 1
		.amdhsa_user_sgpr_dispatch_id 0
		.amdhsa_user_sgpr_flat_scratch_init 1
		.amdhsa_user_sgpr_kernarg_preload_length 0
		.amdhsa_user_sgpr_kernarg_preload_offset 0
		.amdhsa_user_sgpr_private_segment_size 0
		.amdhsa_uses_dynamic_stack 0
		.amdhsa_system_sgpr_private_segment_wavefront_offset 1
		.amdhsa_system_sgpr_workgroup_id_x 1
		.amdhsa_system_sgpr_workgroup_id_y 1
		.amdhsa_system_sgpr_workgroup_id_z 1
		.amdhsa_system_sgpr_workgroup_info 0
		.amdhsa_system_vgpr_workitem_id 1
		.amdhsa_next_free_vgpr 127
		.amdhsa_next_free_sgpr 40
		.amdhsa_accum_offset 128
		.amdhsa_reserve_vcc 1
		.amdhsa_reserve_flat_scratch 0
		.amdhsa_float_round_mode_32 0
		.amdhsa_float_round_mode_16_64 0
		.amdhsa_float_denorm_mode_32 3
		.amdhsa_float_denorm_mode_16_64 3
		.amdhsa_dx10_clamp 1
		.amdhsa_ieee_mode 1
		.amdhsa_fp16_overflow 0
		.amdhsa_tg_split 0
		.amdhsa_exception_fp_ieee_invalid_op 0
		.amdhsa_exception_fp_denorm_src 0
		.amdhsa_exception_fp_ieee_div_zero 0
		.amdhsa_exception_fp_ieee_overflow 0
		.amdhsa_exception_fp_ieee_underflow 0
		.amdhsa_exception_fp_ieee_inexact 0
		.amdhsa_exception_int_div_zero 0
	.end_amdhsa_kernel
	.section	.text._ZN12_GLOBAL__N_135rocblas_gemm_batched_general_kernelI19rocblas_complex_numIfELi16ELi16ELi32ELi32ELi8ELi32ELi8ELi8ELi32ELc84ELc78EKS2_S3_S2_EEvlllT_PT11_llS6_llS4_PT12_llPT13_lli,"axG",@progbits,_ZN12_GLOBAL__N_135rocblas_gemm_batched_general_kernelI19rocblas_complex_numIfELi16ELi16ELi32ELi32ELi8ELi32ELi8ELi8ELi32ELc84ELc78EKS2_S3_S2_EEvlllT_PT11_llS6_llS4_PT12_llPT13_lli,comdat
.Lfunc_end108:
	.size	_ZN12_GLOBAL__N_135rocblas_gemm_batched_general_kernelI19rocblas_complex_numIfELi16ELi16ELi32ELi32ELi8ELi32ELi8ELi8ELi32ELc84ELc78EKS2_S3_S2_EEvlllT_PT11_llS6_llS4_PT12_llPT13_lli, .Lfunc_end108-_ZN12_GLOBAL__N_135rocblas_gemm_batched_general_kernelI19rocblas_complex_numIfELi16ELi16ELi32ELi32ELi8ELi32ELi8ELi8ELi32ELc84ELc78EKS2_S3_S2_EEvlllT_PT11_llS6_llS4_PT12_llPT13_lli
                                        ; -- End function
	.section	.AMDGPU.csdata,"",@progbits
; Kernel info:
; codeLenInByte = 3680
; NumSgprs: 44
; NumVgprs: 127
; NumAgprs: 0
; TotalNumVgprs: 127
; ScratchSize: 32
; MemoryBound: 0
; FloatMode: 240
; IeeeMode: 1
; LDSByteSize: 4096 bytes/workgroup (compile time only)
; SGPRBlocks: 5
; VGPRBlocks: 15
; NumSGPRsForWavesPerEU: 44
; NumVGPRsForWavesPerEU: 127
; AccumOffset: 128
; Occupancy: 4
; WaveLimiterHint : 1
; COMPUTE_PGM_RSRC2:SCRATCH_EN: 1
; COMPUTE_PGM_RSRC2:USER_SGPR: 8
; COMPUTE_PGM_RSRC2:TRAP_HANDLER: 0
; COMPUTE_PGM_RSRC2:TGID_X_EN: 1
; COMPUTE_PGM_RSRC2:TGID_Y_EN: 1
; COMPUTE_PGM_RSRC2:TGID_Z_EN: 1
; COMPUTE_PGM_RSRC2:TIDIG_COMP_CNT: 1
; COMPUTE_PGM_RSRC3_GFX90A:ACCUM_OFFSET: 31
; COMPUTE_PGM_RSRC3_GFX90A:TG_SPLIT: 0
	.section	.text._ZN12_GLOBAL__N_135rocblas_gemm_batched_general_kernelI19rocblas_complex_numIfELi16ELi16ELi32ELi32ELi8ELi32ELi8ELi8ELi32ELc78ELc84EKS2_S3_S2_EEvlllT_PT11_llS6_llS4_PT12_llPT13_lli,"axG",@progbits,_ZN12_GLOBAL__N_135rocblas_gemm_batched_general_kernelI19rocblas_complex_numIfELi16ELi16ELi32ELi32ELi8ELi32ELi8ELi8ELi32ELc78ELc84EKS2_S3_S2_EEvlllT_PT11_llS6_llS4_PT12_llPT13_lli,comdat
	.globl	_ZN12_GLOBAL__N_135rocblas_gemm_batched_general_kernelI19rocblas_complex_numIfELi16ELi16ELi32ELi32ELi8ELi32ELi8ELi8ELi32ELc78ELc84EKS2_S3_S2_EEvlllT_PT11_llS6_llS4_PT12_llPT13_lli ; -- Begin function _ZN12_GLOBAL__N_135rocblas_gemm_batched_general_kernelI19rocblas_complex_numIfELi16ELi16ELi32ELi32ELi8ELi32ELi8ELi8ELi32ELc78ELc84EKS2_S3_S2_EEvlllT_PT11_llS6_llS4_PT12_llPT13_lli
	.p2align	8
	.type	_ZN12_GLOBAL__N_135rocblas_gemm_batched_general_kernelI19rocblas_complex_numIfELi16ELi16ELi32ELi32ELi8ELi32ELi8ELi8ELi32ELc78ELc84EKS2_S3_S2_EEvlllT_PT11_llS6_llS4_PT12_llPT13_lli,@function
_ZN12_GLOBAL__N_135rocblas_gemm_batched_general_kernelI19rocblas_complex_numIfELi16ELi16ELi32ELi32ELi8ELi32ELi8ELi8ELi32ELc78ELc84EKS2_S3_S2_EEvlllT_PT11_llS6_llS4_PT12_llPT13_lli: ; @_ZN12_GLOBAL__N_135rocblas_gemm_batched_general_kernelI19rocblas_complex_numIfELi16ELi16ELi32ELi32ELi8ELi32ELi8ELi8ELi32ELc78ELc84EKS2_S3_S2_EEvlllT_PT11_llS6_llS4_PT12_llPT13_lli
; %bb.0:
	s_load_dwordx16 s[16:31], s[4:5], 0x0
	s_load_dwordx2 s[34:35], s[4:5], 0x50
	s_add_u32 s0, s0, s11
	s_mov_b32 s14, s9
	s_addc_u32 s1, s1, 0
	v_mov_b32_e32 v29, 0
	s_ashr_i32 s9, s8, 31
	s_ashr_i32 s15, s14, 31
	s_waitcnt lgkmcnt(0)
	v_cmp_lt_i64_e64 s[6:7], s[20:21], 1
	v_and_b32_e32 v31, 0x3ff, v0
	v_bfe_u32 v33, v0, 10, 10
	s_lshl_b64 s[40:41], s[8:9], 5
	s_lshl_b64 s[42:43], s[14:15], 5
	s_and_b64 vcc, exec, s[6:7]
	v_mov_b32_e32 v28, v29
	buffer_store_dword v29, off, s[0:3], 0 offset:4
	buffer_store_dword v29, off, s[0:3], 0
	buffer_store_dword v29, off, s[0:3], 0 offset:12
	buffer_store_dword v29, off, s[0:3], 0 offset:8
	;; [unrolled: 1-line block ×4, first 2 shown]
	s_cbranch_vccnz .LBB109_7
; %bb.1:
	v_lshl_add_u32 v4, v33, 4, v31
	v_lshrrev_b32_e32 v5, 3, v4
	s_load_dwordx4 s[36:39], s[4:5], 0x40
	v_mov_b32_e32 v1, s43
	v_add_co_u32_e32 v0, vcc, s42, v5
	v_and_b32_e32 v32, 7, v31
	v_addc_co_u32_e32 v1, vcc, 0, v1, vcc
	v_cmp_gt_i64_e64 s[12:13], s[18:19], v[0:1]
	v_lshlrev_b32_e32 v0, 3, v32
	v_lshl_or_b32 v0, v5, 6, v0
	v_and_b32_e32 v6, 31, v4
	v_add_u32_e32 v79, 0x800, v0
	v_mov_b32_e32 v0, 0x800
	v_mov_b32_e32 v3, s41
	v_or_b32_e32 v2, s40, v6
	v_lshl_add_u32 v81, v33, 6, v0
	s_waitcnt lgkmcnt(0)
	s_mul_i32 s11, s39, s10
	s_mul_hi_u32 s33, s38, s10
	v_mad_u64_u32 v[0:1], s[44:45], s36, v32, 0
	v_cmp_gt_i64_e64 s[6:7], s[16:17], v[2:3]
	s_add_i32 s39, s33, s11
	s_mul_i32 s38, s38, s10
	v_mov_b32_e32 v2, v1
	s_lshl_b64 s[38:39], s[38:39], 3
	v_mad_u64_u32 v[2:3], s[44:45], s37, v32, v[2:3]
	s_lshl_b64 s[14:15], s[14:15], 8
	v_mov_b32_e32 v1, v2
	s_add_u32 s11, s14, s38
	v_lshlrev_b64 v[0:1], 3, v[0:1]
	s_addc_u32 s14, s15, s39
	v_mov_b32_e32 v2, s14
	v_add_co_u32_e32 v0, vcc, s11, v0
	v_addc_co_u32_e32 v1, vcc, v2, v1, vcc
	v_and_b32_e32 v2, 0x7ff8, v4
	v_add_co_u32_e32 v0, vcc, v0, v2
	v_addc_co_u32_e32 v1, vcc, 0, v1, vcc
	v_lshrrev_b32_e32 v30, 5, v4
	v_mov_b32_e32 v2, s31
	v_add_co_u32_e32 v34, vcc, s30, v0
	v_addc_co_u32_e32 v35, vcc, v2, v1, vcc
	v_mad_u64_u32 v[0:1], s[30:31], s26, v30, 0
	s_mul_i32 s11, s29, s10
	s_mul_hi_u32 s29, s28, s10
	v_mov_b32_e32 v2, v1
	s_add_i32 s29, s29, s11
	s_mul_i32 s28, s28, s10
	s_lshl_b64 s[14:15], s[36:37], 6
	v_mad_u64_u32 v[2:3], s[30:31], s27, v30, v[2:3]
	s_lshl_b64 s[28:29], s[28:29], 3
	s_lshl_b64 s[8:9], s[8:9], 8
	v_mov_b32_e32 v1, v2
	s_add_u32 s8, s8, s28
	v_lshlrev_b64 v[0:1], 3, v[0:1]
	s_addc_u32 s9, s9, s29
	v_mov_b32_e32 v2, s9
	v_add_co_u32_e32 v0, vcc, s8, v0
	v_lshlrev_b32_e32 v6, 3, v6
	v_addc_co_u32_e32 v1, vcc, v2, v1, vcc
	v_add_co_u32_e32 v0, vcc, v0, v6
	v_addc_co_u32_e32 v1, vcc, 0, v1, vcc
	v_mov_b32_e32 v28, 0
	v_mov_b32_e32 v2, s25
	v_add_co_u32_e32 v36, vcc, s24, v0
	v_lshl_or_b32 v78, v30, 8, v6
	v_lshlrev_b32_e32 v80, 3, v31
	v_addc_co_u32_e32 v37, vcc, v2, v1, vcc
	s_lshl_b64 s[8:9], s[26:27], 6
	s_mov_b64 s[24:25], 0
	v_mov_b32_e32 v29, v28
	s_branch .LBB109_3
.LBB109_2:                              ;   in Loop: Header=BB109_3 Depth=1
	s_or_b64 exec, exec, s[26:27]
	s_waitcnt vmcnt(0)
	ds_write_b64 v79, v[0:1]
	s_waitcnt lgkmcnt(0)
	s_barrier
	ds_read2_b64 v[12:15], v80 offset0:32 offset1:48
	ds_read2_b64 v[16:19], v80 offset0:64 offset1:80
	;; [unrolled: 1-line block ×3, first 2 shown]
	ds_read_b128 v[4:7], v81
	ds_read_b128 v[0:3], v81 offset:16
	ds_read_b128 v[82:85], v81 offset:1024
	;; [unrolled: 1-line block ×3, first 2 shown]
	s_waitcnt lgkmcnt(6)
	v_mov_b32_e32 v49, v12
	s_waitcnt lgkmcnt(3)
	v_pk_mul_f32 v[20:21], v[6:7], v[12:13] op_sel:[0,1]
	v_pk_fma_f32 v[40:41], v[6:7], v[12:13], v[20:21] op_sel:[0,0,1] op_sel_hi:[1,0,0] neg_lo:[0,0,1] neg_hi:[0,0,1]
	v_pk_fma_f32 v[42:43], v[6:7], v[12:13], v[20:21] op_sel:[0,0,1] op_sel_hi:[1,0,0]
	v_mul_f32_e32 v12, v6, v14
	v_mov_b32_e32 v53, v13
	v_mov_b32_e32 v54, v13
	v_fma_f32 v120, -v7, v15, v12
	s_waitcnt lgkmcnt(2)
	v_pk_mul_f32 v[12:13], v[0:1], v[16:17] op_sel:[0,1]
	v_pk_fma_f32 v[56:57], v[0:1], v[16:17], v[12:13] op_sel:[0,0,1] op_sel_hi:[1,0,0] neg_lo:[0,0,1] neg_hi:[0,0,1]
	v_pk_fma_f32 v[58:59], v[0:1], v[16:17], v[12:13] op_sel:[0,0,1] op_sel_hi:[1,0,0]
	v_mul_f32_e32 v12, v0, v18
	v_fma_f32 v58, -v1, v19, v12
	v_pk_mul_f32 v[12:13], v[2:3], v[8:9] op_sel:[0,1]
	v_mov_b32_e32 v39, v8
	v_pk_fma_f32 v[64:65], v[2:3], v[8:9], v[12:13] op_sel:[0,0,1] op_sel_hi:[1,0,0] neg_lo:[0,0,1] neg_hi:[0,0,1]
	v_pk_fma_f32 v[66:67], v[2:3], v[8:9], v[12:13] op_sel:[0,0,1] op_sel_hi:[1,0,0]
	v_mul_f32_e32 v8, v2, v10
	s_waitcnt lgkmcnt(0)
	v_mul_f32_e32 v123, v27, v10
	v_mov_b32_e32 v38, v10
	v_mov_b32_e32 v94, v11
	;; [unrolled: 1-line block ×5, first 2 shown]
	ds_read2_b64 v[70:73], v80 offset0:128 offset1:144
	v_fma_f32 v66, -v3, v11, v8
	v_fmac_f32_e32 v123, v26, v11
	ds_read_b128 v[8:11], v81 offset:32
	ds_read_b128 v[20:23], v81 offset:1056
	v_mul_f32_e32 v122, v25, v18
	ds_read2_b64 v[86:89], v80 offset0:160 offset1:176
	v_mov_b32_e32 v44, v18
	v_mov_b32_e32 v45, v16
	;; [unrolled: 1-line block ×6, first 2 shown]
	v_fmac_f32_e32 v122, v24, v19
	ds_read_b128 v[16:19], v81 offset:48
	ds_read2_b64 v[90:93], v80 offset0:192 offset1:208
	s_waitcnt lgkmcnt(4)
	v_pk_mul_f32 v[12:13], v[8:9], v[70:71] op_sel:[0,1]
	v_mul_f32_e32 v121, v85, v14
	v_pk_fma_f32 v[98:99], v[8:9], v[70:71], v[12:13] op_sel:[0,0,1] op_sel_hi:[1,0,0] neg_lo:[0,0,1] neg_hi:[0,0,1]
	v_pk_fma_f32 v[100:101], v[8:9], v[70:71], v[12:13] op_sel:[0,0,1] op_sel_hi:[1,0,0]
	v_mul_f32_e32 v12, v8, v72
	v_mov_b32_e32 v48, v14
	v_mov_b32_e32 v52, v15
	;; [unrolled: 1-line block ×3, first 2 shown]
	v_fmac_f32_e32 v121, v84, v15
	v_fma_f32 v100, -v9, v73, v12
	ds_read_b128 v[12:15], v81 offset:1072
	s_waitcnt lgkmcnt(4)
	v_mul_f32_e32 v124, v21, v72
	v_mov_b32_e32 v60, v72
	v_mov_b32_e32 v68, v73
	;; [unrolled: 1-line block ×3, first 2 shown]
	v_fmac_f32_e32 v124, v20, v73
	s_waitcnt lgkmcnt(3)
	v_pk_mul_f32 v[72:73], v[10:11], v[86:87] op_sel:[0,1]
	v_mov_b32_e32 v69, v71
	v_mov_b32_e32 v62, v71
	;; [unrolled: 1-line block ×5, first 2 shown]
	v_pk_fma_f32 v[104:105], v[10:11], v[86:87], v[72:73] op_sel:[0,0,1] op_sel_hi:[1,0,0] neg_lo:[0,0,1] neg_hi:[0,0,1]
	v_pk_fma_f32 v[106:107], v[10:11], v[86:87], v[72:73] op_sel:[0,0,1] op_sel_hi:[1,0,0]
	v_mul_f32_e32 v41, v10, v88
	v_mul_f32_e32 v125, v23, v88
	s_waitcnt lgkmcnt(1)
	v_pk_mul_f32 v[86:87], v[16:17], v[90:91] op_sel:[0,1]
	v_mov_b32_e32 v61, v70
	v_mov_b32_e32 v70, v88
	;; [unrolled: 1-line block ×4, first 2 shown]
	v_fma_f32 v106, -v11, v89, v41
	v_fmac_f32_e32 v125, v22, v89
	v_mov_b32_e32 v73, v90
	v_mov_b32_e32 v77, v91
	;; [unrolled: 1-line block ×3, first 2 shown]
	v_pk_fma_f32 v[110:111], v[16:17], v[90:91], v[86:87] op_sel:[0,0,1] op_sel_hi:[1,0,0] neg_lo:[0,0,1] neg_hi:[0,0,1]
	v_pk_fma_f32 v[90:91], v[16:17], v[90:91], v[86:87] op_sel:[0,0,1] op_sel_hi:[1,0,0]
	ds_read2_b64 v[86:89], v80 offset1:16
	v_mul_f32_e32 v41, v16, v92
	s_waitcnt lgkmcnt(1)
	v_mul_f32_e32 v126, v13, v92
	v_mov_b32_e32 v72, v92
	v_mov_b32_e32 v76, v93
	;; [unrolled: 1-line block ×3, first 2 shown]
	v_fma_f32 v90, -v17, v93, v41
	v_fmac_f32_e32 v126, v12, v93
	s_waitcnt lgkmcnt(0)
	v_mov_b32_e32 v92, v89
	v_mov_b32_e32 v93, v87
	;; [unrolled: 1-line block ×4, first 2 shown]
	v_pk_mul_f32 v[116:117], v[4:5], v[86:87] op_sel:[0,1]
	v_pk_mul_f32 v[92:93], v[112:113], v[92:93]
	v_mov_b32_e32 v113, v86
	v_mov_b32_e32 v114, v87
	v_pk_fma_f32 v[118:119], v[4:5], v[86:87], v[116:117] op_sel:[0,0,1] op_sel_hi:[1,0,0] neg_lo:[0,0,1] neg_hi:[0,0,1]
	v_pk_fma_f32 v[86:87], v[4:5], v[86:87], v[116:117] op_sel:[0,0,1] op_sel_hi:[1,0,0]
	v_mul_f32_e32 v4, v4, v88
	v_fma_f32 v86, -v5, v89, v4
	v_mul_f32_e32 v116, v83, v88
	v_mov_b32_e32 v4, v5
	v_mov_b32_e32 v112, v88
	;; [unrolled: 1-line block ×3, first 2 shown]
	v_fmac_f32_e32 v116, v82, v89
	v_pk_fma_f32 v[88:89], v[4:5], v[88:89], v[92:93]
	v_mov_b32_e32 v5, v82
	v_pk_fma_f32 v[4:5], v[4:5], v[112:113], v[92:93] neg_lo:[0,0,1] neg_hi:[0,0,1]
	v_pk_mul_f32 v[92:93], v[82:83], v[112:113]
	v_pk_fma_f32 v[112:113], v[82:83], v[114:115], v[92:93] op_sel:[0,0,1] op_sel_hi:[1,1,0]
	v_pk_fma_f32 v[82:83], v[82:83], v[114:115], v[92:93] op_sel:[0,0,1] op_sel_hi:[1,1,0] neg_lo:[1,0,0] neg_hi:[1,0,0]
	v_pk_mul_f32 v[92:93], v[84:85], v[48:49]
	v_pk_fma_f32 v[114:115], v[84:85], v[54:55], v[92:93] op_sel:[0,0,1] op_sel_hi:[1,1,0]
	v_pk_fma_f32 v[54:55], v[84:85], v[54:55], v[92:93] op_sel:[0,0,1] op_sel_hi:[1,1,0] neg_lo:[1,0,0] neg_hi:[1,0,0]
	v_mov_b32_e32 v93, v84
	v_mov_b32_e32 v84, v6
	v_mov_b32_e32 v92, v7
	v_mov_b32_e32 v4, v7
	v_pk_mul_f32 v[6:7], v[84:85], v[52:53]
	v_pk_fma_f32 v[52:53], v[4:5], v[48:49], v[6:7]
	v_pk_fma_f32 v[6:7], v[92:93], v[48:49], v[6:7] neg_lo:[0,0,1] neg_hi:[0,0,1]
	buffer_load_dword v92, off, s[0:3], 0 offset:12
	buffer_load_dword v93, off, s[0:3], 0 offset:16
	buffer_load_dword v6, off, s[0:3], 0
	v_mov_b32_e32 v48, v0
	v_mov_b32_e32 v49, v25
	v_pk_mul_f32 v[48:49], v[48:49], v[50:51]
	v_mov_b32_e32 v0, v1
	v_mov_b32_e32 v50, v1
	;; [unrolled: 1-line block ×3, first 2 shown]
	v_pk_fma_f32 v[84:85], v[0:1], v[44:45], v[48:49]
	v_pk_mul_f32 v[0:1], v[24:25], v[44:45]
	v_pk_fma_f32 v[48:49], v[50:51], v[44:45], v[48:49] neg_lo:[0,0,1] neg_hi:[0,0,1]
	v_pk_fma_f32 v[44:45], v[24:25], v[46:47], v[0:1] op_sel:[0,0,1] op_sel_hi:[1,1,0]
	v_pk_fma_f32 v[24:25], v[24:25], v[46:47], v[0:1] op_sel:[0,0,1] op_sel_hi:[1,1,0] neg_lo:[1,0,0] neg_hi:[1,0,0]
	v_pk_mul_f32 v[0:1], v[26:27], v[38:39]
	v_pk_fma_f32 v[46:47], v[26:27], v[96:97], v[0:1] op_sel:[0,0,1] op_sel_hi:[1,1,0]
	v_pk_fma_f32 v[50:51], v[26:27], v[96:97], v[0:1] op_sel:[0,0,1] op_sel_hi:[1,1,0] neg_lo:[1,0,0] neg_hi:[1,0,0]
	v_mov_b32_e32 v1, v27
	v_mov_b32_e32 v0, v2
	;; [unrolled: 1-line block ×4, first 2 shown]
	v_pk_mul_f32 v[0:1], v[0:1], v[94:95]
	v_mov_b32_e32 v2, v3
	v_pk_fma_f32 v[26:27], v[26:27], v[38:39], v[0:1] neg_lo:[0,0,1] neg_hi:[0,0,1]
	v_pk_fma_f32 v[94:95], v[2:3], v[38:39], v[0:1]
	buffer_load_dword v26, off, s[0:3], 0 offset:20
	buffer_load_dword v38, off, s[0:3], 0 offset:4
	;; [unrolled: 1-line block ×3, first 2 shown]
	v_mov_b32_e32 v119, v87
	v_pk_add_f32 v[0:1], v[28:29], v[118:119]
	v_mov_b32_e32 v41, v43
	v_pk_add_f32 v[0:1], v[0:1], v[40:41]
	;; [unrolled: 2-line block ×5, first 2 shown]
	ds_read2_b64 v[0:3], v80 offset0:224 offset1:240
	v_mov_b32_e32 v113, v83
	v_mov_b32_e32 v115, v55
	v_mov_b32_e32 v105, v107
	v_mov_b32_e32 v45, v25
	s_waitcnt lgkmcnt(0)
	v_pk_mul_f32 v[40:41], v[18:19], v[0:1] op_sel:[0,1]
	v_pk_fma_f32 v[42:43], v[18:19], v[0:1], v[40:41] op_sel:[0,0,1] op_sel_hi:[1,0,0] neg_lo:[0,0,1] neg_hi:[0,0,1]
	v_pk_fma_f32 v[40:41], v[18:19], v[0:1], v[40:41] op_sel:[0,0,1] op_sel_hi:[1,0,0]
	v_mov_b32_e32 v43, v41
	v_pk_add_f32 v[28:29], v[28:29], v[104:105]
	v_mov_b32_e32 v111, v91
	v_pk_add_f32 v[28:29], v[28:29], v[110:111]
	v_mov_b32_e32 v4, v9
	v_pk_add_f32 v[28:29], v[28:29], v[42:43]
	v_mov_b32_e32 v42, v9
	v_mov_b32_e32 v89, v5
	;; [unrolled: 1-line block ×7, first 2 shown]
	v_add_co_u32_e32 v34, vcc, s14, v34
	s_add_u32 s24, s24, 8
	s_addc_u32 s25, s25, 0
	s_waitcnt vmcnt(4)
	v_pk_add_f32 v[40:41], v[92:93], v[112:113]
	v_pk_add_f32 v[40:41], v[40:41], v[114:115]
	;; [unrolled: 1-line block ×3, first 2 shown]
	v_mov_b32_e32 v40, v8
	v_mov_b32_e32 v41, v21
	v_pk_mul_f32 v[40:41], v[40:41], v[68:69]
	v_pk_fma_f32 v[8:9], v[4:5], v[60:61], v[40:41]
	s_waitcnt vmcnt(3)
	v_add_f32_e32 v4, v6, v86
	v_add_f32_e32 v4, v4, v120
	;; [unrolled: 1-line block ×6, first 2 shown]
	v_mul_f32_e32 v5, v18, v2
	v_add_f32_e32 v4, v4, v90
	v_fma_f32 v5, -v19, v3, v5
	v_pk_fma_f32 v[40:41], v[42:43], v[60:61], v[40:41] neg_lo:[0,0,1] neg_hi:[0,0,1]
	v_pk_mul_f32 v[42:43], v[20:21], v[60:61]
	v_add_f32_e32 v4, v4, v5
	v_pk_fma_f32 v[44:45], v[20:21], v[62:63], v[42:43] op_sel:[0,0,1] op_sel_hi:[1,1,0]
	v_pk_fma_f32 v[20:21], v[20:21], v[62:63], v[42:43] op_sel:[0,0,1] op_sel_hi:[1,1,0] neg_lo:[1,0,0] neg_hi:[1,0,0]
	buffer_store_dword v4, off, s[0:3], 0
	s_waitcnt vmcnt(3)
	v_add_f32_e32 v4, v26, v116
	v_pk_add_f32 v[24:25], v[24:25], v[46:47]
	v_mov_b32_e32 v45, v21
	v_add_f32_e32 v4, v4, v121
	v_pk_add_f32 v[20:21], v[24:25], v[44:45]
	v_pk_mul_f32 v[24:25], v[22:23], v[70:71]
	v_add_f32_e32 v4, v4, v122
	v_pk_fma_f32 v[42:43], v[22:23], v[102:103], v[24:25] op_sel:[0,0,1] op_sel_hi:[1,1,0]
	v_pk_fma_f32 v[24:25], v[22:23], v[102:103], v[24:25] op_sel:[0,0,1] op_sel_hi:[1,1,0] neg_lo:[1,0,0] neg_hi:[1,0,0]
	v_add_f32_e32 v4, v4, v123
	v_mov_b32_e32 v43, v25
	v_pk_mul_f32 v[24:25], v[12:13], v[72:73]
	v_add_f32_e32 v4, v4, v124
	v_pk_add_f32 v[20:21], v[20:21], v[42:43]
	v_pk_fma_f32 v[42:43], v[12:13], v[108:109], v[24:25] op_sel:[0,0,1] op_sel_hi:[1,1,0]
	v_pk_fma_f32 v[24:25], v[12:13], v[108:109], v[24:25] op_sel:[0,0,1] op_sel_hi:[1,1,0] neg_lo:[1,0,0] neg_hi:[1,0,0]
	v_add_f32_e32 v4, v4, v125
	v_mov_b32_e32 v43, v25
	v_add_f32_e32 v25, v4, v126
	s_waitcnt vmcnt(1)
	v_pk_add_f32 v[4:5], v[38:39], v[88:89]
	v_pk_add_f32 v[4:5], v[4:5], v[52:53]
	;; [unrolled: 1-line block ×4, first 2 shown]
	v_mov_b32_e32 v9, v41
	v_pk_add_f32 v[4:5], v[4:5], v[8:9]
	v_mov_b32_e32 v8, v10
	v_mov_b32_e32 v9, v23
	;; [unrolled: 1-line block ×3, first 2 shown]
	v_pk_mul_f32 v[8:9], v[8:9], v[74:75]
	v_mov_b32_e32 v10, v11
	v_mov_b32_e32 v11, v22
	v_pk_fma_f32 v[6:7], v[6:7], v[70:71], v[8:9]
	v_pk_fma_f32 v[8:9], v[10:11], v[70:71], v[8:9] neg_lo:[0,0,1] neg_hi:[0,0,1]
	v_mov_b32_e32 v7, v9
	v_pk_add_f32 v[4:5], v[4:5], v[6:7]
	v_mov_b32_e32 v6, v16
	v_mov_b32_e32 v7, v13
	;; [unrolled: 1-line block ×3, first 2 shown]
	v_pk_mul_f32 v[6:7], v[6:7], v[76:77]
	v_mov_b32_e32 v8, v17
	v_mov_b32_e32 v9, v12
	v_pk_fma_f32 v[10:11], v[24:25], v[72:73], v[6:7]
	v_pk_fma_f32 v[6:7], v[8:9], v[72:73], v[6:7] neg_lo:[0,0,1] neg_hi:[0,0,1]
	v_mov_b32_e32 v38, v3
	v_mov_b32_e32 v39, v1
	;; [unrolled: 1-line block ×9, first 2 shown]
	v_pk_mul_f32 v[8:9], v[18:19], v[38:39]
	v_pk_add_f32 v[20:21], v[20:21], v[42:43]
	v_mov_b32_e32 v42, v1
	v_pk_fma_f32 v[0:1], v[0:1], v[44:45], v[8:9]
	v_pk_fma_f32 v[6:7], v[6:7], v[44:45], v[8:9] neg_lo:[0,0,1] neg_hi:[0,0,1]
	v_pk_add_f32 v[4:5], v[4:5], v[10:11]
	v_mov_b32_e32 v1, v7
	v_pk_add_f32 v[0:1], v[4:5], v[0:1]
	v_mov_b32_e32 v43, v3
	buffer_store_dword v1, off, s[0:3], 0 offset:8
	buffer_store_dword v0, off, s[0:3], 0 offset:4
	v_pk_mul_f32 v[0:1], v[14:15], v[44:45]
	v_pk_fma_f32 v[4:5], v[14:15], v[42:43], v[0:1] op_sel:[0,0,1] op_sel_hi:[1,1,0]
	v_pk_fma_f32 v[0:1], v[14:15], v[42:43], v[0:1] op_sel:[0,0,1] op_sel_hi:[1,1,0] neg_lo:[1,0,0] neg_hi:[1,0,0]
	v_mov_b32_e32 v5, v1
	v_mul_f32_e32 v2, v15, v2
	v_fmac_f32_e32 v2, v14, v3
	v_pk_add_f32 v[0:1], v[20:21], v[4:5]
	v_add_f32_e32 v2, v25, v2
	buffer_store_dword v0, off, s[0:3], 0 offset:12
	buffer_store_dword v1, off, s[0:3], 0 offset:16
	;; [unrolled: 1-line block ×3, first 2 shown]
	v_mov_b32_e32 v0, s15
	v_addc_co_u32_e32 v35, vcc, v35, v0, vcc
	v_mov_b32_e32 v0, s9
	v_add_co_u32_e32 v36, vcc, s8, v36
	v_addc_co_u32_e32 v37, vcc, v37, v0, vcc
	v_pk_mov_b32 v[0:1], s[20:21], s[20:21] op_sel:[0,1]
	v_cmp_lt_i64_e32 vcc, s[24:25], v[0:1]
	s_barrier
	s_cbranch_vccz .LBB109_7
.LBB109_3:                              ; =>This Inner Loop Header: Depth=1
	v_mov_b32_e32 v1, s25
	v_add_co_u32_e32 v0, vcc, s24, v30
	v_addc_co_u32_e32 v1, vcc, 0, v1, vcc
	v_cmp_gt_i64_e32 vcc, s[20:21], v[0:1]
	s_and_b64 s[28:29], s[6:7], vcc
	v_mov_b32_e32 v0, 0
	v_mov_b32_e32 v1, 0
	s_and_saveexec_b64 s[26:27], s[28:29]
	s_cbranch_execz .LBB109_5
; %bb.4:                                ;   in Loop: Header=BB109_3 Depth=1
	global_load_dwordx2 v[0:1], v[36:37], off
.LBB109_5:                              ;   in Loop: Header=BB109_3 Depth=1
	s_or_b64 exec, exec, s[26:27]
	s_waitcnt vmcnt(0)
	ds_write_b64 v78, v[0:1]
	v_mov_b32_e32 v1, s25
	v_add_co_u32_e32 v0, vcc, s24, v32
	v_addc_co_u32_e32 v1, vcc, 0, v1, vcc
	v_cmp_gt_i64_e32 vcc, s[20:21], v[0:1]
	s_and_b64 s[28:29], vcc, s[12:13]
	v_mov_b32_e32 v0, 0
	v_mov_b32_e32 v1, 0
	s_and_saveexec_b64 s[26:27], s[28:29]
	s_cbranch_execz .LBB109_2
; %bb.6:                                ;   in Loop: Header=BB109_3 Depth=1
	global_load_dwordx2 v[0:1], v[34:35], off
	s_branch .LBB109_2
.LBB109_7:
	s_load_dwordx4 s[12:15], s[4:5], 0x78
	s_load_dwordx8 s[24:31], s[4:5], 0x58
	v_mov_b32_e32 v1, s43
	v_add_co_u32_e32 v0, vcc, s42, v33
	s_waitcnt lgkmcnt(0)
	s_mul_i32 s5, s10, s15
	s_mul_hi_u32 s6, s10, s14
	s_mul_i32 s4, s10, s14
	s_add_i32 s5, s6, s5
	s_lshl_b64 s[4:5], s[4:5], 3
	s_add_u32 s11, s30, s4
	s_addc_u32 s30, s31, s5
	s_or_b32 s4, s34, s35
	v_addc_co_u32_e32 v1, vcc, 0, v1, vcc
	s_bitset0_b32 s4, 31
	s_cmp_lg_u32 s4, 0
	v_cmp_gt_i64_e64 s[4:5], s[18:19], v[0:1]
	s_mov_b64 s[6:7], -1
	s_cbranch_scc1 .LBB109_19
; %bb.8:
	s_and_saveexec_b64 s[14:15], s[4:5]
	s_cbranch_execz .LBB109_18
; %bb.9:
	v_mov_b32_e32 v2, s41
	v_add_co_u32_e32 v4, vcc, s40, v31
	v_addc_co_u32_e32 v5, vcc, 0, v2, vcc
	v_mul_lo_u32 v6, v1, s12
	v_mul_lo_u32 v7, v0, s13
	v_mad_u64_u32 v[2:3], s[6:7], v0, s12, 0
	v_add3_u32 v3, v3, v7, v6
	v_lshlrev_b64 v[2:3], 3, v[2:3]
	v_mov_b32_e32 v7, s30
	v_add_co_u32_e64 v6, s[6:7], s11, v2
	v_cmp_gt_i64_e32 vcc, s[16:17], v[4:5]
	v_addc_co_u32_e64 v7, s[6:7], v7, v3, s[6:7]
	v_lshlrev_b64 v[2:3], 3, v[4:5]
	s_and_saveexec_b64 s[8:9], vcc
	s_cbranch_execz .LBB109_11
; %bb.10:
	v_mul_f32_e32 v8, s23, v29
	v_mul_f32_e32 v9, s22, v29
	v_add_co_u32_e64 v10, s[6:7], v6, v2
	v_fma_f32 v8, v28, s22, -v8
	v_fmac_f32_e32 v9, s23, v28
	v_addc_co_u32_e64 v11, s[6:7], v7, v3, s[6:7]
	global_store_dwordx2 v[10:11], v[8:9], off
.LBB109_11:
	s_or_b64 exec, exec, s[8:9]
	v_add_co_u32_e64 v4, s[6:7], 16, v4
	v_addc_co_u32_e64 v5, s[6:7], 0, v5, s[6:7]
	v_cmp_gt_i64_e64 s[6:7], s[16:17], v[4:5]
	s_and_saveexec_b64 s[20:21], s[6:7]
	s_cbranch_execz .LBB109_13
; %bb.12:
	buffer_load_dword v4, off, s[0:3], 0 offset:4
	buffer_load_dword v8, off, s[0:3], 0
	s_waitcnt vmcnt(1)
	v_mul_f32_e32 v9, s23, v4
	v_mul_f32_e32 v5, s22, v4
	s_waitcnt vmcnt(0)
	v_fma_f32 v4, v8, s22, -v9
	v_fmac_f32_e32 v5, s23, v8
	v_add_co_u32_e64 v8, s[8:9], v6, v2
	v_addc_co_u32_e64 v9, s[8:9], v7, v3, s[8:9]
	global_store_dwordx2 v[8:9], v[4:5], off offset:128
.LBB109_13:
	s_or_b64 exec, exec, s[20:21]
	v_add_co_u32_e64 v4, s[8:9], 16, v0
	v_addc_co_u32_e64 v5, s[8:9], 0, v1, s[8:9]
	v_cmp_gt_i64_e64 s[8:9], s[18:19], v[4:5]
	s_and_b64 exec, exec, s[8:9]
	s_cbranch_execz .LBB109_18
; %bb.14:
	buffer_load_dword v4, off, s[0:3], 0 offset:16
	buffer_load_dword v5, off, s[0:3], 0 offset:20
	s_lshl_b64 s[8:9], s[12:13], 7
	v_mov_b32_e32 v8, s9
	v_add_co_u32_e64 v6, s[8:9], s8, v6
	v_addc_co_u32_e64 v7, s[8:9], v7, v8, s[8:9]
	v_add_co_u32_e64 v2, s[8:9], v6, v2
	v_addc_co_u32_e64 v3, s[8:9], v7, v3, s[8:9]
	s_and_saveexec_b64 s[8:9], vcc
	s_cbranch_execz .LBB109_16
; %bb.15:
	buffer_load_dword v6, off, s[0:3], 0 offset:12
	buffer_load_dword v8, off, s[0:3], 0 offset:8
	s_waitcnt vmcnt(1)
	v_mul_f32_e32 v9, s23, v6
	v_mul_f32_e32 v7, s22, v6
	s_waitcnt vmcnt(0)
	v_fma_f32 v6, v8, s22, -v9
	v_fmac_f32_e32 v7, s23, v8
	global_store_dwordx2 v[2:3], v[6:7], off
.LBB109_16:
	s_or_b64 exec, exec, s[8:9]
	s_and_b64 exec, exec, s[6:7]
	s_cbranch_execz .LBB109_18
; %bb.17:
	s_waitcnt vmcnt(0)
	v_mul_f32_e32 v6, s23, v5
	v_mul_f32_e32 v7, s22, v5
	v_fma_f32 v6, v4, s22, -v6
	v_fmac_f32_e32 v7, s23, v4
	global_store_dwordx2 v[2:3], v[6:7], off offset:128
.LBB109_18:
	s_or_b64 exec, exec, s[14:15]
	s_mov_b64 s[6:7], 0
.LBB109_19:
	s_andn2_b64 vcc, exec, s[6:7]
	s_cbranch_vccnz .LBB109_30
; %bb.20:
	s_and_saveexec_b64 s[6:7], s[4:5]
	s_cbranch_execz .LBB109_30
; %bb.21:
	s_mul_i32 s4, s10, s29
	s_mul_hi_u32 s5, s10, s28
	s_add_i32 s5, s5, s4
	s_mul_i32 s4, s10, s28
	s_lshl_b64 s[4:5], s[4:5], 3
	s_add_u32 s6, s24, s4
	v_mov_b32_e32 v2, s41
	s_waitcnt vmcnt(1)
	v_add_co_u32_e32 v4, vcc, s40, v31
	s_addc_u32 s7, s25, s5
	s_waitcnt vmcnt(0)
	v_addc_co_u32_e32 v5, vcc, 0, v2, vcc
	v_mul_lo_u32 v6, v1, s26
	v_mul_lo_u32 v7, v0, s27
	v_mad_u64_u32 v[2:3], s[4:5], v0, s26, 0
	v_add3_u32 v3, v3, v7, v6
	v_mul_lo_u32 v6, v1, s12
	v_mul_lo_u32 v7, v0, s13
	v_mad_u64_u32 v[8:9], s[4:5], v0, s12, 0
	v_lshlrev_b64 v[2:3], 3, v[2:3]
	v_add3_u32 v9, v9, v7, v6
	v_mov_b32_e32 v7, s7
	v_add_co_u32_e64 v6, s[4:5], s6, v2
	v_addc_co_u32_e64 v7, s[4:5], v7, v3, s[4:5]
	v_lshlrev_b64 v[2:3], 3, v[8:9]
	v_mov_b32_e32 v9, s30
	v_add_co_u32_e64 v8, s[4:5], s11, v2
	v_cmp_gt_i64_e32 vcc, s[16:17], v[4:5]
	v_addc_co_u32_e64 v9, s[4:5], v9, v3, s[4:5]
	v_lshlrev_b64 v[2:3], 3, v[4:5]
	s_and_saveexec_b64 s[6:7], vcc
	s_cbranch_execz .LBB109_23
; %bb.22:
	v_add_co_u32_e64 v10, s[4:5], v6, v2
	v_addc_co_u32_e64 v11, s[4:5], v7, v3, s[4:5]
	global_load_dwordx2 v[10:11], v[10:11], off
	v_mul_f32_e32 v12, s23, v29
	v_mul_f32_e32 v13, s22, v29
	v_fma_f32 v12, v28, s22, -v12
	v_fmac_f32_e32 v13, s23, v28
	s_waitcnt vmcnt(0)
	v_mul_f32_e32 v14, s35, v11
	v_mul_f32_e32 v11, s34, v11
	v_fma_f32 v14, v10, s34, -v14
	v_fmac_f32_e32 v11, s35, v10
	v_add_f32_e32 v10, v12, v14
	v_add_co_u32_e64 v12, s[4:5], v8, v2
	v_add_f32_e32 v11, v13, v11
	v_addc_co_u32_e64 v13, s[4:5], v9, v3, s[4:5]
	global_store_dwordx2 v[12:13], v[10:11], off
.LBB109_23:
	s_or_b64 exec, exec, s[6:7]
	v_add_co_u32_e64 v4, s[4:5], 16, v4
	v_addc_co_u32_e64 v5, s[4:5], 0, v5, s[4:5]
	v_cmp_gt_i64_e64 s[4:5], s[16:17], v[4:5]
	s_and_saveexec_b64 s[8:9], s[4:5]
	s_cbranch_execz .LBB109_25
; %bb.24:
	v_add_co_u32_e64 v4, s[6:7], v6, v2
	buffer_load_dword v10, off, s[0:3], 0
	buffer_load_dword v11, off, s[0:3], 0 offset:4
	v_addc_co_u32_e64 v5, s[6:7], v7, v3, s[6:7]
	global_load_dwordx2 v[4:5], v[4:5], off offset:128
	s_waitcnt vmcnt(1)
	v_mul_f32_e32 v12, s23, v11
	v_mul_f32_e32 v11, s22, v11
	v_fma_f32 v12, v10, s22, -v12
	v_fmac_f32_e32 v11, s23, v10
	s_waitcnt vmcnt(0)
	v_mul_f32_e32 v10, s35, v5
	v_mul_f32_e32 v5, s34, v5
	v_fma_f32 v10, v4, s34, -v10
	v_fmac_f32_e32 v5, s35, v4
	v_add_f32_e32 v4, v12, v10
	v_add_co_u32_e64 v10, s[6:7], v8, v2
	v_add_f32_e32 v5, v11, v5
	v_addc_co_u32_e64 v11, s[6:7], v9, v3, s[6:7]
	global_store_dwordx2 v[10:11], v[4:5], off offset:128
.LBB109_25:
	s_or_b64 exec, exec, s[8:9]
	v_add_co_u32_e64 v0, s[6:7], 16, v0
	v_addc_co_u32_e64 v1, s[6:7], 0, v1, s[6:7]
	v_cmp_gt_i64_e64 s[6:7], s[18:19], v[0:1]
	s_and_b64 exec, exec, s[6:7]
	s_cbranch_execz .LBB109_30
; %bb.26:
	buffer_load_dword v10, off, s[0:3], 0 offset:16
	buffer_load_dword v11, off, s[0:3], 0 offset:20
	s_lshl_b64 s[6:7], s[26:27], 7
	v_mov_b32_e32 v0, s7
	v_add_co_u32_e64 v1, s[6:7], s6, v6
	v_addc_co_u32_e64 v0, s[6:7], v7, v0, s[6:7]
	s_lshl_b64 s[6:7], s[12:13], 7
	v_mov_b32_e32 v4, s7
	v_add_co_u32_e64 v6, s[6:7], s6, v8
	v_addc_co_u32_e64 v7, s[6:7], v9, v4, s[6:7]
	v_add_co_u32_e64 v4, s[6:7], v1, v2
	v_addc_co_u32_e64 v5, s[6:7], v0, v3, s[6:7]
	;; [unrolled: 2-line block ×3, first 2 shown]
	s_and_saveexec_b64 s[6:7], vcc
	s_cbranch_execz .LBB109_28
; %bb.27:
	buffer_load_dword v6, off, s[0:3], 0 offset:12
	buffer_load_dword v7, off, s[0:3], 0 offset:8
	global_load_dwordx2 v[2:3], v[4:5], off
	s_waitcnt vmcnt(2)
	v_mul_f32_e32 v8, s23, v6
	v_mul_f32_e32 v6, s22, v6
	s_waitcnt vmcnt(0)
	v_mul_f32_e32 v9, s35, v3
	v_mul_f32_e32 v3, s34, v3
	v_fma_f32 v8, v7, s22, -v8
	v_fmac_f32_e32 v6, s23, v7
	v_fma_f32 v7, v2, s34, -v9
	v_fmac_f32_e32 v3, s35, v2
	v_add_f32_e32 v2, v8, v7
	v_add_f32_e32 v3, v6, v3
	global_store_dwordx2 v[0:1], v[2:3], off
.LBB109_28:
	s_or_b64 exec, exec, s[6:7]
	s_and_b64 exec, exec, s[4:5]
	s_cbranch_execz .LBB109_30
; %bb.29:
	global_load_dwordx2 v[2:3], v[4:5], off offset:128
	s_waitcnt vmcnt(1)
	v_mul_f32_e32 v4, s23, v11
	v_mul_f32_e32 v5, s22, v11
	v_fma_f32 v4, v10, s22, -v4
	v_fmac_f32_e32 v5, s23, v10
	s_waitcnt vmcnt(0)
	v_mul_f32_e32 v6, s35, v3
	v_mul_f32_e32 v3, s34, v3
	v_fma_f32 v6, v2, s34, -v6
	v_fmac_f32_e32 v3, s35, v2
	v_add_f32_e32 v2, v4, v6
	v_add_f32_e32 v3, v5, v3
	global_store_dwordx2 v[0:1], v[2:3], off offset:128
.LBB109_30:
	s_endpgm
	.section	.rodata,"a",@progbits
	.p2align	6, 0x0
	.amdhsa_kernel _ZN12_GLOBAL__N_135rocblas_gemm_batched_general_kernelI19rocblas_complex_numIfELi16ELi16ELi32ELi32ELi8ELi32ELi8ELi8ELi32ELc78ELc84EKS2_S3_S2_EEvlllT_PT11_llS6_llS4_PT12_llPT13_lli
		.amdhsa_group_segment_fixed_size 4096
		.amdhsa_private_segment_fixed_size 32
		.amdhsa_kernarg_size 140
		.amdhsa_user_sgpr_count 8
		.amdhsa_user_sgpr_private_segment_buffer 1
		.amdhsa_user_sgpr_dispatch_ptr 0
		.amdhsa_user_sgpr_queue_ptr 0
		.amdhsa_user_sgpr_kernarg_segment_ptr 1
		.amdhsa_user_sgpr_dispatch_id 0
		.amdhsa_user_sgpr_flat_scratch_init 1
		.amdhsa_user_sgpr_kernarg_preload_length 0
		.amdhsa_user_sgpr_kernarg_preload_offset 0
		.amdhsa_user_sgpr_private_segment_size 0
		.amdhsa_uses_dynamic_stack 0
		.amdhsa_system_sgpr_private_segment_wavefront_offset 1
		.amdhsa_system_sgpr_workgroup_id_x 1
		.amdhsa_system_sgpr_workgroup_id_y 1
		.amdhsa_system_sgpr_workgroup_id_z 1
		.amdhsa_system_sgpr_workgroup_info 0
		.amdhsa_system_vgpr_workitem_id 1
		.amdhsa_next_free_vgpr 127
		.amdhsa_next_free_sgpr 46
		.amdhsa_accum_offset 128
		.amdhsa_reserve_vcc 1
		.amdhsa_reserve_flat_scratch 0
		.amdhsa_float_round_mode_32 0
		.amdhsa_float_round_mode_16_64 0
		.amdhsa_float_denorm_mode_32 3
		.amdhsa_float_denorm_mode_16_64 3
		.amdhsa_dx10_clamp 1
		.amdhsa_ieee_mode 1
		.amdhsa_fp16_overflow 0
		.amdhsa_tg_split 0
		.amdhsa_exception_fp_ieee_invalid_op 0
		.amdhsa_exception_fp_denorm_src 0
		.amdhsa_exception_fp_ieee_div_zero 0
		.amdhsa_exception_fp_ieee_overflow 0
		.amdhsa_exception_fp_ieee_underflow 0
		.amdhsa_exception_fp_ieee_inexact 0
		.amdhsa_exception_int_div_zero 0
	.end_amdhsa_kernel
	.section	.text._ZN12_GLOBAL__N_135rocblas_gemm_batched_general_kernelI19rocblas_complex_numIfELi16ELi16ELi32ELi32ELi8ELi32ELi8ELi8ELi32ELc78ELc84EKS2_S3_S2_EEvlllT_PT11_llS6_llS4_PT12_llPT13_lli,"axG",@progbits,_ZN12_GLOBAL__N_135rocblas_gemm_batched_general_kernelI19rocblas_complex_numIfELi16ELi16ELi32ELi32ELi8ELi32ELi8ELi8ELi32ELc78ELc84EKS2_S3_S2_EEvlllT_PT11_llS6_llS4_PT12_llPT13_lli,comdat
.Lfunc_end109:
	.size	_ZN12_GLOBAL__N_135rocblas_gemm_batched_general_kernelI19rocblas_complex_numIfELi16ELi16ELi32ELi32ELi8ELi32ELi8ELi8ELi32ELc78ELc84EKS2_S3_S2_EEvlllT_PT11_llS6_llS4_PT12_llPT13_lli, .Lfunc_end109-_ZN12_GLOBAL__N_135rocblas_gemm_batched_general_kernelI19rocblas_complex_numIfELi16ELi16ELi32ELi32ELi8ELi32ELi8ELi8ELi32ELc78ELc84EKS2_S3_S2_EEvlllT_PT11_llS6_llS4_PT12_llPT13_lli
                                        ; -- End function
	.section	.AMDGPU.csdata,"",@progbits
; Kernel info:
; codeLenInByte = 3696
; NumSgprs: 50
; NumVgprs: 127
; NumAgprs: 0
; TotalNumVgprs: 127
; ScratchSize: 32
; MemoryBound: 0
; FloatMode: 240
; IeeeMode: 1
; LDSByteSize: 4096 bytes/workgroup (compile time only)
; SGPRBlocks: 6
; VGPRBlocks: 15
; NumSGPRsForWavesPerEU: 50
; NumVGPRsForWavesPerEU: 127
; AccumOffset: 128
; Occupancy: 4
; WaveLimiterHint : 1
; COMPUTE_PGM_RSRC2:SCRATCH_EN: 1
; COMPUTE_PGM_RSRC2:USER_SGPR: 8
; COMPUTE_PGM_RSRC2:TRAP_HANDLER: 0
; COMPUTE_PGM_RSRC2:TGID_X_EN: 1
; COMPUTE_PGM_RSRC2:TGID_Y_EN: 1
; COMPUTE_PGM_RSRC2:TGID_Z_EN: 1
; COMPUTE_PGM_RSRC2:TIDIG_COMP_CNT: 1
; COMPUTE_PGM_RSRC3_GFX90A:ACCUM_OFFSET: 31
; COMPUTE_PGM_RSRC3_GFX90A:TG_SPLIT: 0
	.section	.text._ZN12_GLOBAL__N_135rocblas_gemm_batched_general_kernelI19rocblas_complex_numIfELi16ELi16ELi32ELi32ELi8ELi32ELi8ELi8ELi32ELc84ELc84EKS2_S3_S2_EEvlllT_PT11_llS6_llS4_PT12_llPT13_lli,"axG",@progbits,_ZN12_GLOBAL__N_135rocblas_gemm_batched_general_kernelI19rocblas_complex_numIfELi16ELi16ELi32ELi32ELi8ELi32ELi8ELi8ELi32ELc84ELc84EKS2_S3_S2_EEvlllT_PT11_llS6_llS4_PT12_llPT13_lli,comdat
	.globl	_ZN12_GLOBAL__N_135rocblas_gemm_batched_general_kernelI19rocblas_complex_numIfELi16ELi16ELi32ELi32ELi8ELi32ELi8ELi8ELi32ELc84ELc84EKS2_S3_S2_EEvlllT_PT11_llS6_llS4_PT12_llPT13_lli ; -- Begin function _ZN12_GLOBAL__N_135rocblas_gemm_batched_general_kernelI19rocblas_complex_numIfELi16ELi16ELi32ELi32ELi8ELi32ELi8ELi8ELi32ELc84ELc84EKS2_S3_S2_EEvlllT_PT11_llS6_llS4_PT12_llPT13_lli
	.p2align	8
	.type	_ZN12_GLOBAL__N_135rocblas_gemm_batched_general_kernelI19rocblas_complex_numIfELi16ELi16ELi32ELi32ELi8ELi32ELi8ELi8ELi32ELc84ELc84EKS2_S3_S2_EEvlllT_PT11_llS6_llS4_PT12_llPT13_lli,@function
_ZN12_GLOBAL__N_135rocblas_gemm_batched_general_kernelI19rocblas_complex_numIfELi16ELi16ELi32ELi32ELi8ELi32ELi8ELi8ELi32ELc84ELc84EKS2_S3_S2_EEvlllT_PT11_llS6_llS4_PT12_llPT13_lli: ; @_ZN12_GLOBAL__N_135rocblas_gemm_batched_general_kernelI19rocblas_complex_numIfELi16ELi16ELi32ELi32ELi8ELi32ELi8ELi8ELi32ELc84ELc84EKS2_S3_S2_EEvlllT_PT11_llS6_llS4_PT12_llPT13_lli
; %bb.0:
	s_load_dwordx16 s[12:27], s[4:5], 0x0
	s_load_dwordx2 s[34:35], s[4:5], 0x50
	s_add_u32 s0, s0, s11
	s_mov_b32 s40, s9
	s_addc_u32 s1, s1, 0
	v_mov_b32_e32 v29, 0
	s_ashr_i32 s9, s8, 31
	s_ashr_i32 s41, s40, 31
	s_waitcnt lgkmcnt(0)
	v_cmp_lt_i64_e64 s[6:7], s[16:17], 1
	v_and_b32_e32 v31, 0x3ff, v0
	v_bfe_u32 v33, v0, 10, 10
	s_lshl_b64 s[36:37], s[8:9], 5
	s_lshl_b64 s[38:39], s[40:41], 5
	s_and_b64 vcc, exec, s[6:7]
	v_mov_b32_e32 v28, v29
	buffer_store_dword v29, off, s[0:3], 0 offset:4
	buffer_store_dword v29, off, s[0:3], 0
	buffer_store_dword v29, off, s[0:3], 0 offset:12
	buffer_store_dword v29, off, s[0:3], 0 offset:8
	;; [unrolled: 1-line block ×4, first 2 shown]
	s_cbranch_vccnz .LBB110_7
; %bb.1:
	v_lshl_add_u32 v4, v33, 4, v31
	v_lshrrev_b32_e32 v5, 3, v4
	s_load_dwordx4 s[28:31], s[4:5], 0x40
	v_mov_b32_e32 v1, s39
	v_add_co_u32_e32 v0, vcc, s38, v5
	v_and_b32_e32 v32, 7, v31
	v_addc_co_u32_e32 v1, vcc, 0, v1, vcc
	v_cmp_gt_i64_e64 s[8:9], s[14:15], v[0:1]
	v_lshlrev_b32_e32 v0, 3, v32
	v_and_b32_e32 v6, 31, v4
	v_lshl_or_b32 v0, v5, 6, v0
	v_mov_b32_e32 v3, s37
	v_or_b32_e32 v2, s36, v6
	v_add_u32_e32 v79, 0x800, v0
	v_mov_b32_e32 v0, 0x800
	v_lshrrev_b32_e32 v30, 5, v4
	v_cmp_gt_i64_e64 s[6:7], s[12:13], v[2:3]
	v_lshlrev_b32_e32 v2, 3, v6
	v_lshl_add_u32 v81, v33, 6, v0
	s_waitcnt lgkmcnt(0)
	s_mul_i32 s11, s31, s10
	s_mul_hi_u32 s31, s30, s10
	v_mad_u64_u32 v[0:1], s[42:43], s28, v32, 0
	v_lshl_or_b32 v78, v30, 8, v2
	s_add_i32 s31, s31, s11
	s_mul_i32 s30, s30, s10
	v_mov_b32_e32 v2, v1
	s_lshl_b64 s[30:31], s[30:31], 3
	v_mad_u64_u32 v[2:3], s[42:43], s29, v32, v[2:3]
	s_lshl_b64 s[40:41], s[40:41], 8
	v_mov_b32_e32 v1, v2
	s_add_u32 s11, s40, s30
	v_lshlrev_b64 v[0:1], 3, v[0:1]
	s_addc_u32 s30, s41, s31
	v_mov_b32_e32 v2, s30
	v_add_co_u32_e32 v0, vcc, s11, v0
	v_addc_co_u32_e32 v1, vcc, v2, v1, vcc
	v_and_b32_e32 v2, 0x7ff8, v4
	v_add_co_u32_e32 v0, vcc, v0, v2
	v_addc_co_u32_e32 v1, vcc, 0, v1, vcc
	v_mov_b32_e32 v2, s27
	v_add_co_u32_e32 v34, vcc, s26, v0
	v_addc_co_u32_e32 v35, vcc, v2, v1, vcc
	v_mov_b32_e32 v0, s37
	v_add_co_u32_e32 v1, vcc, s36, v6
	v_addc_co_u32_e32 v0, vcc, 0, v0, vcc
	v_mul_lo_u32 v2, s23, v1
	v_mul_lo_u32 v3, s22, v0
	v_mad_u64_u32 v[0:1], s[22:23], s22, v1, 0
	s_mul_i32 s11, s25, s10
	s_mul_hi_u32 s22, s24, s10
	v_add3_u32 v1, v1, v3, v2
	s_add_i32 s23, s22, s11
	s_mul_i32 s22, s24, s10
	v_lshlrev_b64 v[0:1], 3, v[0:1]
	s_lshl_b64 s[22:23], s[22:23], 3
	v_mov_b32_e32 v2, s23
	v_add_co_u32_e32 v0, vcc, s22, v0
	v_addc_co_u32_e32 v1, vcc, v1, v2, vcc
	v_lshlrev_b32_e32 v2, 3, v30
	v_add_co_u32_e32 v0, vcc, v0, v2
	v_addc_co_u32_e32 v1, vcc, 0, v1, vcc
	v_mov_b32_e32 v28, 0
	v_mov_b32_e32 v2, s21
	v_add_co_u32_e32 v36, vcc, s20, v0
	v_lshlrev_b32_e32 v80, 3, v31
	s_lshl_b64 s[26:27], s[28:29], 6
	v_addc_co_u32_e32 v37, vcc, v2, v1, vcc
	s_mov_b64 s[20:21], 0
	v_mov_b32_e32 v29, v28
	s_branch .LBB110_3
.LBB110_2:                              ;   in Loop: Header=BB110_3 Depth=1
	s_or_b64 exec, exec, s[22:23]
	s_waitcnt vmcnt(0)
	ds_write_b64 v79, v[0:1]
	s_waitcnt lgkmcnt(0)
	s_barrier
	ds_read2_b64 v[12:15], v80 offset0:32 offset1:48
	ds_read2_b64 v[16:19], v80 offset0:64 offset1:80
	;; [unrolled: 1-line block ×3, first 2 shown]
	ds_read_b128 v[4:7], v81
	ds_read_b128 v[0:3], v81 offset:16
	ds_read_b128 v[82:85], v81 offset:1024
	;; [unrolled: 1-line block ×3, first 2 shown]
	s_waitcnt lgkmcnt(6)
	v_mov_b32_e32 v49, v12
	s_waitcnt lgkmcnt(3)
	v_pk_mul_f32 v[20:21], v[6:7], v[12:13] op_sel:[0,1]
	v_pk_fma_f32 v[40:41], v[6:7], v[12:13], v[20:21] op_sel:[0,0,1] op_sel_hi:[1,0,0] neg_lo:[0,0,1] neg_hi:[0,0,1]
	v_pk_fma_f32 v[42:43], v[6:7], v[12:13], v[20:21] op_sel:[0,0,1] op_sel_hi:[1,0,0]
	v_mul_f32_e32 v12, v6, v14
	v_mov_b32_e32 v53, v13
	v_mov_b32_e32 v54, v13
	v_fma_f32 v120, -v7, v15, v12
	s_waitcnt lgkmcnt(2)
	v_pk_mul_f32 v[12:13], v[0:1], v[16:17] op_sel:[0,1]
	v_pk_fma_f32 v[56:57], v[0:1], v[16:17], v[12:13] op_sel:[0,0,1] op_sel_hi:[1,0,0] neg_lo:[0,0,1] neg_hi:[0,0,1]
	v_pk_fma_f32 v[58:59], v[0:1], v[16:17], v[12:13] op_sel:[0,0,1] op_sel_hi:[1,0,0]
	v_mul_f32_e32 v12, v0, v18
	v_fma_f32 v58, -v1, v19, v12
	v_pk_mul_f32 v[12:13], v[2:3], v[8:9] op_sel:[0,1]
	v_mov_b32_e32 v39, v8
	v_pk_fma_f32 v[64:65], v[2:3], v[8:9], v[12:13] op_sel:[0,0,1] op_sel_hi:[1,0,0] neg_lo:[0,0,1] neg_hi:[0,0,1]
	v_pk_fma_f32 v[66:67], v[2:3], v[8:9], v[12:13] op_sel:[0,0,1] op_sel_hi:[1,0,0]
	v_mul_f32_e32 v8, v2, v10
	s_waitcnt lgkmcnt(0)
	v_mul_f32_e32 v123, v27, v10
	v_mov_b32_e32 v38, v10
	v_mov_b32_e32 v94, v11
	;; [unrolled: 1-line block ×5, first 2 shown]
	ds_read2_b64 v[70:73], v80 offset0:128 offset1:144
	v_fma_f32 v66, -v3, v11, v8
	v_fmac_f32_e32 v123, v26, v11
	ds_read_b128 v[8:11], v81 offset:32
	ds_read_b128 v[20:23], v81 offset:1056
	v_mul_f32_e32 v122, v25, v18
	ds_read2_b64 v[86:89], v80 offset0:160 offset1:176
	v_mov_b32_e32 v44, v18
	v_mov_b32_e32 v45, v16
	;; [unrolled: 1-line block ×6, first 2 shown]
	v_fmac_f32_e32 v122, v24, v19
	ds_read_b128 v[16:19], v81 offset:48
	ds_read2_b64 v[90:93], v80 offset0:192 offset1:208
	s_waitcnt lgkmcnt(4)
	v_pk_mul_f32 v[12:13], v[8:9], v[70:71] op_sel:[0,1]
	v_mul_f32_e32 v121, v85, v14
	v_pk_fma_f32 v[98:99], v[8:9], v[70:71], v[12:13] op_sel:[0,0,1] op_sel_hi:[1,0,0] neg_lo:[0,0,1] neg_hi:[0,0,1]
	v_pk_fma_f32 v[100:101], v[8:9], v[70:71], v[12:13] op_sel:[0,0,1] op_sel_hi:[1,0,0]
	v_mul_f32_e32 v12, v8, v72
	v_mov_b32_e32 v48, v14
	v_mov_b32_e32 v52, v15
	v_mov_b32_e32 v55, v15
	v_fmac_f32_e32 v121, v84, v15
	v_fma_f32 v100, -v9, v73, v12
	ds_read_b128 v[12:15], v81 offset:1072
	s_waitcnt lgkmcnt(4)
	v_mul_f32_e32 v124, v21, v72
	v_mov_b32_e32 v60, v72
	v_mov_b32_e32 v68, v73
	;; [unrolled: 1-line block ×3, first 2 shown]
	v_fmac_f32_e32 v124, v20, v73
	s_waitcnt lgkmcnt(3)
	v_pk_mul_f32 v[72:73], v[10:11], v[86:87] op_sel:[0,1]
	v_mov_b32_e32 v69, v71
	v_mov_b32_e32 v62, v71
	;; [unrolled: 1-line block ×5, first 2 shown]
	v_pk_fma_f32 v[104:105], v[10:11], v[86:87], v[72:73] op_sel:[0,0,1] op_sel_hi:[1,0,0] neg_lo:[0,0,1] neg_hi:[0,0,1]
	v_pk_fma_f32 v[106:107], v[10:11], v[86:87], v[72:73] op_sel:[0,0,1] op_sel_hi:[1,0,0]
	v_mul_f32_e32 v41, v10, v88
	v_mul_f32_e32 v125, v23, v88
	s_waitcnt lgkmcnt(1)
	v_pk_mul_f32 v[86:87], v[16:17], v[90:91] op_sel:[0,1]
	v_mov_b32_e32 v61, v70
	v_mov_b32_e32 v70, v88
	;; [unrolled: 1-line block ×4, first 2 shown]
	v_fma_f32 v106, -v11, v89, v41
	v_fmac_f32_e32 v125, v22, v89
	v_mov_b32_e32 v73, v90
	v_mov_b32_e32 v77, v91
	v_mov_b32_e32 v108, v91
	v_pk_fma_f32 v[110:111], v[16:17], v[90:91], v[86:87] op_sel:[0,0,1] op_sel_hi:[1,0,0] neg_lo:[0,0,1] neg_hi:[0,0,1]
	v_pk_fma_f32 v[90:91], v[16:17], v[90:91], v[86:87] op_sel:[0,0,1] op_sel_hi:[1,0,0]
	ds_read2_b64 v[86:89], v80 offset1:16
	v_mul_f32_e32 v41, v16, v92
	s_waitcnt lgkmcnt(1)
	v_mul_f32_e32 v126, v13, v92
	v_mov_b32_e32 v72, v92
	v_mov_b32_e32 v76, v93
	;; [unrolled: 1-line block ×3, first 2 shown]
	v_fma_f32 v90, -v17, v93, v41
	v_fmac_f32_e32 v126, v12, v93
	s_waitcnt lgkmcnt(0)
	v_mov_b32_e32 v92, v89
	v_mov_b32_e32 v93, v87
	;; [unrolled: 1-line block ×4, first 2 shown]
	v_pk_mul_f32 v[116:117], v[4:5], v[86:87] op_sel:[0,1]
	v_pk_mul_f32 v[92:93], v[112:113], v[92:93]
	v_mov_b32_e32 v113, v86
	v_mov_b32_e32 v114, v87
	v_pk_fma_f32 v[118:119], v[4:5], v[86:87], v[116:117] op_sel:[0,0,1] op_sel_hi:[1,0,0] neg_lo:[0,0,1] neg_hi:[0,0,1]
	v_pk_fma_f32 v[86:87], v[4:5], v[86:87], v[116:117] op_sel:[0,0,1] op_sel_hi:[1,0,0]
	v_mul_f32_e32 v4, v4, v88
	v_fma_f32 v86, -v5, v89, v4
	v_mul_f32_e32 v116, v83, v88
	v_mov_b32_e32 v4, v5
	v_mov_b32_e32 v112, v88
	;; [unrolled: 1-line block ×3, first 2 shown]
	v_fmac_f32_e32 v116, v82, v89
	v_pk_fma_f32 v[88:89], v[4:5], v[88:89], v[92:93]
	v_mov_b32_e32 v5, v82
	v_pk_fma_f32 v[4:5], v[4:5], v[112:113], v[92:93] neg_lo:[0,0,1] neg_hi:[0,0,1]
	v_pk_mul_f32 v[92:93], v[82:83], v[112:113]
	v_pk_fma_f32 v[112:113], v[82:83], v[114:115], v[92:93] op_sel:[0,0,1] op_sel_hi:[1,1,0]
	v_pk_fma_f32 v[82:83], v[82:83], v[114:115], v[92:93] op_sel:[0,0,1] op_sel_hi:[1,1,0] neg_lo:[1,0,0] neg_hi:[1,0,0]
	v_pk_mul_f32 v[92:93], v[84:85], v[48:49]
	v_pk_fma_f32 v[114:115], v[84:85], v[54:55], v[92:93] op_sel:[0,0,1] op_sel_hi:[1,1,0]
	v_pk_fma_f32 v[54:55], v[84:85], v[54:55], v[92:93] op_sel:[0,0,1] op_sel_hi:[1,1,0] neg_lo:[1,0,0] neg_hi:[1,0,0]
	v_mov_b32_e32 v93, v84
	v_mov_b32_e32 v84, v6
	v_mov_b32_e32 v92, v7
	v_mov_b32_e32 v4, v7
	v_pk_mul_f32 v[6:7], v[84:85], v[52:53]
	v_pk_fma_f32 v[52:53], v[4:5], v[48:49], v[6:7]
	v_pk_fma_f32 v[6:7], v[92:93], v[48:49], v[6:7] neg_lo:[0,0,1] neg_hi:[0,0,1]
	buffer_load_dword v92, off, s[0:3], 0 offset:12
	buffer_load_dword v93, off, s[0:3], 0 offset:16
	buffer_load_dword v6, off, s[0:3], 0
	v_mov_b32_e32 v48, v0
	v_mov_b32_e32 v49, v25
	v_pk_mul_f32 v[48:49], v[48:49], v[50:51]
	v_mov_b32_e32 v0, v1
	v_mov_b32_e32 v50, v1
	;; [unrolled: 1-line block ×3, first 2 shown]
	v_pk_fma_f32 v[84:85], v[0:1], v[44:45], v[48:49]
	v_pk_mul_f32 v[0:1], v[24:25], v[44:45]
	v_pk_fma_f32 v[48:49], v[50:51], v[44:45], v[48:49] neg_lo:[0,0,1] neg_hi:[0,0,1]
	v_pk_fma_f32 v[44:45], v[24:25], v[46:47], v[0:1] op_sel:[0,0,1] op_sel_hi:[1,1,0]
	v_pk_fma_f32 v[24:25], v[24:25], v[46:47], v[0:1] op_sel:[0,0,1] op_sel_hi:[1,1,0] neg_lo:[1,0,0] neg_hi:[1,0,0]
	v_pk_mul_f32 v[0:1], v[26:27], v[38:39]
	v_pk_fma_f32 v[46:47], v[26:27], v[96:97], v[0:1] op_sel:[0,0,1] op_sel_hi:[1,1,0]
	v_pk_fma_f32 v[50:51], v[26:27], v[96:97], v[0:1] op_sel:[0,0,1] op_sel_hi:[1,1,0] neg_lo:[1,0,0] neg_hi:[1,0,0]
	v_mov_b32_e32 v1, v27
	v_mov_b32_e32 v0, v2
	;; [unrolled: 1-line block ×4, first 2 shown]
	v_pk_mul_f32 v[0:1], v[0:1], v[94:95]
	v_mov_b32_e32 v2, v3
	v_pk_fma_f32 v[26:27], v[26:27], v[38:39], v[0:1] neg_lo:[0,0,1] neg_hi:[0,0,1]
	v_pk_fma_f32 v[94:95], v[2:3], v[38:39], v[0:1]
	buffer_load_dword v26, off, s[0:3], 0 offset:20
	buffer_load_dword v38, off, s[0:3], 0 offset:4
	;; [unrolled: 1-line block ×3, first 2 shown]
	v_mov_b32_e32 v119, v87
	v_pk_add_f32 v[0:1], v[28:29], v[118:119]
	v_mov_b32_e32 v41, v43
	v_pk_add_f32 v[0:1], v[0:1], v[40:41]
	;; [unrolled: 2-line block ×5, first 2 shown]
	ds_read2_b64 v[0:3], v80 offset0:224 offset1:240
	v_mov_b32_e32 v113, v83
	v_mov_b32_e32 v115, v55
	;; [unrolled: 1-line block ×4, first 2 shown]
	s_waitcnt lgkmcnt(0)
	v_pk_mul_f32 v[40:41], v[18:19], v[0:1] op_sel:[0,1]
	v_pk_fma_f32 v[42:43], v[18:19], v[0:1], v[40:41] op_sel:[0,0,1] op_sel_hi:[1,0,0] neg_lo:[0,0,1] neg_hi:[0,0,1]
	v_pk_fma_f32 v[40:41], v[18:19], v[0:1], v[40:41] op_sel:[0,0,1] op_sel_hi:[1,0,0]
	v_mov_b32_e32 v43, v41
	v_pk_add_f32 v[28:29], v[28:29], v[104:105]
	v_mov_b32_e32 v111, v91
	v_pk_add_f32 v[28:29], v[28:29], v[110:111]
	;; [unrolled: 2-line block ×3, first 2 shown]
	v_mov_b32_e32 v42, v9
	v_mov_b32_e32 v89, v5
	;; [unrolled: 1-line block ×7, first 2 shown]
	v_add_co_u32_e32 v34, vcc, s26, v34
	s_add_u32 s20, s20, 8
	s_addc_u32 s21, s21, 0
	s_waitcnt vmcnt(4)
	v_pk_add_f32 v[40:41], v[92:93], v[112:113]
	v_pk_add_f32 v[40:41], v[40:41], v[114:115]
	;; [unrolled: 1-line block ×3, first 2 shown]
	v_mov_b32_e32 v40, v8
	v_mov_b32_e32 v41, v21
	v_pk_mul_f32 v[40:41], v[40:41], v[68:69]
	v_pk_fma_f32 v[8:9], v[4:5], v[60:61], v[40:41]
	s_waitcnt vmcnt(3)
	v_add_f32_e32 v4, v6, v86
	v_add_f32_e32 v4, v4, v120
	;; [unrolled: 1-line block ×6, first 2 shown]
	v_mul_f32_e32 v5, v18, v2
	v_add_f32_e32 v4, v4, v90
	v_fma_f32 v5, -v19, v3, v5
	v_pk_fma_f32 v[40:41], v[42:43], v[60:61], v[40:41] neg_lo:[0,0,1] neg_hi:[0,0,1]
	v_pk_mul_f32 v[42:43], v[20:21], v[60:61]
	v_add_f32_e32 v4, v4, v5
	v_pk_fma_f32 v[44:45], v[20:21], v[62:63], v[42:43] op_sel:[0,0,1] op_sel_hi:[1,1,0]
	v_pk_fma_f32 v[20:21], v[20:21], v[62:63], v[42:43] op_sel:[0,0,1] op_sel_hi:[1,1,0] neg_lo:[1,0,0] neg_hi:[1,0,0]
	buffer_store_dword v4, off, s[0:3], 0
	s_waitcnt vmcnt(3)
	v_add_f32_e32 v4, v26, v116
	v_pk_add_f32 v[24:25], v[24:25], v[46:47]
	v_mov_b32_e32 v45, v21
	v_add_f32_e32 v4, v4, v121
	v_pk_add_f32 v[20:21], v[24:25], v[44:45]
	v_pk_mul_f32 v[24:25], v[22:23], v[70:71]
	v_add_f32_e32 v4, v4, v122
	v_pk_fma_f32 v[42:43], v[22:23], v[102:103], v[24:25] op_sel:[0,0,1] op_sel_hi:[1,1,0]
	v_pk_fma_f32 v[24:25], v[22:23], v[102:103], v[24:25] op_sel:[0,0,1] op_sel_hi:[1,1,0] neg_lo:[1,0,0] neg_hi:[1,0,0]
	v_add_f32_e32 v4, v4, v123
	v_mov_b32_e32 v43, v25
	v_pk_mul_f32 v[24:25], v[12:13], v[72:73]
	v_add_f32_e32 v4, v4, v124
	v_pk_add_f32 v[20:21], v[20:21], v[42:43]
	v_pk_fma_f32 v[42:43], v[12:13], v[108:109], v[24:25] op_sel:[0,0,1] op_sel_hi:[1,1,0]
	v_pk_fma_f32 v[24:25], v[12:13], v[108:109], v[24:25] op_sel:[0,0,1] op_sel_hi:[1,1,0] neg_lo:[1,0,0] neg_hi:[1,0,0]
	v_add_f32_e32 v4, v4, v125
	v_mov_b32_e32 v43, v25
	v_add_f32_e32 v25, v4, v126
	s_waitcnt vmcnt(1)
	v_pk_add_f32 v[4:5], v[38:39], v[88:89]
	v_pk_add_f32 v[4:5], v[4:5], v[52:53]
	;; [unrolled: 1-line block ×4, first 2 shown]
	v_mov_b32_e32 v9, v41
	v_pk_add_f32 v[4:5], v[4:5], v[8:9]
	v_mov_b32_e32 v8, v10
	v_mov_b32_e32 v9, v23
	v_mov_b32_e32 v6, v11
	v_pk_mul_f32 v[8:9], v[8:9], v[74:75]
	v_mov_b32_e32 v10, v11
	v_mov_b32_e32 v11, v22
	v_pk_fma_f32 v[6:7], v[6:7], v[70:71], v[8:9]
	v_pk_fma_f32 v[8:9], v[10:11], v[70:71], v[8:9] neg_lo:[0,0,1] neg_hi:[0,0,1]
	v_mov_b32_e32 v7, v9
	v_pk_add_f32 v[4:5], v[4:5], v[6:7]
	v_mov_b32_e32 v6, v16
	v_mov_b32_e32 v7, v13
	;; [unrolled: 1-line block ×3, first 2 shown]
	v_pk_mul_f32 v[6:7], v[6:7], v[76:77]
	v_mov_b32_e32 v8, v17
	v_mov_b32_e32 v9, v12
	v_pk_fma_f32 v[10:11], v[24:25], v[72:73], v[6:7]
	v_pk_fma_f32 v[6:7], v[8:9], v[72:73], v[6:7] neg_lo:[0,0,1] neg_hi:[0,0,1]
	v_mov_b32_e32 v38, v3
	v_mov_b32_e32 v39, v1
	;; [unrolled: 1-line block ×9, first 2 shown]
	v_pk_mul_f32 v[8:9], v[18:19], v[38:39]
	v_pk_add_f32 v[20:21], v[20:21], v[42:43]
	v_mov_b32_e32 v42, v1
	v_pk_fma_f32 v[0:1], v[0:1], v[44:45], v[8:9]
	v_pk_fma_f32 v[6:7], v[6:7], v[44:45], v[8:9] neg_lo:[0,0,1] neg_hi:[0,0,1]
	v_pk_add_f32 v[4:5], v[4:5], v[10:11]
	v_mov_b32_e32 v1, v7
	v_pk_add_f32 v[0:1], v[4:5], v[0:1]
	v_mov_b32_e32 v43, v3
	buffer_store_dword v1, off, s[0:3], 0 offset:8
	buffer_store_dword v0, off, s[0:3], 0 offset:4
	v_pk_mul_f32 v[0:1], v[14:15], v[44:45]
	v_pk_fma_f32 v[4:5], v[14:15], v[42:43], v[0:1] op_sel:[0,0,1] op_sel_hi:[1,1,0]
	v_pk_fma_f32 v[0:1], v[14:15], v[42:43], v[0:1] op_sel:[0,0,1] op_sel_hi:[1,1,0] neg_lo:[1,0,0] neg_hi:[1,0,0]
	v_mov_b32_e32 v5, v1
	v_mul_f32_e32 v2, v15, v2
	v_fmac_f32_e32 v2, v14, v3
	v_pk_add_f32 v[0:1], v[20:21], v[4:5]
	v_add_f32_e32 v2, v25, v2
	buffer_store_dword v0, off, s[0:3], 0 offset:12
	buffer_store_dword v1, off, s[0:3], 0 offset:16
	buffer_store_dword v2, off, s[0:3], 0 offset:20
	v_mov_b32_e32 v0, s27
	v_addc_co_u32_e32 v35, vcc, v35, v0, vcc
	v_add_co_u32_e32 v36, vcc, 64, v36
	v_addc_co_u32_e32 v37, vcc, 0, v37, vcc
	v_pk_mov_b32 v[0:1], s[16:17], s[16:17] op_sel:[0,1]
	v_cmp_lt_i64_e32 vcc, s[20:21], v[0:1]
	s_barrier
	s_cbranch_vccz .LBB110_7
.LBB110_3:                              ; =>This Inner Loop Header: Depth=1
	v_mov_b32_e32 v1, s21
	v_add_co_u32_e32 v0, vcc, s20, v30
	v_addc_co_u32_e32 v1, vcc, 0, v1, vcc
	v_cmp_gt_i64_e32 vcc, s[16:17], v[0:1]
	s_and_b64 s[24:25], s[6:7], vcc
	v_mov_b32_e32 v0, 0
	v_mov_b32_e32 v1, 0
	s_and_saveexec_b64 s[22:23], s[24:25]
	s_cbranch_execz .LBB110_5
; %bb.4:                                ;   in Loop: Header=BB110_3 Depth=1
	global_load_dwordx2 v[0:1], v[36:37], off
.LBB110_5:                              ;   in Loop: Header=BB110_3 Depth=1
	s_or_b64 exec, exec, s[22:23]
	s_waitcnt vmcnt(0)
	ds_write_b64 v78, v[0:1]
	v_mov_b32_e32 v1, s21
	v_add_co_u32_e32 v0, vcc, s20, v32
	v_addc_co_u32_e32 v1, vcc, 0, v1, vcc
	v_cmp_gt_i64_e32 vcc, s[16:17], v[0:1]
	s_and_b64 s[24:25], vcc, s[8:9]
	v_mov_b32_e32 v0, 0
	v_mov_b32_e32 v1, 0
	s_and_saveexec_b64 s[22:23], s[24:25]
	s_cbranch_execz .LBB110_2
; %bb.6:                                ;   in Loop: Header=BB110_3 Depth=1
	global_load_dwordx2 v[0:1], v[34:35], off
	s_branch .LBB110_2
.LBB110_7:
	s_load_dwordx4 s[28:31], s[4:5], 0x78
	s_load_dwordx8 s[20:27], s[4:5], 0x58
	v_mov_b32_e32 v1, s39
	v_add_co_u32_e32 v0, vcc, s38, v33
	s_waitcnt lgkmcnt(0)
	s_mul_i32 s5, s10, s31
	s_mul_hi_u32 s6, s10, s30
	s_mul_i32 s4, s10, s30
	s_add_i32 s5, s6, s5
	s_lshl_b64 s[4:5], s[4:5], 3
	s_add_u32 s11, s26, s4
	s_addc_u32 s30, s27, s5
	s_or_b32 s4, s34, s35
	v_addc_co_u32_e32 v1, vcc, 0, v1, vcc
	s_bitset0_b32 s4, 31
	s_cmp_lg_u32 s4, 0
	v_cmp_gt_i64_e64 s[4:5], s[14:15], v[0:1]
	s_mov_b64 s[6:7], -1
	s_cbranch_scc1 .LBB110_19
; %bb.8:
	s_and_saveexec_b64 s[16:17], s[4:5]
	s_cbranch_execz .LBB110_18
; %bb.9:
	v_mov_b32_e32 v2, s37
	v_add_co_u32_e32 v4, vcc, s36, v31
	v_addc_co_u32_e32 v5, vcc, 0, v2, vcc
	v_mul_lo_u32 v6, v1, s28
	v_mul_lo_u32 v7, v0, s29
	v_mad_u64_u32 v[2:3], s[6:7], v0, s28, 0
	v_add3_u32 v3, v3, v7, v6
	v_lshlrev_b64 v[2:3], 3, v[2:3]
	v_mov_b32_e32 v7, s30
	v_add_co_u32_e64 v6, s[6:7], s11, v2
	v_cmp_gt_i64_e32 vcc, s[12:13], v[4:5]
	v_addc_co_u32_e64 v7, s[6:7], v7, v3, s[6:7]
	v_lshlrev_b64 v[2:3], 3, v[4:5]
	s_and_saveexec_b64 s[8:9], vcc
	s_cbranch_execz .LBB110_11
; %bb.10:
	v_mul_f32_e32 v8, s19, v29
	v_mul_f32_e32 v9, s18, v29
	v_add_co_u32_e64 v10, s[6:7], v6, v2
	v_fma_f32 v8, v28, s18, -v8
	v_fmac_f32_e32 v9, s19, v28
	v_addc_co_u32_e64 v11, s[6:7], v7, v3, s[6:7]
	global_store_dwordx2 v[10:11], v[8:9], off
.LBB110_11:
	s_or_b64 exec, exec, s[8:9]
	v_add_co_u32_e64 v4, s[6:7], 16, v4
	v_addc_co_u32_e64 v5, s[6:7], 0, v5, s[6:7]
	v_cmp_gt_i64_e64 s[6:7], s[12:13], v[4:5]
	s_and_saveexec_b64 s[26:27], s[6:7]
	s_cbranch_execz .LBB110_13
; %bb.12:
	buffer_load_dword v4, off, s[0:3], 0 offset:4
	buffer_load_dword v8, off, s[0:3], 0
	s_waitcnt vmcnt(1)
	v_mul_f32_e32 v9, s19, v4
	v_mul_f32_e32 v5, s18, v4
	s_waitcnt vmcnt(0)
	v_fma_f32 v4, v8, s18, -v9
	v_fmac_f32_e32 v5, s19, v8
	v_add_co_u32_e64 v8, s[8:9], v6, v2
	v_addc_co_u32_e64 v9, s[8:9], v7, v3, s[8:9]
	global_store_dwordx2 v[8:9], v[4:5], off offset:128
.LBB110_13:
	s_or_b64 exec, exec, s[26:27]
	v_add_co_u32_e64 v4, s[8:9], 16, v0
	v_addc_co_u32_e64 v5, s[8:9], 0, v1, s[8:9]
	v_cmp_gt_i64_e64 s[8:9], s[14:15], v[4:5]
	s_and_b64 exec, exec, s[8:9]
	s_cbranch_execz .LBB110_18
; %bb.14:
	buffer_load_dword v4, off, s[0:3], 0 offset:16
	buffer_load_dword v5, off, s[0:3], 0 offset:20
	s_lshl_b64 s[8:9], s[28:29], 7
	v_mov_b32_e32 v8, s9
	v_add_co_u32_e64 v6, s[8:9], s8, v6
	v_addc_co_u32_e64 v7, s[8:9], v7, v8, s[8:9]
	v_add_co_u32_e64 v2, s[8:9], v6, v2
	v_addc_co_u32_e64 v3, s[8:9], v7, v3, s[8:9]
	s_and_saveexec_b64 s[8:9], vcc
	s_cbranch_execz .LBB110_16
; %bb.15:
	buffer_load_dword v6, off, s[0:3], 0 offset:12
	buffer_load_dword v8, off, s[0:3], 0 offset:8
	s_waitcnt vmcnt(1)
	v_mul_f32_e32 v9, s19, v6
	v_mul_f32_e32 v7, s18, v6
	s_waitcnt vmcnt(0)
	v_fma_f32 v6, v8, s18, -v9
	v_fmac_f32_e32 v7, s19, v8
	global_store_dwordx2 v[2:3], v[6:7], off
.LBB110_16:
	s_or_b64 exec, exec, s[8:9]
	s_and_b64 exec, exec, s[6:7]
	s_cbranch_execz .LBB110_18
; %bb.17:
	s_waitcnt vmcnt(0)
	v_mul_f32_e32 v6, s19, v5
	v_mul_f32_e32 v7, s18, v5
	v_fma_f32 v6, v4, s18, -v6
	v_fmac_f32_e32 v7, s19, v4
	global_store_dwordx2 v[2:3], v[6:7], off offset:128
.LBB110_18:
	s_or_b64 exec, exec, s[16:17]
	s_mov_b64 s[6:7], 0
.LBB110_19:
	s_andn2_b64 vcc, exec, s[6:7]
	s_cbranch_vccnz .LBB110_30
; %bb.20:
	s_and_saveexec_b64 s[6:7], s[4:5]
	s_cbranch_execz .LBB110_30
; %bb.21:
	s_mul_i32 s4, s10, s25
	s_mul_hi_u32 s5, s10, s24
	s_add_i32 s5, s5, s4
	s_mul_i32 s4, s10, s24
	s_lshl_b64 s[4:5], s[4:5], 3
	s_add_u32 s6, s20, s4
	v_mov_b32_e32 v2, s37
	s_waitcnt vmcnt(1)
	v_add_co_u32_e32 v4, vcc, s36, v31
	s_addc_u32 s7, s21, s5
	s_waitcnt vmcnt(0)
	v_addc_co_u32_e32 v5, vcc, 0, v2, vcc
	v_mul_lo_u32 v6, v1, s22
	v_mul_lo_u32 v7, v0, s23
	v_mad_u64_u32 v[2:3], s[4:5], v0, s22, 0
	v_add3_u32 v3, v3, v7, v6
	v_mul_lo_u32 v6, v1, s28
	v_mul_lo_u32 v7, v0, s29
	v_mad_u64_u32 v[8:9], s[4:5], v0, s28, 0
	v_lshlrev_b64 v[2:3], 3, v[2:3]
	v_add3_u32 v9, v9, v7, v6
	v_mov_b32_e32 v7, s7
	v_add_co_u32_e64 v6, s[4:5], s6, v2
	v_addc_co_u32_e64 v7, s[4:5], v7, v3, s[4:5]
	v_lshlrev_b64 v[2:3], 3, v[8:9]
	v_mov_b32_e32 v9, s30
	v_add_co_u32_e64 v8, s[4:5], s11, v2
	v_cmp_gt_i64_e32 vcc, s[12:13], v[4:5]
	v_addc_co_u32_e64 v9, s[4:5], v9, v3, s[4:5]
	v_lshlrev_b64 v[2:3], 3, v[4:5]
	s_and_saveexec_b64 s[6:7], vcc
	s_cbranch_execz .LBB110_23
; %bb.22:
	v_add_co_u32_e64 v10, s[4:5], v6, v2
	v_addc_co_u32_e64 v11, s[4:5], v7, v3, s[4:5]
	global_load_dwordx2 v[10:11], v[10:11], off
	v_mul_f32_e32 v12, s19, v29
	v_mul_f32_e32 v13, s18, v29
	v_fma_f32 v12, v28, s18, -v12
	v_fmac_f32_e32 v13, s19, v28
	s_waitcnt vmcnt(0)
	v_mul_f32_e32 v14, s35, v11
	v_mul_f32_e32 v11, s34, v11
	v_fma_f32 v14, v10, s34, -v14
	v_fmac_f32_e32 v11, s35, v10
	v_add_f32_e32 v10, v12, v14
	v_add_co_u32_e64 v12, s[4:5], v8, v2
	v_add_f32_e32 v11, v13, v11
	v_addc_co_u32_e64 v13, s[4:5], v9, v3, s[4:5]
	global_store_dwordx2 v[12:13], v[10:11], off
.LBB110_23:
	s_or_b64 exec, exec, s[6:7]
	v_add_co_u32_e64 v4, s[4:5], 16, v4
	v_addc_co_u32_e64 v5, s[4:5], 0, v5, s[4:5]
	v_cmp_gt_i64_e64 s[4:5], s[12:13], v[4:5]
	s_and_saveexec_b64 s[8:9], s[4:5]
	s_cbranch_execz .LBB110_25
; %bb.24:
	v_add_co_u32_e64 v4, s[6:7], v6, v2
	buffer_load_dword v10, off, s[0:3], 0
	buffer_load_dword v11, off, s[0:3], 0 offset:4
	v_addc_co_u32_e64 v5, s[6:7], v7, v3, s[6:7]
	global_load_dwordx2 v[4:5], v[4:5], off offset:128
	s_waitcnt vmcnt(1)
	v_mul_f32_e32 v12, s19, v11
	v_mul_f32_e32 v11, s18, v11
	v_fma_f32 v12, v10, s18, -v12
	v_fmac_f32_e32 v11, s19, v10
	s_waitcnt vmcnt(0)
	v_mul_f32_e32 v10, s35, v5
	v_mul_f32_e32 v5, s34, v5
	v_fma_f32 v10, v4, s34, -v10
	v_fmac_f32_e32 v5, s35, v4
	v_add_f32_e32 v4, v12, v10
	v_add_co_u32_e64 v10, s[6:7], v8, v2
	v_add_f32_e32 v5, v11, v5
	v_addc_co_u32_e64 v11, s[6:7], v9, v3, s[6:7]
	global_store_dwordx2 v[10:11], v[4:5], off offset:128
.LBB110_25:
	s_or_b64 exec, exec, s[8:9]
	v_add_co_u32_e64 v0, s[6:7], 16, v0
	v_addc_co_u32_e64 v1, s[6:7], 0, v1, s[6:7]
	v_cmp_gt_i64_e64 s[6:7], s[14:15], v[0:1]
	s_and_b64 exec, exec, s[6:7]
	s_cbranch_execz .LBB110_30
; %bb.26:
	buffer_load_dword v10, off, s[0:3], 0 offset:16
	buffer_load_dword v11, off, s[0:3], 0 offset:20
	s_lshl_b64 s[6:7], s[22:23], 7
	v_mov_b32_e32 v0, s7
	v_add_co_u32_e64 v1, s[6:7], s6, v6
	v_addc_co_u32_e64 v0, s[6:7], v7, v0, s[6:7]
	s_lshl_b64 s[6:7], s[28:29], 7
	v_mov_b32_e32 v4, s7
	v_add_co_u32_e64 v6, s[6:7], s6, v8
	v_addc_co_u32_e64 v7, s[6:7], v9, v4, s[6:7]
	v_add_co_u32_e64 v4, s[6:7], v1, v2
	v_addc_co_u32_e64 v5, s[6:7], v0, v3, s[6:7]
	v_add_co_u32_e64 v0, s[6:7], v6, v2
	v_addc_co_u32_e64 v1, s[6:7], v7, v3, s[6:7]
	s_and_saveexec_b64 s[6:7], vcc
	s_cbranch_execz .LBB110_28
; %bb.27:
	buffer_load_dword v6, off, s[0:3], 0 offset:12
	buffer_load_dword v7, off, s[0:3], 0 offset:8
	global_load_dwordx2 v[2:3], v[4:5], off
	s_waitcnt vmcnt(2)
	v_mul_f32_e32 v8, s19, v6
	v_mul_f32_e32 v6, s18, v6
	s_waitcnt vmcnt(0)
	v_mul_f32_e32 v9, s35, v3
	v_mul_f32_e32 v3, s34, v3
	v_fma_f32 v8, v7, s18, -v8
	v_fmac_f32_e32 v6, s19, v7
	v_fma_f32 v7, v2, s34, -v9
	v_fmac_f32_e32 v3, s35, v2
	v_add_f32_e32 v2, v8, v7
	v_add_f32_e32 v3, v6, v3
	global_store_dwordx2 v[0:1], v[2:3], off
.LBB110_28:
	s_or_b64 exec, exec, s[6:7]
	s_and_b64 exec, exec, s[4:5]
	s_cbranch_execz .LBB110_30
; %bb.29:
	global_load_dwordx2 v[2:3], v[4:5], off offset:128
	s_waitcnt vmcnt(1)
	v_mul_f32_e32 v4, s19, v11
	v_mul_f32_e32 v5, s18, v11
	v_fma_f32 v4, v10, s18, -v4
	v_fmac_f32_e32 v5, s19, v10
	s_waitcnt vmcnt(0)
	v_mul_f32_e32 v6, s35, v3
	v_mul_f32_e32 v3, s34, v3
	v_fma_f32 v6, v2, s34, -v6
	v_fmac_f32_e32 v3, s35, v2
	v_add_f32_e32 v2, v4, v6
	v_add_f32_e32 v3, v5, v3
	global_store_dwordx2 v[0:1], v[2:3], off offset:128
.LBB110_30:
	s_endpgm
	.section	.rodata,"a",@progbits
	.p2align	6, 0x0
	.amdhsa_kernel _ZN12_GLOBAL__N_135rocblas_gemm_batched_general_kernelI19rocblas_complex_numIfELi16ELi16ELi32ELi32ELi8ELi32ELi8ELi8ELi32ELc84ELc84EKS2_S3_S2_EEvlllT_PT11_llS6_llS4_PT12_llPT13_lli
		.amdhsa_group_segment_fixed_size 4096
		.amdhsa_private_segment_fixed_size 32
		.amdhsa_kernarg_size 140
		.amdhsa_user_sgpr_count 8
		.amdhsa_user_sgpr_private_segment_buffer 1
		.amdhsa_user_sgpr_dispatch_ptr 0
		.amdhsa_user_sgpr_queue_ptr 0
		.amdhsa_user_sgpr_kernarg_segment_ptr 1
		.amdhsa_user_sgpr_dispatch_id 0
		.amdhsa_user_sgpr_flat_scratch_init 1
		.amdhsa_user_sgpr_kernarg_preload_length 0
		.amdhsa_user_sgpr_kernarg_preload_offset 0
		.amdhsa_user_sgpr_private_segment_size 0
		.amdhsa_uses_dynamic_stack 0
		.amdhsa_system_sgpr_private_segment_wavefront_offset 1
		.amdhsa_system_sgpr_workgroup_id_x 1
		.amdhsa_system_sgpr_workgroup_id_y 1
		.amdhsa_system_sgpr_workgroup_id_z 1
		.amdhsa_system_sgpr_workgroup_info 0
		.amdhsa_system_vgpr_workitem_id 1
		.amdhsa_next_free_vgpr 127
		.amdhsa_next_free_sgpr 44
		.amdhsa_accum_offset 128
		.amdhsa_reserve_vcc 1
		.amdhsa_reserve_flat_scratch 0
		.amdhsa_float_round_mode_32 0
		.amdhsa_float_round_mode_16_64 0
		.amdhsa_float_denorm_mode_32 3
		.amdhsa_float_denorm_mode_16_64 3
		.amdhsa_dx10_clamp 1
		.amdhsa_ieee_mode 1
		.amdhsa_fp16_overflow 0
		.amdhsa_tg_split 0
		.amdhsa_exception_fp_ieee_invalid_op 0
		.amdhsa_exception_fp_denorm_src 0
		.amdhsa_exception_fp_ieee_div_zero 0
		.amdhsa_exception_fp_ieee_overflow 0
		.amdhsa_exception_fp_ieee_underflow 0
		.amdhsa_exception_fp_ieee_inexact 0
		.amdhsa_exception_int_div_zero 0
	.end_amdhsa_kernel
	.section	.text._ZN12_GLOBAL__N_135rocblas_gemm_batched_general_kernelI19rocblas_complex_numIfELi16ELi16ELi32ELi32ELi8ELi32ELi8ELi8ELi32ELc84ELc84EKS2_S3_S2_EEvlllT_PT11_llS6_llS4_PT12_llPT13_lli,"axG",@progbits,_ZN12_GLOBAL__N_135rocblas_gemm_batched_general_kernelI19rocblas_complex_numIfELi16ELi16ELi32ELi32ELi8ELi32ELi8ELi8ELi32ELc84ELc84EKS2_S3_S2_EEvlllT_PT11_llS6_llS4_PT12_llPT13_lli,comdat
.Lfunc_end110:
	.size	_ZN12_GLOBAL__N_135rocblas_gemm_batched_general_kernelI19rocblas_complex_numIfELi16ELi16ELi32ELi32ELi8ELi32ELi8ELi8ELi32ELc84ELc84EKS2_S3_S2_EEvlllT_PT11_llS6_llS4_PT12_llPT13_lli, .Lfunc_end110-_ZN12_GLOBAL__N_135rocblas_gemm_batched_general_kernelI19rocblas_complex_numIfELi16ELi16ELi32ELi32ELi8ELi32ELi8ELi8ELi32ELc84ELc84EKS2_S3_S2_EEvlllT_PT11_llS6_llS4_PT12_llPT13_lli
                                        ; -- End function
	.section	.AMDGPU.csdata,"",@progbits
; Kernel info:
; codeLenInByte = 3700
; NumSgprs: 48
; NumVgprs: 127
; NumAgprs: 0
; TotalNumVgprs: 127
; ScratchSize: 32
; MemoryBound: 0
; FloatMode: 240
; IeeeMode: 1
; LDSByteSize: 4096 bytes/workgroup (compile time only)
; SGPRBlocks: 5
; VGPRBlocks: 15
; NumSGPRsForWavesPerEU: 48
; NumVGPRsForWavesPerEU: 127
; AccumOffset: 128
; Occupancy: 4
; WaveLimiterHint : 1
; COMPUTE_PGM_RSRC2:SCRATCH_EN: 1
; COMPUTE_PGM_RSRC2:USER_SGPR: 8
; COMPUTE_PGM_RSRC2:TRAP_HANDLER: 0
; COMPUTE_PGM_RSRC2:TGID_X_EN: 1
; COMPUTE_PGM_RSRC2:TGID_Y_EN: 1
; COMPUTE_PGM_RSRC2:TGID_Z_EN: 1
; COMPUTE_PGM_RSRC2:TIDIG_COMP_CNT: 1
; COMPUTE_PGM_RSRC3_GFX90A:ACCUM_OFFSET: 31
; COMPUTE_PGM_RSRC3_GFX90A:TG_SPLIT: 0
	.section	.text._ZN12_GLOBAL__N_135rocblas_gemm_batched_general_kernelI19rocblas_complex_numIfELi16ELi16ELi32ELi32ELi8ELi32ELi8ELi8ELi32ELc67ELc67EKS2_S3_S2_EEvlllT_PT11_llS6_llS4_PT12_llPT13_lli,"axG",@progbits,_ZN12_GLOBAL__N_135rocblas_gemm_batched_general_kernelI19rocblas_complex_numIfELi16ELi16ELi32ELi32ELi8ELi32ELi8ELi8ELi32ELc67ELc67EKS2_S3_S2_EEvlllT_PT11_llS6_llS4_PT12_llPT13_lli,comdat
	.globl	_ZN12_GLOBAL__N_135rocblas_gemm_batched_general_kernelI19rocblas_complex_numIfELi16ELi16ELi32ELi32ELi8ELi32ELi8ELi8ELi32ELc67ELc67EKS2_S3_S2_EEvlllT_PT11_llS6_llS4_PT12_llPT13_lli ; -- Begin function _ZN12_GLOBAL__N_135rocblas_gemm_batched_general_kernelI19rocblas_complex_numIfELi16ELi16ELi32ELi32ELi8ELi32ELi8ELi8ELi32ELc67ELc67EKS2_S3_S2_EEvlllT_PT11_llS6_llS4_PT12_llPT13_lli
	.p2align	8
	.type	_ZN12_GLOBAL__N_135rocblas_gemm_batched_general_kernelI19rocblas_complex_numIfELi16ELi16ELi32ELi32ELi8ELi32ELi8ELi8ELi32ELc67ELc67EKS2_S3_S2_EEvlllT_PT11_llS6_llS4_PT12_llPT13_lli,@function
_ZN12_GLOBAL__N_135rocblas_gemm_batched_general_kernelI19rocblas_complex_numIfELi16ELi16ELi32ELi32ELi8ELi32ELi8ELi8ELi32ELc67ELc67EKS2_S3_S2_EEvlllT_PT11_llS6_llS4_PT12_llPT13_lli: ; @_ZN12_GLOBAL__N_135rocblas_gemm_batched_general_kernelI19rocblas_complex_numIfELi16ELi16ELi32ELi32ELi8ELi32ELi8ELi8ELi32ELc67ELc67EKS2_S3_S2_EEvlllT_PT11_llS6_llS4_PT12_llPT13_lli
; %bb.0:
	s_load_dwordx16 s[12:27], s[4:5], 0x0
	s_load_dwordx2 s[34:35], s[4:5], 0x50
	s_add_u32 s0, s0, s11
	s_mov_b32 s40, s9
	s_addc_u32 s1, s1, 0
	s_ashr_i32 s9, s8, 31
	s_ashr_i32 s41, s40, 31
	s_waitcnt lgkmcnt(0)
	v_cmp_lt_i64_e64 s[6:7], s[16:17], 1
	v_and_b32_e32 v31, 0x3ff, v0
	v_bfe_u32 v33, v0, 10, 10
	v_mov_b32_e32 v78, 0
	s_lshl_b64 s[36:37], s[8:9], 5
	s_lshl_b64 s[38:39], s[40:41], 5
	s_and_b64 vcc, exec, s[6:7]
	buffer_store_dword v78, off, s[0:3], 0 offset:4
	buffer_store_dword v78, off, s[0:3], 0
	buffer_store_dword v78, off, s[0:3], 0 offset:12
	buffer_store_dword v78, off, s[0:3], 0 offset:8
	buffer_store_dword v78, off, s[0:3], 0 offset:20
	buffer_store_dword v78, off, s[0:3], 0 offset:16
	s_cbranch_vccnz .LBB111_11
; %bb.1:
	v_lshl_add_u32 v4, v33, 4, v31
	s_load_dwordx4 s[28:31], s[4:5], 0x40
	v_lshrrev_b32_e32 v5, 3, v4
	v_mov_b32_e32 v1, s39
	v_add_co_u32_e32 v0, vcc, s38, v5
	v_and_b32_e32 v32, 7, v31
	v_addc_co_u32_e32 v1, vcc, 0, v1, vcc
	v_cmp_gt_i64_e64 s[6:7], s[14:15], v[0:1]
	v_lshlrev_b32_e32 v0, 3, v32
	v_and_b32_e32 v6, 31, v4
	v_lshl_or_b32 v0, v5, 6, v0
	v_mov_b32_e32 v3, s37
	v_or_b32_e32 v2, s36, v6
	v_add_u32_e32 v80, 0x800, v0
	v_mov_b32_e32 v0, 0x800
	s_waitcnt lgkmcnt(0)
	s_mul_i32 s8, s31, s10
	s_mul_hi_u32 s9, s30, s10
	v_lshrrev_b32_e32 v30, 5, v4
	v_cmp_gt_i64_e32 vcc, s[12:13], v[2:3]
	v_lshlrev_b32_e32 v2, 3, v6
	v_lshl_add_u32 v82, v33, 6, v0
	s_add_i32 s9, s9, s8
	s_mul_i32 s8, s30, s10
	v_mad_u64_u32 v[0:1], s[30:31], s28, v32, 0
	v_lshl_or_b32 v79, v30, 8, v2
	v_mov_b32_e32 v2, v1
	v_mad_u64_u32 v[2:3], s[30:31], s29, v32, v[2:3]
	s_lshl_b64 s[8:9], s[8:9], 3
	s_lshl_b64 s[30:31], s[40:41], 8
	v_mov_b32_e32 v1, v2
	s_add_u32 s8, s30, s8
	v_lshlrev_b64 v[0:1], 3, v[0:1]
	s_addc_u32 s9, s31, s9
	v_mov_b32_e32 v2, s9
	v_add_co_u32_e64 v0, s[8:9], s8, v0
	v_addc_co_u32_e64 v1, s[8:9], v2, v1, s[8:9]
	v_and_b32_e32 v2, 0x7ff8, v4
	v_add_co_u32_e64 v0, s[8:9], v0, v2
	v_addc_co_u32_e64 v1, s[8:9], 0, v1, s[8:9]
	v_mov_b32_e32 v2, s27
	v_add_co_u32_e64 v0, s[8:9], s26, v0
	v_addc_co_u32_e64 v1, s[8:9], v1, v2, s[8:9]
	v_add_co_u32_e64 v34, s[8:9], 4, v0
	v_addc_co_u32_e64 v35, s[8:9], 0, v1, s[8:9]
	v_mov_b32_e32 v0, s37
	v_add_co_u32_e64 v1, s[8:9], s36, v6
	v_addc_co_u32_e64 v0, s[8:9], 0, v0, s[8:9]
	v_mul_lo_u32 v2, s23, v1
	v_mul_lo_u32 v3, s22, v0
	v_mad_u64_u32 v[0:1], s[8:9], s22, v1, 0
	s_mul_i32 s8, s25, s10
	s_mul_hi_u32 s9, s24, s10
	v_add3_u32 v1, v1, v3, v2
	s_add_i32 s9, s9, s8
	s_mul_i32 s8, s24, s10
	v_lshlrev_b64 v[0:1], 3, v[0:1]
	s_lshl_b64 s[8:9], s[8:9], 3
	v_mov_b32_e32 v2, s9
	v_add_co_u32_e64 v0, s[8:9], s8, v0
	v_addc_co_u32_e64 v1, s[8:9], v1, v2, s[8:9]
	v_lshlrev_b32_e32 v2, 3, v30
	v_add_co_u32_e64 v0, s[8:9], v0, v2
	v_addc_co_u32_e64 v1, s[8:9], 0, v1, s[8:9]
	v_mov_b32_e32 v2, s21
	v_add_co_u32_e64 v0, s[8:9], s20, v0
	v_addc_co_u32_e64 v1, s[8:9], v1, v2, s[8:9]
	v_add_co_u32_e64 v36, s[8:9], 4, v0
	v_mov_b32_e32 v28, 0
	v_addc_co_u32_e64 v37, s[8:9], 0, v1, s[8:9]
	v_lshlrev_b32_e32 v81, 3, v31
	s_lshl_b64 s[26:27], s[28:29], 6
	s_mov_b64 s[8:9], 0
	s_xor_b64 s[20:21], vcc, -1
	s_xor_b64 s[6:7], s[6:7], -1
	v_mov_b32_e32 v29, v28
	s_branch .LBB111_3
.LBB111_2:                              ;   in Loop: Header=BB111_3 Depth=1
	s_or_b64 exec, exec, s[22:23]
	ds_write_b32 v80, v0 offset:4
	s_waitcnt lgkmcnt(0)
	s_barrier
	ds_read2_b64 v[12:15], v81 offset0:32 offset1:48
	ds_read2_b64 v[16:19], v81 offset0:64 offset1:80
	;; [unrolled: 1-line block ×3, first 2 shown]
	ds_read_b128 v[4:7], v82
	ds_read_b128 v[0:3], v82 offset:16
	ds_read_b128 v[84:87], v82 offset:1024
	;; [unrolled: 1-line block ×3, first 2 shown]
	s_waitcnt lgkmcnt(6)
	v_mov_b32_e32 v49, v12
	s_waitcnt lgkmcnt(3)
	v_pk_mul_f32 v[20:21], v[6:7], v[12:13] op_sel:[0,1]
	v_pk_fma_f32 v[40:41], v[6:7], v[12:13], v[20:21] op_sel:[0,0,1] op_sel_hi:[1,0,0] neg_lo:[0,0,1] neg_hi:[0,0,1]
	v_pk_fma_f32 v[42:43], v[6:7], v[12:13], v[20:21] op_sel:[0,0,1] op_sel_hi:[1,0,0]
	v_mul_f32_e32 v12, v6, v14
	v_mov_b32_e32 v53, v13
	v_mov_b32_e32 v54, v13
	v_fma_f32 v83, -v7, v15, v12
	s_waitcnt lgkmcnt(2)
	v_pk_mul_f32 v[12:13], v[0:1], v[16:17] op_sel:[0,1]
	v_pk_fma_f32 v[56:57], v[0:1], v[16:17], v[12:13] op_sel:[0,0,1] op_sel_hi:[1,0,0] neg_lo:[0,0,1] neg_hi:[0,0,1]
	v_pk_fma_f32 v[58:59], v[0:1], v[16:17], v[12:13] op_sel:[0,0,1] op_sel_hi:[1,0,0]
	v_mul_f32_e32 v12, v0, v18
	v_fma_f32 v58, -v1, v19, v12
	v_pk_mul_f32 v[12:13], v[2:3], v[8:9] op_sel:[0,1]
	v_mov_b32_e32 v39, v8
	v_pk_fma_f32 v[64:65], v[2:3], v[8:9], v[12:13] op_sel:[0,0,1] op_sel_hi:[1,0,0] neg_lo:[0,0,1] neg_hi:[0,0,1]
	v_pk_fma_f32 v[66:67], v[2:3], v[8:9], v[12:13] op_sel:[0,0,1] op_sel_hi:[1,0,0]
	v_mul_f32_e32 v8, v2, v10
	s_waitcnt lgkmcnt(0)
	v_mul_f32_e32 v124, v27, v10
	v_mov_b32_e32 v38, v10
	v_mov_b32_e32 v96, v11
	;; [unrolled: 1-line block ×5, first 2 shown]
	ds_read2_b64 v[70:73], v81 offset0:128 offset1:144
	v_fma_f32 v66, -v3, v11, v8
	v_fmac_f32_e32 v124, v26, v11
	ds_read_b128 v[8:11], v82 offset:32
	ds_read_b128 v[20:23], v82 offset:1056
	v_mul_f32_e32 v123, v25, v18
	ds_read2_b64 v[88:91], v81 offset0:160 offset1:176
	v_mov_b32_e32 v44, v18
	v_mov_b32_e32 v45, v16
	;; [unrolled: 1-line block ×6, first 2 shown]
	v_fmac_f32_e32 v123, v24, v19
	ds_read_b128 v[16:19], v82 offset:48
	ds_read2_b64 v[92:95], v81 offset0:192 offset1:208
	s_waitcnt lgkmcnt(4)
	v_pk_mul_f32 v[12:13], v[8:9], v[70:71] op_sel:[0,1]
	v_mul_f32_e32 v122, v87, v14
	v_pk_fma_f32 v[100:101], v[8:9], v[70:71], v[12:13] op_sel:[0,0,1] op_sel_hi:[1,0,0] neg_lo:[0,0,1] neg_hi:[0,0,1]
	v_pk_fma_f32 v[102:103], v[8:9], v[70:71], v[12:13] op_sel:[0,0,1] op_sel_hi:[1,0,0]
	v_mul_f32_e32 v12, v8, v72
	v_mov_b32_e32 v48, v14
	v_mov_b32_e32 v52, v15
	;; [unrolled: 1-line block ×3, first 2 shown]
	v_fmac_f32_e32 v122, v86, v15
	v_fma_f32 v102, -v9, v73, v12
	ds_read_b128 v[12:15], v82 offset:1072
	s_waitcnt lgkmcnt(4)
	v_mul_f32_e32 v125, v21, v72
	v_mov_b32_e32 v60, v72
	v_mov_b32_e32 v68, v73
	v_mov_b32_e32 v63, v73
	v_fmac_f32_e32 v125, v20, v73
	s_waitcnt lgkmcnt(3)
	v_pk_mul_f32 v[72:73], v[10:11], v[88:89] op_sel:[0,1]
	v_mov_b32_e32 v69, v71
	v_mov_b32_e32 v62, v71
	;; [unrolled: 1-line block ×5, first 2 shown]
	v_pk_fma_f32 v[106:107], v[10:11], v[88:89], v[72:73] op_sel:[0,0,1] op_sel_hi:[1,0,0] neg_lo:[0,0,1] neg_hi:[0,0,1]
	v_pk_fma_f32 v[108:109], v[10:11], v[88:89], v[72:73] op_sel:[0,0,1] op_sel_hi:[1,0,0]
	v_mul_f32_e32 v41, v10, v90
	v_mul_f32_e32 v126, v23, v90
	s_waitcnt lgkmcnt(1)
	v_pk_mul_f32 v[88:89], v[16:17], v[92:93] op_sel:[0,1]
	v_mov_b32_e32 v61, v70
	v_mov_b32_e32 v70, v90
	v_mov_b32_e32 v74, v91
	v_mov_b32_e32 v105, v91
	v_fma_f32 v108, -v11, v91, v41
	v_fmac_f32_e32 v126, v22, v91
	v_mov_b32_e32 v73, v92
	v_mov_b32_e32 v77, v93
	;; [unrolled: 1-line block ×3, first 2 shown]
	v_pk_fma_f32 v[112:113], v[16:17], v[92:93], v[88:89] op_sel:[0,0,1] op_sel_hi:[1,0,0] neg_lo:[0,0,1] neg_hi:[0,0,1]
	v_pk_fma_f32 v[92:93], v[16:17], v[92:93], v[88:89] op_sel:[0,0,1] op_sel_hi:[1,0,0]
	ds_read2_b64 v[88:91], v81 offset1:16
	v_mul_f32_e32 v41, v16, v94
	s_waitcnt lgkmcnt(1)
	v_mul_f32_e32 v127, v13, v94
	v_mov_b32_e32 v72, v94
	v_mov_b32_e32 v76, v95
	;; [unrolled: 1-line block ×3, first 2 shown]
	v_fma_f32 v92, -v17, v95, v41
	v_fmac_f32_e32 v127, v12, v95
	s_waitcnt lgkmcnt(0)
	v_mov_b32_e32 v94, v91
	v_mov_b32_e32 v95, v89
	;; [unrolled: 1-line block ×4, first 2 shown]
	v_pk_mul_f32 v[118:119], v[4:5], v[88:89] op_sel:[0,1]
	v_pk_mul_f32 v[94:95], v[114:115], v[94:95]
	v_mov_b32_e32 v115, v88
	v_mov_b32_e32 v116, v89
	v_pk_fma_f32 v[120:121], v[4:5], v[88:89], v[118:119] op_sel:[0,0,1] op_sel_hi:[1,0,0] neg_lo:[0,0,1] neg_hi:[0,0,1]
	v_pk_fma_f32 v[88:89], v[4:5], v[88:89], v[118:119] op_sel:[0,0,1] op_sel_hi:[1,0,0]
	v_mul_f32_e32 v4, v4, v90
	v_fma_f32 v88, -v5, v91, v4
	v_mul_f32_e32 v118, v85, v90
	v_mov_b32_e32 v4, v5
	v_mov_b32_e32 v114, v90
	;; [unrolled: 1-line block ×3, first 2 shown]
	v_fmac_f32_e32 v118, v84, v91
	v_pk_fma_f32 v[90:91], v[4:5], v[90:91], v[94:95]
	v_mov_b32_e32 v5, v84
	v_pk_fma_f32 v[4:5], v[4:5], v[114:115], v[94:95] neg_lo:[0,0,1] neg_hi:[0,0,1]
	v_pk_mul_f32 v[94:95], v[84:85], v[114:115]
	v_pk_fma_f32 v[114:115], v[84:85], v[116:117], v[94:95] op_sel:[0,0,1] op_sel_hi:[1,1,0]
	v_pk_fma_f32 v[84:85], v[84:85], v[116:117], v[94:95] op_sel:[0,0,1] op_sel_hi:[1,1,0] neg_lo:[1,0,0] neg_hi:[1,0,0]
	v_pk_mul_f32 v[94:95], v[86:87], v[48:49]
	v_pk_fma_f32 v[116:117], v[86:87], v[54:55], v[94:95] op_sel:[0,0,1] op_sel_hi:[1,1,0]
	v_pk_fma_f32 v[54:55], v[86:87], v[54:55], v[94:95] op_sel:[0,0,1] op_sel_hi:[1,1,0] neg_lo:[1,0,0] neg_hi:[1,0,0]
	v_mov_b32_e32 v95, v86
	v_mov_b32_e32 v86, v6
	v_mov_b32_e32 v94, v7
	v_mov_b32_e32 v4, v7
	v_pk_mul_f32 v[6:7], v[86:87], v[52:53]
	v_pk_fma_f32 v[52:53], v[4:5], v[48:49], v[6:7]
	v_pk_fma_f32 v[6:7], v[94:95], v[48:49], v[6:7] neg_lo:[0,0,1] neg_hi:[0,0,1]
	buffer_load_dword v94, off, s[0:3], 0 offset:12
	buffer_load_dword v95, off, s[0:3], 0 offset:16
	buffer_load_dword v6, off, s[0:3], 0
	v_mov_b32_e32 v48, v0
	v_mov_b32_e32 v49, v25
	v_pk_mul_f32 v[48:49], v[48:49], v[50:51]
	v_mov_b32_e32 v0, v1
	v_mov_b32_e32 v50, v1
	;; [unrolled: 1-line block ×3, first 2 shown]
	v_pk_fma_f32 v[86:87], v[0:1], v[44:45], v[48:49]
	v_pk_mul_f32 v[0:1], v[24:25], v[44:45]
	v_pk_fma_f32 v[48:49], v[50:51], v[44:45], v[48:49] neg_lo:[0,0,1] neg_hi:[0,0,1]
	v_pk_fma_f32 v[44:45], v[24:25], v[46:47], v[0:1] op_sel:[0,0,1] op_sel_hi:[1,1,0]
	v_pk_fma_f32 v[24:25], v[24:25], v[46:47], v[0:1] op_sel:[0,0,1] op_sel_hi:[1,1,0] neg_lo:[1,0,0] neg_hi:[1,0,0]
	v_pk_mul_f32 v[0:1], v[26:27], v[38:39]
	v_pk_fma_f32 v[46:47], v[26:27], v[98:99], v[0:1] op_sel:[0,0,1] op_sel_hi:[1,1,0]
	v_pk_fma_f32 v[50:51], v[26:27], v[98:99], v[0:1] op_sel:[0,0,1] op_sel_hi:[1,1,0] neg_lo:[1,0,0] neg_hi:[1,0,0]
	v_mov_b32_e32 v1, v27
	v_mov_b32_e32 v0, v2
	;; [unrolled: 1-line block ×4, first 2 shown]
	v_pk_mul_f32 v[0:1], v[0:1], v[96:97]
	v_mov_b32_e32 v2, v3
	v_pk_fma_f32 v[26:27], v[26:27], v[38:39], v[0:1] neg_lo:[0,0,1] neg_hi:[0,0,1]
	v_pk_fma_f32 v[96:97], v[2:3], v[38:39], v[0:1]
	buffer_load_dword v26, off, s[0:3], 0 offset:20
	buffer_load_dword v38, off, s[0:3], 0 offset:4
	;; [unrolled: 1-line block ×3, first 2 shown]
	v_mov_b32_e32 v121, v89
	v_pk_add_f32 v[0:1], v[28:29], v[120:121]
	v_mov_b32_e32 v41, v43
	v_pk_add_f32 v[0:1], v[0:1], v[40:41]
	;; [unrolled: 2-line block ×5, first 2 shown]
	ds_read2_b64 v[0:3], v81 offset0:224 offset1:240
	v_mov_b32_e32 v115, v85
	v_mov_b32_e32 v117, v55
	;; [unrolled: 1-line block ×4, first 2 shown]
	s_waitcnt lgkmcnt(0)
	v_pk_mul_f32 v[40:41], v[18:19], v[0:1] op_sel:[0,1]
	v_pk_fma_f32 v[42:43], v[18:19], v[0:1], v[40:41] op_sel:[0,0,1] op_sel_hi:[1,0,0] neg_lo:[0,0,1] neg_hi:[0,0,1]
	v_pk_fma_f32 v[40:41], v[18:19], v[0:1], v[40:41] op_sel:[0,0,1] op_sel_hi:[1,0,0]
	v_mov_b32_e32 v43, v41
	v_pk_add_f32 v[28:29], v[28:29], v[106:107]
	v_mov_b32_e32 v113, v93
	v_pk_add_f32 v[28:29], v[28:29], v[112:113]
	;; [unrolled: 2-line block ×3, first 2 shown]
	v_mov_b32_e32 v42, v9
	v_mov_b32_e32 v91, v5
	;; [unrolled: 1-line block ×7, first 2 shown]
	v_add_co_u32_e32 v34, vcc, s26, v34
	s_add_u32 s8, s8, 8
	s_addc_u32 s9, s9, 0
	s_waitcnt vmcnt(4)
	v_pk_add_f32 v[40:41], v[94:95], v[114:115]
	v_pk_add_f32 v[40:41], v[40:41], v[116:117]
	;; [unrolled: 1-line block ×3, first 2 shown]
	v_mov_b32_e32 v40, v8
	v_mov_b32_e32 v41, v21
	v_pk_mul_f32 v[40:41], v[40:41], v[68:69]
	v_pk_fma_f32 v[8:9], v[4:5], v[60:61], v[40:41]
	s_waitcnt vmcnt(3)
	v_add_f32_e32 v4, v6, v88
	v_add_f32_e32 v4, v4, v83
	;; [unrolled: 1-line block ×6, first 2 shown]
	v_mul_f32_e32 v5, v18, v2
	v_add_f32_e32 v4, v4, v92
	v_fma_f32 v5, -v19, v3, v5
	v_pk_fma_f32 v[40:41], v[42:43], v[60:61], v[40:41] neg_lo:[0,0,1] neg_hi:[0,0,1]
	v_pk_mul_f32 v[42:43], v[20:21], v[60:61]
	v_add_f32_e32 v4, v4, v5
	v_pk_fma_f32 v[44:45], v[20:21], v[62:63], v[42:43] op_sel:[0,0,1] op_sel_hi:[1,1,0]
	v_pk_fma_f32 v[20:21], v[20:21], v[62:63], v[42:43] op_sel:[0,0,1] op_sel_hi:[1,1,0] neg_lo:[1,0,0] neg_hi:[1,0,0]
	buffer_store_dword v4, off, s[0:3], 0
	s_waitcnt vmcnt(3)
	v_add_f32_e32 v4, v26, v118
	v_pk_add_f32 v[24:25], v[24:25], v[46:47]
	v_mov_b32_e32 v45, v21
	v_add_f32_e32 v4, v4, v122
	v_pk_add_f32 v[20:21], v[24:25], v[44:45]
	v_pk_mul_f32 v[24:25], v[22:23], v[70:71]
	v_add_f32_e32 v4, v4, v123
	v_pk_fma_f32 v[42:43], v[22:23], v[104:105], v[24:25] op_sel:[0,0,1] op_sel_hi:[1,1,0]
	v_pk_fma_f32 v[24:25], v[22:23], v[104:105], v[24:25] op_sel:[0,0,1] op_sel_hi:[1,1,0] neg_lo:[1,0,0] neg_hi:[1,0,0]
	v_add_f32_e32 v4, v4, v124
	v_mov_b32_e32 v43, v25
	v_pk_mul_f32 v[24:25], v[12:13], v[72:73]
	v_add_f32_e32 v4, v4, v125
	v_pk_add_f32 v[20:21], v[20:21], v[42:43]
	v_pk_fma_f32 v[42:43], v[12:13], v[110:111], v[24:25] op_sel:[0,0,1] op_sel_hi:[1,1,0]
	v_pk_fma_f32 v[24:25], v[12:13], v[110:111], v[24:25] op_sel:[0,0,1] op_sel_hi:[1,1,0] neg_lo:[1,0,0] neg_hi:[1,0,0]
	v_add_f32_e32 v4, v4, v126
	v_mov_b32_e32 v43, v25
	v_add_f32_e32 v25, v4, v127
	s_waitcnt vmcnt(1)
	v_pk_add_f32 v[4:5], v[38:39], v[90:91]
	v_pk_add_f32 v[4:5], v[4:5], v[52:53]
	;; [unrolled: 1-line block ×4, first 2 shown]
	v_mov_b32_e32 v9, v41
	v_pk_add_f32 v[4:5], v[4:5], v[8:9]
	v_mov_b32_e32 v8, v10
	v_mov_b32_e32 v9, v23
	;; [unrolled: 1-line block ×3, first 2 shown]
	v_pk_mul_f32 v[8:9], v[8:9], v[74:75]
	v_mov_b32_e32 v10, v11
	v_mov_b32_e32 v11, v22
	v_pk_fma_f32 v[6:7], v[6:7], v[70:71], v[8:9]
	v_pk_fma_f32 v[8:9], v[10:11], v[70:71], v[8:9] neg_lo:[0,0,1] neg_hi:[0,0,1]
	v_mov_b32_e32 v7, v9
	v_pk_add_f32 v[4:5], v[4:5], v[6:7]
	v_mov_b32_e32 v6, v16
	v_mov_b32_e32 v7, v13
	;; [unrolled: 1-line block ×3, first 2 shown]
	v_pk_mul_f32 v[6:7], v[6:7], v[76:77]
	v_mov_b32_e32 v8, v17
	v_mov_b32_e32 v9, v12
	v_pk_fma_f32 v[10:11], v[24:25], v[72:73], v[6:7]
	v_pk_fma_f32 v[6:7], v[8:9], v[72:73], v[6:7] neg_lo:[0,0,1] neg_hi:[0,0,1]
	v_mov_b32_e32 v38, v3
	v_mov_b32_e32 v39, v1
	v_mov_b32_e32 v45, v0
	v_mov_b32_e32 v0, v19
	v_mov_b32_e32 v6, v19
	v_mov_b32_e32 v19, v15
	v_mov_b32_e32 v44, v2
	v_mov_b32_e32 v11, v7
	v_mov_b32_e32 v7, v14
	v_pk_mul_f32 v[8:9], v[18:19], v[38:39]
	v_pk_add_f32 v[20:21], v[20:21], v[42:43]
	v_mov_b32_e32 v42, v1
	v_pk_fma_f32 v[0:1], v[0:1], v[44:45], v[8:9]
	v_pk_fma_f32 v[6:7], v[6:7], v[44:45], v[8:9] neg_lo:[0,0,1] neg_hi:[0,0,1]
	v_pk_add_f32 v[4:5], v[4:5], v[10:11]
	v_mov_b32_e32 v1, v7
	v_pk_add_f32 v[0:1], v[4:5], v[0:1]
	v_mov_b32_e32 v43, v3
	buffer_store_dword v1, off, s[0:3], 0 offset:8
	buffer_store_dword v0, off, s[0:3], 0 offset:4
	v_pk_mul_f32 v[0:1], v[14:15], v[44:45]
	v_pk_fma_f32 v[4:5], v[14:15], v[42:43], v[0:1] op_sel:[0,0,1] op_sel_hi:[1,1,0]
	v_pk_fma_f32 v[0:1], v[14:15], v[42:43], v[0:1] op_sel:[0,0,1] op_sel_hi:[1,1,0] neg_lo:[1,0,0] neg_hi:[1,0,0]
	v_mov_b32_e32 v5, v1
	v_mul_f32_e32 v2, v15, v2
	v_fmac_f32_e32 v2, v14, v3
	v_pk_add_f32 v[0:1], v[20:21], v[4:5]
	v_add_f32_e32 v2, v25, v2
	buffer_store_dword v0, off, s[0:3], 0 offset:12
	buffer_store_dword v1, off, s[0:3], 0 offset:16
	;; [unrolled: 1-line block ×3, first 2 shown]
	v_mov_b32_e32 v0, s27
	v_addc_co_u32_e32 v35, vcc, v35, v0, vcc
	v_add_co_u32_e32 v36, vcc, 64, v36
	v_addc_co_u32_e32 v37, vcc, 0, v37, vcc
	v_pk_mov_b32 v[0:1], s[16:17], s[16:17] op_sel:[0,1]
	v_cmp_lt_i64_e32 vcc, s[8:9], v[0:1]
	s_barrier
	s_cbranch_vccz .LBB111_12
.LBB111_3:                              ; =>This Inner Loop Header: Depth=1
	v_mov_b32_e32 v1, s9
	v_add_co_u32_e32 v0, vcc, s8, v30
	v_addc_co_u32_e32 v1, vcc, 0, v1, vcc
	v_cmp_le_i64_e32 vcc, s[16:17], v[0:1]
	s_or_b64 s[22:23], s[20:21], vcc
                                        ; implicit-def: $sgpr11
	s_and_saveexec_b64 s[24:25], s[22:23]
	s_xor_b64 s[22:23], exec, s[24:25]
	s_cbranch_execz .LBB111_5
; %bb.4:                                ;   in Loop: Header=BB111_3 Depth=1
	ds_write_b32 v79, v78
	s_mov_b32 s11, 0
.LBB111_5:                              ;   in Loop: Header=BB111_3 Depth=1
	s_or_saveexec_b64 s[22:23], s[22:23]
	v_mov_b32_e32 v0, s11
	s_xor_b64 exec, exec, s[22:23]
	s_cbranch_execz .LBB111_7
; %bb.6:                                ;   in Loop: Header=BB111_3 Depth=1
	global_load_dwordx2 v[2:3], v[36:37], off offset:-4
	s_waitcnt vmcnt(0)
	v_xor_b32_e32 v0, 0x80000000, v3
	ds_write_b32 v79, v2
.LBB111_7:                              ;   in Loop: Header=BB111_3 Depth=1
	s_or_b64 exec, exec, s[22:23]
	ds_write_b32 v79, v0 offset:4
	v_mov_b32_e32 v1, s9
	v_add_co_u32_e32 v0, vcc, s8, v32
	v_addc_co_u32_e32 v1, vcc, 0, v1, vcc
	v_cmp_le_i64_e32 vcc, s[16:17], v[0:1]
	s_or_b64 s[22:23], vcc, s[6:7]
                                        ; implicit-def: $sgpr11
	s_and_saveexec_b64 s[24:25], s[22:23]
	s_xor_b64 s[22:23], exec, s[24:25]
	s_cbranch_execz .LBB111_9
; %bb.8:                                ;   in Loop: Header=BB111_3 Depth=1
	ds_write_b32 v80, v78
	s_mov_b32 s11, 0
.LBB111_9:                              ;   in Loop: Header=BB111_3 Depth=1
	s_or_saveexec_b64 s[22:23], s[22:23]
	v_mov_b32_e32 v0, s11
	s_xor_b64 exec, exec, s[22:23]
	s_cbranch_execz .LBB111_2
; %bb.10:                               ;   in Loop: Header=BB111_3 Depth=1
	global_load_dwordx2 v[2:3], v[34:35], off offset:-4
	s_waitcnt vmcnt(0)
	v_xor_b32_e32 v0, 0x80000000, v3
	ds_write_b32 v80, v2
	s_branch .LBB111_2
.LBB111_11:
	v_mov_b32_e32 v29, 0
	v_mov_b32_e32 v28, v78
.LBB111_12:
	s_load_dwordx4 s[28:31], s[4:5], 0x78
	s_load_dwordx8 s[20:27], s[4:5], 0x58
	v_mov_b32_e32 v1, s39
	v_add_co_u32_e32 v0, vcc, s38, v33
	s_waitcnt lgkmcnt(0)
	s_mul_i32 s5, s10, s31
	s_mul_hi_u32 s6, s10, s30
	s_mul_i32 s4, s10, s30
	s_add_i32 s5, s6, s5
	s_lshl_b64 s[4:5], s[4:5], 3
	s_add_u32 s11, s26, s4
	s_addc_u32 s30, s27, s5
	s_or_b32 s4, s34, s35
	v_addc_co_u32_e32 v1, vcc, 0, v1, vcc
	s_bitset0_b32 s4, 31
	s_cmp_lg_u32 s4, 0
	v_cmp_gt_i64_e64 s[4:5], s[14:15], v[0:1]
	s_mov_b64 s[6:7], -1
	s_cbranch_scc1 .LBB111_24
; %bb.13:
	s_and_saveexec_b64 s[16:17], s[4:5]
	s_cbranch_execz .LBB111_23
; %bb.14:
	v_mov_b32_e32 v2, s37
	v_add_co_u32_e32 v4, vcc, s36, v31
	v_addc_co_u32_e32 v5, vcc, 0, v2, vcc
	v_mul_lo_u32 v6, v1, s28
	v_mul_lo_u32 v7, v0, s29
	v_mad_u64_u32 v[2:3], s[6:7], v0, s28, 0
	v_add3_u32 v3, v3, v7, v6
	v_lshlrev_b64 v[2:3], 3, v[2:3]
	v_mov_b32_e32 v7, s30
	v_add_co_u32_e64 v6, s[6:7], s11, v2
	v_cmp_gt_i64_e32 vcc, s[12:13], v[4:5]
	v_addc_co_u32_e64 v7, s[6:7], v7, v3, s[6:7]
	v_lshlrev_b64 v[2:3], 3, v[4:5]
	s_and_saveexec_b64 s[8:9], vcc
	s_cbranch_execz .LBB111_16
; %bb.15:
	v_mul_f32_e32 v8, s19, v29
	v_mul_f32_e32 v9, s18, v29
	v_add_co_u32_e64 v10, s[6:7], v6, v2
	v_fma_f32 v8, v28, s18, -v8
	v_fmac_f32_e32 v9, s19, v28
	v_addc_co_u32_e64 v11, s[6:7], v7, v3, s[6:7]
	global_store_dwordx2 v[10:11], v[8:9], off
.LBB111_16:
	s_or_b64 exec, exec, s[8:9]
	v_add_co_u32_e64 v4, s[6:7], 16, v4
	v_addc_co_u32_e64 v5, s[6:7], 0, v5, s[6:7]
	v_cmp_gt_i64_e64 s[6:7], s[12:13], v[4:5]
	s_and_saveexec_b64 s[26:27], s[6:7]
	s_cbranch_execz .LBB111_18
; %bb.17:
	buffer_load_dword v4, off, s[0:3], 0 offset:4
	buffer_load_dword v8, off, s[0:3], 0
	s_waitcnt vmcnt(1)
	v_mul_f32_e32 v9, s19, v4
	v_mul_f32_e32 v5, s18, v4
	s_waitcnt vmcnt(0)
	v_fma_f32 v4, v8, s18, -v9
	v_fmac_f32_e32 v5, s19, v8
	v_add_co_u32_e64 v8, s[8:9], v6, v2
	v_addc_co_u32_e64 v9, s[8:9], v7, v3, s[8:9]
	global_store_dwordx2 v[8:9], v[4:5], off offset:128
.LBB111_18:
	s_or_b64 exec, exec, s[26:27]
	v_add_co_u32_e64 v4, s[8:9], 16, v0
	v_addc_co_u32_e64 v5, s[8:9], 0, v1, s[8:9]
	v_cmp_gt_i64_e64 s[8:9], s[14:15], v[4:5]
	s_and_b64 exec, exec, s[8:9]
	s_cbranch_execz .LBB111_23
; %bb.19:
	buffer_load_dword v4, off, s[0:3], 0 offset:16
	buffer_load_dword v5, off, s[0:3], 0 offset:20
	s_lshl_b64 s[8:9], s[28:29], 7
	v_mov_b32_e32 v8, s9
	v_add_co_u32_e64 v6, s[8:9], s8, v6
	v_addc_co_u32_e64 v7, s[8:9], v7, v8, s[8:9]
	v_add_co_u32_e64 v2, s[8:9], v6, v2
	v_addc_co_u32_e64 v3, s[8:9], v7, v3, s[8:9]
	s_and_saveexec_b64 s[8:9], vcc
	s_cbranch_execz .LBB111_21
; %bb.20:
	buffer_load_dword v6, off, s[0:3], 0 offset:12
	buffer_load_dword v8, off, s[0:3], 0 offset:8
	s_waitcnt vmcnt(1)
	v_mul_f32_e32 v9, s19, v6
	v_mul_f32_e32 v7, s18, v6
	s_waitcnt vmcnt(0)
	v_fma_f32 v6, v8, s18, -v9
	v_fmac_f32_e32 v7, s19, v8
	global_store_dwordx2 v[2:3], v[6:7], off
.LBB111_21:
	s_or_b64 exec, exec, s[8:9]
	s_and_b64 exec, exec, s[6:7]
	s_cbranch_execz .LBB111_23
; %bb.22:
	s_waitcnt vmcnt(0)
	v_mul_f32_e32 v6, s19, v5
	v_mul_f32_e32 v7, s18, v5
	v_fma_f32 v6, v4, s18, -v6
	v_fmac_f32_e32 v7, s19, v4
	global_store_dwordx2 v[2:3], v[6:7], off offset:128
.LBB111_23:
	s_or_b64 exec, exec, s[16:17]
	s_mov_b64 s[6:7], 0
.LBB111_24:
	s_andn2_b64 vcc, exec, s[6:7]
	s_cbranch_vccnz .LBB111_35
; %bb.25:
	s_and_saveexec_b64 s[6:7], s[4:5]
	s_cbranch_execz .LBB111_35
; %bb.26:
	s_mul_i32 s4, s10, s25
	s_mul_hi_u32 s5, s10, s24
	s_add_i32 s5, s5, s4
	s_mul_i32 s4, s10, s24
	s_lshl_b64 s[4:5], s[4:5], 3
	s_add_u32 s6, s20, s4
	v_mov_b32_e32 v2, s37
	s_waitcnt vmcnt(1)
	v_add_co_u32_e32 v4, vcc, s36, v31
	s_addc_u32 s7, s21, s5
	s_waitcnt vmcnt(0)
	v_addc_co_u32_e32 v5, vcc, 0, v2, vcc
	v_mul_lo_u32 v6, v1, s22
	v_mul_lo_u32 v7, v0, s23
	v_mad_u64_u32 v[2:3], s[4:5], v0, s22, 0
	v_add3_u32 v3, v3, v7, v6
	v_mul_lo_u32 v6, v1, s28
	v_mul_lo_u32 v7, v0, s29
	v_mad_u64_u32 v[8:9], s[4:5], v0, s28, 0
	v_lshlrev_b64 v[2:3], 3, v[2:3]
	v_add3_u32 v9, v9, v7, v6
	v_mov_b32_e32 v7, s7
	v_add_co_u32_e64 v6, s[4:5], s6, v2
	v_addc_co_u32_e64 v7, s[4:5], v7, v3, s[4:5]
	v_lshlrev_b64 v[2:3], 3, v[8:9]
	v_mov_b32_e32 v9, s30
	v_add_co_u32_e64 v8, s[4:5], s11, v2
	v_cmp_gt_i64_e32 vcc, s[12:13], v[4:5]
	v_addc_co_u32_e64 v9, s[4:5], v9, v3, s[4:5]
	v_lshlrev_b64 v[2:3], 3, v[4:5]
	s_and_saveexec_b64 s[6:7], vcc
	s_cbranch_execz .LBB111_28
; %bb.27:
	v_add_co_u32_e64 v10, s[4:5], v6, v2
	v_addc_co_u32_e64 v11, s[4:5], v7, v3, s[4:5]
	global_load_dwordx2 v[10:11], v[10:11], off
	v_mul_f32_e32 v12, s19, v29
	v_mul_f32_e32 v13, s18, v29
	v_fma_f32 v12, v28, s18, -v12
	v_fmac_f32_e32 v13, s19, v28
	s_waitcnt vmcnt(0)
	v_mul_f32_e32 v14, s35, v11
	v_mul_f32_e32 v11, s34, v11
	v_fma_f32 v14, v10, s34, -v14
	v_fmac_f32_e32 v11, s35, v10
	v_add_f32_e32 v10, v12, v14
	v_add_co_u32_e64 v12, s[4:5], v8, v2
	v_add_f32_e32 v11, v13, v11
	v_addc_co_u32_e64 v13, s[4:5], v9, v3, s[4:5]
	global_store_dwordx2 v[12:13], v[10:11], off
.LBB111_28:
	s_or_b64 exec, exec, s[6:7]
	v_add_co_u32_e64 v4, s[4:5], 16, v4
	v_addc_co_u32_e64 v5, s[4:5], 0, v5, s[4:5]
	v_cmp_gt_i64_e64 s[4:5], s[12:13], v[4:5]
	s_and_saveexec_b64 s[8:9], s[4:5]
	s_cbranch_execz .LBB111_30
; %bb.29:
	v_add_co_u32_e64 v4, s[6:7], v6, v2
	buffer_load_dword v10, off, s[0:3], 0
	buffer_load_dword v11, off, s[0:3], 0 offset:4
	v_addc_co_u32_e64 v5, s[6:7], v7, v3, s[6:7]
	global_load_dwordx2 v[4:5], v[4:5], off offset:128
	s_waitcnt vmcnt(1)
	v_mul_f32_e32 v12, s19, v11
	v_mul_f32_e32 v11, s18, v11
	v_fma_f32 v12, v10, s18, -v12
	v_fmac_f32_e32 v11, s19, v10
	s_waitcnt vmcnt(0)
	v_mul_f32_e32 v10, s35, v5
	v_mul_f32_e32 v5, s34, v5
	v_fma_f32 v10, v4, s34, -v10
	v_fmac_f32_e32 v5, s35, v4
	v_add_f32_e32 v4, v12, v10
	v_add_co_u32_e64 v10, s[6:7], v8, v2
	v_add_f32_e32 v5, v11, v5
	v_addc_co_u32_e64 v11, s[6:7], v9, v3, s[6:7]
	global_store_dwordx2 v[10:11], v[4:5], off offset:128
.LBB111_30:
	s_or_b64 exec, exec, s[8:9]
	v_add_co_u32_e64 v0, s[6:7], 16, v0
	v_addc_co_u32_e64 v1, s[6:7], 0, v1, s[6:7]
	v_cmp_gt_i64_e64 s[6:7], s[14:15], v[0:1]
	s_and_b64 exec, exec, s[6:7]
	s_cbranch_execz .LBB111_35
; %bb.31:
	buffer_load_dword v10, off, s[0:3], 0 offset:16
	buffer_load_dword v11, off, s[0:3], 0 offset:20
	s_lshl_b64 s[6:7], s[22:23], 7
	v_mov_b32_e32 v0, s7
	v_add_co_u32_e64 v1, s[6:7], s6, v6
	v_addc_co_u32_e64 v0, s[6:7], v7, v0, s[6:7]
	s_lshl_b64 s[6:7], s[28:29], 7
	v_mov_b32_e32 v4, s7
	v_add_co_u32_e64 v6, s[6:7], s6, v8
	v_addc_co_u32_e64 v7, s[6:7], v9, v4, s[6:7]
	v_add_co_u32_e64 v4, s[6:7], v1, v2
	v_addc_co_u32_e64 v5, s[6:7], v0, v3, s[6:7]
	;; [unrolled: 2-line block ×3, first 2 shown]
	s_and_saveexec_b64 s[6:7], vcc
	s_cbranch_execz .LBB111_33
; %bb.32:
	buffer_load_dword v6, off, s[0:3], 0 offset:12
	buffer_load_dword v7, off, s[0:3], 0 offset:8
	global_load_dwordx2 v[2:3], v[4:5], off
	s_waitcnt vmcnt(2)
	v_mul_f32_e32 v8, s19, v6
	v_mul_f32_e32 v6, s18, v6
	s_waitcnt vmcnt(0)
	v_mul_f32_e32 v9, s35, v3
	v_mul_f32_e32 v3, s34, v3
	v_fma_f32 v8, v7, s18, -v8
	v_fmac_f32_e32 v6, s19, v7
	v_fma_f32 v7, v2, s34, -v9
	v_fmac_f32_e32 v3, s35, v2
	v_add_f32_e32 v2, v8, v7
	v_add_f32_e32 v3, v6, v3
	global_store_dwordx2 v[0:1], v[2:3], off
.LBB111_33:
	s_or_b64 exec, exec, s[6:7]
	s_and_b64 exec, exec, s[4:5]
	s_cbranch_execz .LBB111_35
; %bb.34:
	global_load_dwordx2 v[2:3], v[4:5], off offset:128
	s_waitcnt vmcnt(1)
	v_mul_f32_e32 v4, s19, v11
	v_mul_f32_e32 v5, s18, v11
	v_fma_f32 v4, v10, s18, -v4
	v_fmac_f32_e32 v5, s19, v10
	s_waitcnt vmcnt(0)
	v_mul_f32_e32 v6, s35, v3
	v_mul_f32_e32 v3, s34, v3
	v_fma_f32 v6, v2, s34, -v6
	v_fmac_f32_e32 v3, s35, v2
	v_add_f32_e32 v2, v4, v6
	v_add_f32_e32 v3, v5, v3
	global_store_dwordx2 v[0:1], v[2:3], off offset:128
.LBB111_35:
	s_endpgm
	.section	.rodata,"a",@progbits
	.p2align	6, 0x0
	.amdhsa_kernel _ZN12_GLOBAL__N_135rocblas_gemm_batched_general_kernelI19rocblas_complex_numIfELi16ELi16ELi32ELi32ELi8ELi32ELi8ELi8ELi32ELc67ELc67EKS2_S3_S2_EEvlllT_PT11_llS6_llS4_PT12_llPT13_lli
		.amdhsa_group_segment_fixed_size 4096
		.amdhsa_private_segment_fixed_size 32
		.amdhsa_kernarg_size 140
		.amdhsa_user_sgpr_count 8
		.amdhsa_user_sgpr_private_segment_buffer 1
		.amdhsa_user_sgpr_dispatch_ptr 0
		.amdhsa_user_sgpr_queue_ptr 0
		.amdhsa_user_sgpr_kernarg_segment_ptr 1
		.amdhsa_user_sgpr_dispatch_id 0
		.amdhsa_user_sgpr_flat_scratch_init 1
		.amdhsa_user_sgpr_kernarg_preload_length 0
		.amdhsa_user_sgpr_kernarg_preload_offset 0
		.amdhsa_user_sgpr_private_segment_size 0
		.amdhsa_uses_dynamic_stack 0
		.amdhsa_system_sgpr_private_segment_wavefront_offset 1
		.amdhsa_system_sgpr_workgroup_id_x 1
		.amdhsa_system_sgpr_workgroup_id_y 1
		.amdhsa_system_sgpr_workgroup_id_z 1
		.amdhsa_system_sgpr_workgroup_info 0
		.amdhsa_system_vgpr_workitem_id 1
		.amdhsa_next_free_vgpr 128
		.amdhsa_next_free_sgpr 42
		.amdhsa_accum_offset 128
		.amdhsa_reserve_vcc 1
		.amdhsa_reserve_flat_scratch 0
		.amdhsa_float_round_mode_32 0
		.amdhsa_float_round_mode_16_64 0
		.amdhsa_float_denorm_mode_32 3
		.amdhsa_float_denorm_mode_16_64 3
		.amdhsa_dx10_clamp 1
		.amdhsa_ieee_mode 1
		.amdhsa_fp16_overflow 0
		.amdhsa_tg_split 0
		.amdhsa_exception_fp_ieee_invalid_op 0
		.amdhsa_exception_fp_denorm_src 0
		.amdhsa_exception_fp_ieee_div_zero 0
		.amdhsa_exception_fp_ieee_overflow 0
		.amdhsa_exception_fp_ieee_underflow 0
		.amdhsa_exception_fp_ieee_inexact 0
		.amdhsa_exception_int_div_zero 0
	.end_amdhsa_kernel
	.section	.text._ZN12_GLOBAL__N_135rocblas_gemm_batched_general_kernelI19rocblas_complex_numIfELi16ELi16ELi32ELi32ELi8ELi32ELi8ELi8ELi32ELc67ELc67EKS2_S3_S2_EEvlllT_PT11_llS6_llS4_PT12_llPT13_lli,"axG",@progbits,_ZN12_GLOBAL__N_135rocblas_gemm_batched_general_kernelI19rocblas_complex_numIfELi16ELi16ELi32ELi32ELi8ELi32ELi8ELi8ELi32ELc67ELc67EKS2_S3_S2_EEvlllT_PT11_llS6_llS4_PT12_llPT13_lli,comdat
.Lfunc_end111:
	.size	_ZN12_GLOBAL__N_135rocblas_gemm_batched_general_kernelI19rocblas_complex_numIfELi16ELi16ELi32ELi32ELi8ELi32ELi8ELi8ELi32ELc67ELc67EKS2_S3_S2_EEvlllT_PT11_llS6_llS4_PT12_llPT13_lli, .Lfunc_end111-_ZN12_GLOBAL__N_135rocblas_gemm_batched_general_kernelI19rocblas_complex_numIfELi16ELi16ELi32ELi32ELi8ELi32ELi8ELi8ELi32ELc67ELc67EKS2_S3_S2_EEvlllT_PT11_llS6_llS4_PT12_llPT13_lli
                                        ; -- End function
	.section	.AMDGPU.csdata,"",@progbits
; Kernel info:
; codeLenInByte = 3876
; NumSgprs: 46
; NumVgprs: 128
; NumAgprs: 0
; TotalNumVgprs: 128
; ScratchSize: 32
; MemoryBound: 0
; FloatMode: 240
; IeeeMode: 1
; LDSByteSize: 4096 bytes/workgroup (compile time only)
; SGPRBlocks: 5
; VGPRBlocks: 15
; NumSGPRsForWavesPerEU: 46
; NumVGPRsForWavesPerEU: 128
; AccumOffset: 128
; Occupancy: 4
; WaveLimiterHint : 1
; COMPUTE_PGM_RSRC2:SCRATCH_EN: 1
; COMPUTE_PGM_RSRC2:USER_SGPR: 8
; COMPUTE_PGM_RSRC2:TRAP_HANDLER: 0
; COMPUTE_PGM_RSRC2:TGID_X_EN: 1
; COMPUTE_PGM_RSRC2:TGID_Y_EN: 1
; COMPUTE_PGM_RSRC2:TGID_Z_EN: 1
; COMPUTE_PGM_RSRC2:TIDIG_COMP_CNT: 1
; COMPUTE_PGM_RSRC3_GFX90A:ACCUM_OFFSET: 31
; COMPUTE_PGM_RSRC3_GFX90A:TG_SPLIT: 0
	.section	.text._ZN12_GLOBAL__N_135rocblas_gemm_batched_general_kernelI19rocblas_complex_numIfELi16ELi16ELi32ELi32ELi8ELi32ELi8ELi8ELi32ELc67ELc78EKS2_S3_S2_EEvlllT_PT11_llS6_llS4_PT12_llPT13_lli,"axG",@progbits,_ZN12_GLOBAL__N_135rocblas_gemm_batched_general_kernelI19rocblas_complex_numIfELi16ELi16ELi32ELi32ELi8ELi32ELi8ELi8ELi32ELc67ELc78EKS2_S3_S2_EEvlllT_PT11_llS6_llS4_PT12_llPT13_lli,comdat
	.globl	_ZN12_GLOBAL__N_135rocblas_gemm_batched_general_kernelI19rocblas_complex_numIfELi16ELi16ELi32ELi32ELi8ELi32ELi8ELi8ELi32ELc67ELc78EKS2_S3_S2_EEvlllT_PT11_llS6_llS4_PT12_llPT13_lli ; -- Begin function _ZN12_GLOBAL__N_135rocblas_gemm_batched_general_kernelI19rocblas_complex_numIfELi16ELi16ELi32ELi32ELi8ELi32ELi8ELi8ELi32ELc67ELc78EKS2_S3_S2_EEvlllT_PT11_llS6_llS4_PT12_llPT13_lli
	.p2align	8
	.type	_ZN12_GLOBAL__N_135rocblas_gemm_batched_general_kernelI19rocblas_complex_numIfELi16ELi16ELi32ELi32ELi8ELi32ELi8ELi8ELi32ELc67ELc78EKS2_S3_S2_EEvlllT_PT11_llS6_llS4_PT12_llPT13_lli,@function
_ZN12_GLOBAL__N_135rocblas_gemm_batched_general_kernelI19rocblas_complex_numIfELi16ELi16ELi32ELi32ELi8ELi32ELi8ELi8ELi32ELc67ELc78EKS2_S3_S2_EEvlllT_PT11_llS6_llS4_PT12_llPT13_lli: ; @_ZN12_GLOBAL__N_135rocblas_gemm_batched_general_kernelI19rocblas_complex_numIfELi16ELi16ELi32ELi32ELi8ELi32ELi8ELi8ELi32ELc67ELc78EKS2_S3_S2_EEvlllT_PT11_llS6_llS4_PT12_llPT13_lli
; %bb.0:
	s_load_dwordx16 s[12:27], s[4:5], 0x0
	s_load_dwordx2 s[34:35], s[4:5], 0x50
	s_add_u32 s0, s0, s11
	s_mov_b32 s6, s9
	s_addc_u32 s1, s1, 0
	s_ashr_i32 s7, s6, 31
	s_ashr_i32 s9, s8, 31
	s_lshl_b64 s[38:39], s[6:7], 5
	s_waitcnt lgkmcnt(0)
	v_cmp_lt_i64_e64 s[6:7], s[16:17], 1
	v_and_b32_e32 v31, 0x3ff, v0
	v_bfe_u32 v33, v0, 10, 10
	v_mov_b32_e32 v78, 0
	s_lshl_b64 s[36:37], s[8:9], 5
	s_and_b64 vcc, exec, s[6:7]
	buffer_store_dword v78, off, s[0:3], 0 offset:4
	buffer_store_dword v78, off, s[0:3], 0
	buffer_store_dword v78, off, s[0:3], 0 offset:12
	buffer_store_dword v78, off, s[0:3], 0 offset:8
	;; [unrolled: 1-line block ×4, first 2 shown]
	s_cbranch_vccnz .LBB112_9
; %bb.1:
	v_lshl_add_u32 v2, v33, 4, v31
	v_lshrrev_b32_e32 v4, 3, v2
	v_mov_b32_e32 v1, s39
	v_add_co_u32_e32 v0, vcc, s38, v4
	v_and_b32_e32 v5, 31, v2
	s_load_dwordx4 s[28:31], s[4:5], 0x40
	v_lshrrev_b32_e32 v30, 5, v2
	v_addc_co_u32_e32 v1, vcc, 0, v1, vcc
	v_mov_b32_e32 v3, s37
	v_or_b32_e32 v2, s36, v5
	v_and_b32_e32 v32, 7, v31
	v_cmp_gt_i64_e32 vcc, s[12:13], v[2:3]
	v_lshlrev_b32_e32 v2, 3, v5
	v_lshl_or_b32 v79, v30, 8, v2
	v_lshlrev_b32_e32 v2, 3, v32
	v_lshl_or_b32 v3, v4, 6, v2
	v_add_u32_e32 v80, 0x800, v3
	v_mov_b32_e32 v3, 0x800
	v_cmp_gt_i64_e64 s[6:7], s[14:15], v[0:1]
	v_lshl_add_u32 v82, v33, 6, v3
	s_waitcnt lgkmcnt(0)
	v_mul_lo_u32 v3, s29, v0
	v_mul_lo_u32 v4, s28, v1
	v_mad_u64_u32 v[0:1], s[8:9], s28, v0, 0
	s_mul_i32 s8, s31, s10
	s_mul_hi_u32 s9, s30, s10
	v_add3_u32 v1, v1, v4, v3
	s_add_i32 s9, s9, s8
	s_mul_i32 s8, s30, s10
	v_lshlrev_b64 v[0:1], 3, v[0:1]
	s_lshl_b64 s[8:9], s[8:9], 3
	v_mov_b32_e32 v3, s9
	v_add_co_u32_e64 v0, s[8:9], s8, v0
	v_addc_co_u32_e64 v1, s[8:9], v1, v3, s[8:9]
	v_add_co_u32_e64 v0, s[8:9], v0, v2
	v_addc_co_u32_e64 v1, s[8:9], 0, v1, s[8:9]
	v_mov_b32_e32 v2, s27
	v_add_co_u32_e64 v34, s[8:9], s26, v0
	v_addc_co_u32_e64 v35, s[8:9], v2, v1, s[8:9]
	v_mov_b32_e32 v0, s37
	v_add_co_u32_e64 v1, s[8:9], s36, v5
	v_addc_co_u32_e64 v0, s[8:9], 0, v0, s[8:9]
	v_mul_lo_u32 v2, s23, v1
	v_mul_lo_u32 v3, s22, v0
	v_mad_u64_u32 v[0:1], s[8:9], s22, v1, 0
	s_mul_i32 s8, s25, s10
	s_mul_hi_u32 s9, s24, s10
	v_add3_u32 v1, v1, v3, v2
	s_add_i32 s9, s9, s8
	s_mul_i32 s8, s24, s10
	v_lshlrev_b64 v[0:1], 3, v[0:1]
	s_lshl_b64 s[8:9], s[8:9], 3
	v_mov_b32_e32 v2, s9
	v_add_co_u32_e64 v0, s[8:9], s8, v0
	v_addc_co_u32_e64 v1, s[8:9], v1, v2, s[8:9]
	v_lshlrev_b32_e32 v2, 3, v30
	v_add_co_u32_e64 v0, s[8:9], v0, v2
	v_addc_co_u32_e64 v1, s[8:9], 0, v1, s[8:9]
	v_mov_b32_e32 v2, s21
	v_add_co_u32_e64 v0, s[8:9], s20, v0
	v_addc_co_u32_e64 v1, s[8:9], v1, v2, s[8:9]
	v_add_co_u32_e64 v36, s[8:9], 4, v0
	v_mov_b32_e32 v28, 0
	v_addc_co_u32_e64 v37, s[8:9], 0, v1, s[8:9]
	v_lshlrev_b32_e32 v81, 3, v31
	s_mov_b64 s[8:9], 0
	s_xor_b64 s[20:21], vcc, -1
	v_mov_b32_e32 v29, v28
	s_branch .LBB112_3
.LBB112_2:                              ;   in Loop: Header=BB112_3 Depth=1
	s_or_b64 exec, exec, s[22:23]
	s_waitcnt vmcnt(0)
	ds_write_b64 v80, v[0:1]
	s_waitcnt lgkmcnt(0)
	s_barrier
	ds_read2_b64 v[12:15], v81 offset0:32 offset1:48
	ds_read2_b64 v[16:19], v81 offset0:64 offset1:80
	;; [unrolled: 1-line block ×3, first 2 shown]
	ds_read_b128 v[4:7], v82
	ds_read_b128 v[0:3], v82 offset:16
	ds_read_b128 v[84:87], v82 offset:1024
	;; [unrolled: 1-line block ×3, first 2 shown]
	s_waitcnt lgkmcnt(6)
	v_mov_b32_e32 v49, v12
	s_waitcnt lgkmcnt(3)
	v_pk_mul_f32 v[20:21], v[6:7], v[12:13] op_sel:[0,1]
	v_pk_fma_f32 v[40:41], v[6:7], v[12:13], v[20:21] op_sel:[0,0,1] op_sel_hi:[1,0,0] neg_lo:[0,0,1] neg_hi:[0,0,1]
	v_pk_fma_f32 v[42:43], v[6:7], v[12:13], v[20:21] op_sel:[0,0,1] op_sel_hi:[1,0,0]
	v_mul_f32_e32 v12, v6, v14
	v_mov_b32_e32 v53, v13
	v_mov_b32_e32 v54, v13
	v_fma_f32 v83, -v7, v15, v12
	s_waitcnt lgkmcnt(2)
	v_pk_mul_f32 v[12:13], v[0:1], v[16:17] op_sel:[0,1]
	v_pk_fma_f32 v[56:57], v[0:1], v[16:17], v[12:13] op_sel:[0,0,1] op_sel_hi:[1,0,0] neg_lo:[0,0,1] neg_hi:[0,0,1]
	v_pk_fma_f32 v[58:59], v[0:1], v[16:17], v[12:13] op_sel:[0,0,1] op_sel_hi:[1,0,0]
	v_mul_f32_e32 v12, v0, v18
	v_fma_f32 v58, -v1, v19, v12
	v_pk_mul_f32 v[12:13], v[2:3], v[8:9] op_sel:[0,1]
	v_mov_b32_e32 v39, v8
	v_pk_fma_f32 v[64:65], v[2:3], v[8:9], v[12:13] op_sel:[0,0,1] op_sel_hi:[1,0,0] neg_lo:[0,0,1] neg_hi:[0,0,1]
	v_pk_fma_f32 v[66:67], v[2:3], v[8:9], v[12:13] op_sel:[0,0,1] op_sel_hi:[1,0,0]
	v_mul_f32_e32 v8, v2, v10
	s_waitcnt lgkmcnt(0)
	v_mul_f32_e32 v124, v27, v10
	v_mov_b32_e32 v38, v10
	v_mov_b32_e32 v96, v11
	;; [unrolled: 1-line block ×5, first 2 shown]
	ds_read2_b64 v[70:73], v81 offset0:128 offset1:144
	v_fma_f32 v66, -v3, v11, v8
	v_fmac_f32_e32 v124, v26, v11
	ds_read_b128 v[8:11], v82 offset:32
	ds_read_b128 v[20:23], v82 offset:1056
	v_mul_f32_e32 v123, v25, v18
	ds_read2_b64 v[88:91], v81 offset0:160 offset1:176
	v_mov_b32_e32 v44, v18
	v_mov_b32_e32 v45, v16
	;; [unrolled: 1-line block ×6, first 2 shown]
	v_fmac_f32_e32 v123, v24, v19
	ds_read_b128 v[16:19], v82 offset:48
	ds_read2_b64 v[92:95], v81 offset0:192 offset1:208
	s_waitcnt lgkmcnt(4)
	v_pk_mul_f32 v[12:13], v[8:9], v[70:71] op_sel:[0,1]
	v_mul_f32_e32 v122, v87, v14
	v_pk_fma_f32 v[100:101], v[8:9], v[70:71], v[12:13] op_sel:[0,0,1] op_sel_hi:[1,0,0] neg_lo:[0,0,1] neg_hi:[0,0,1]
	v_pk_fma_f32 v[102:103], v[8:9], v[70:71], v[12:13] op_sel:[0,0,1] op_sel_hi:[1,0,0]
	v_mul_f32_e32 v12, v8, v72
	v_mov_b32_e32 v48, v14
	v_mov_b32_e32 v52, v15
	;; [unrolled: 1-line block ×3, first 2 shown]
	v_fmac_f32_e32 v122, v86, v15
	v_fma_f32 v102, -v9, v73, v12
	ds_read_b128 v[12:15], v82 offset:1072
	s_waitcnt lgkmcnt(4)
	v_mul_f32_e32 v125, v21, v72
	v_mov_b32_e32 v60, v72
	v_mov_b32_e32 v68, v73
	;; [unrolled: 1-line block ×3, first 2 shown]
	v_fmac_f32_e32 v125, v20, v73
	s_waitcnt lgkmcnt(3)
	v_pk_mul_f32 v[72:73], v[10:11], v[88:89] op_sel:[0,1]
	v_mov_b32_e32 v69, v71
	v_mov_b32_e32 v62, v71
	;; [unrolled: 1-line block ×5, first 2 shown]
	v_pk_fma_f32 v[106:107], v[10:11], v[88:89], v[72:73] op_sel:[0,0,1] op_sel_hi:[1,0,0] neg_lo:[0,0,1] neg_hi:[0,0,1]
	v_pk_fma_f32 v[108:109], v[10:11], v[88:89], v[72:73] op_sel:[0,0,1] op_sel_hi:[1,0,0]
	v_mul_f32_e32 v41, v10, v90
	v_mul_f32_e32 v126, v23, v90
	s_waitcnt lgkmcnt(1)
	v_pk_mul_f32 v[88:89], v[16:17], v[92:93] op_sel:[0,1]
	v_mov_b32_e32 v61, v70
	v_mov_b32_e32 v70, v90
	;; [unrolled: 1-line block ×4, first 2 shown]
	v_fma_f32 v108, -v11, v91, v41
	v_fmac_f32_e32 v126, v22, v91
	v_mov_b32_e32 v73, v92
	v_mov_b32_e32 v77, v93
	;; [unrolled: 1-line block ×3, first 2 shown]
	v_pk_fma_f32 v[112:113], v[16:17], v[92:93], v[88:89] op_sel:[0,0,1] op_sel_hi:[1,0,0] neg_lo:[0,0,1] neg_hi:[0,0,1]
	v_pk_fma_f32 v[92:93], v[16:17], v[92:93], v[88:89] op_sel:[0,0,1] op_sel_hi:[1,0,0]
	ds_read2_b64 v[88:91], v81 offset1:16
	v_mul_f32_e32 v41, v16, v94
	s_waitcnt lgkmcnt(1)
	v_mul_f32_e32 v127, v13, v94
	v_mov_b32_e32 v72, v94
	v_mov_b32_e32 v76, v95
	;; [unrolled: 1-line block ×3, first 2 shown]
	v_fma_f32 v92, -v17, v95, v41
	v_fmac_f32_e32 v127, v12, v95
	s_waitcnt lgkmcnt(0)
	v_mov_b32_e32 v94, v91
	v_mov_b32_e32 v95, v89
	;; [unrolled: 1-line block ×4, first 2 shown]
	v_pk_mul_f32 v[118:119], v[4:5], v[88:89] op_sel:[0,1]
	v_pk_mul_f32 v[94:95], v[114:115], v[94:95]
	v_mov_b32_e32 v115, v88
	v_mov_b32_e32 v116, v89
	v_pk_fma_f32 v[120:121], v[4:5], v[88:89], v[118:119] op_sel:[0,0,1] op_sel_hi:[1,0,0] neg_lo:[0,0,1] neg_hi:[0,0,1]
	v_pk_fma_f32 v[88:89], v[4:5], v[88:89], v[118:119] op_sel:[0,0,1] op_sel_hi:[1,0,0]
	v_mul_f32_e32 v4, v4, v90
	v_fma_f32 v88, -v5, v91, v4
	v_mul_f32_e32 v118, v85, v90
	v_mov_b32_e32 v4, v5
	v_mov_b32_e32 v114, v90
	;; [unrolled: 1-line block ×3, first 2 shown]
	v_fmac_f32_e32 v118, v84, v91
	v_pk_fma_f32 v[90:91], v[4:5], v[90:91], v[94:95]
	v_mov_b32_e32 v5, v84
	v_pk_fma_f32 v[4:5], v[4:5], v[114:115], v[94:95] neg_lo:[0,0,1] neg_hi:[0,0,1]
	v_pk_mul_f32 v[94:95], v[84:85], v[114:115]
	v_pk_fma_f32 v[114:115], v[84:85], v[116:117], v[94:95] op_sel:[0,0,1] op_sel_hi:[1,1,0]
	v_pk_fma_f32 v[84:85], v[84:85], v[116:117], v[94:95] op_sel:[0,0,1] op_sel_hi:[1,1,0] neg_lo:[1,0,0] neg_hi:[1,0,0]
	v_pk_mul_f32 v[94:95], v[86:87], v[48:49]
	v_pk_fma_f32 v[116:117], v[86:87], v[54:55], v[94:95] op_sel:[0,0,1] op_sel_hi:[1,1,0]
	v_pk_fma_f32 v[54:55], v[86:87], v[54:55], v[94:95] op_sel:[0,0,1] op_sel_hi:[1,1,0] neg_lo:[1,0,0] neg_hi:[1,0,0]
	v_mov_b32_e32 v95, v86
	v_mov_b32_e32 v86, v6
	;; [unrolled: 1-line block ×4, first 2 shown]
	v_pk_mul_f32 v[6:7], v[86:87], v[52:53]
	v_pk_fma_f32 v[52:53], v[4:5], v[48:49], v[6:7]
	v_pk_fma_f32 v[6:7], v[94:95], v[48:49], v[6:7] neg_lo:[0,0,1] neg_hi:[0,0,1]
	buffer_load_dword v94, off, s[0:3], 0 offset:12
	buffer_load_dword v95, off, s[0:3], 0 offset:16
	buffer_load_dword v6, off, s[0:3], 0
	v_mov_b32_e32 v48, v0
	v_mov_b32_e32 v49, v25
	v_pk_mul_f32 v[48:49], v[48:49], v[50:51]
	v_mov_b32_e32 v0, v1
	v_mov_b32_e32 v50, v1
	;; [unrolled: 1-line block ×3, first 2 shown]
	v_pk_fma_f32 v[86:87], v[0:1], v[44:45], v[48:49]
	v_pk_mul_f32 v[0:1], v[24:25], v[44:45]
	v_pk_fma_f32 v[48:49], v[50:51], v[44:45], v[48:49] neg_lo:[0,0,1] neg_hi:[0,0,1]
	v_pk_fma_f32 v[44:45], v[24:25], v[46:47], v[0:1] op_sel:[0,0,1] op_sel_hi:[1,1,0]
	v_pk_fma_f32 v[24:25], v[24:25], v[46:47], v[0:1] op_sel:[0,0,1] op_sel_hi:[1,1,0] neg_lo:[1,0,0] neg_hi:[1,0,0]
	v_pk_mul_f32 v[0:1], v[26:27], v[38:39]
	v_pk_fma_f32 v[46:47], v[26:27], v[98:99], v[0:1] op_sel:[0,0,1] op_sel_hi:[1,1,0]
	v_pk_fma_f32 v[50:51], v[26:27], v[98:99], v[0:1] op_sel:[0,0,1] op_sel_hi:[1,1,0] neg_lo:[1,0,0] neg_hi:[1,0,0]
	v_mov_b32_e32 v1, v27
	v_mov_b32_e32 v0, v2
	;; [unrolled: 1-line block ×4, first 2 shown]
	v_pk_mul_f32 v[0:1], v[0:1], v[96:97]
	v_mov_b32_e32 v2, v3
	v_pk_fma_f32 v[26:27], v[26:27], v[38:39], v[0:1] neg_lo:[0,0,1] neg_hi:[0,0,1]
	v_pk_fma_f32 v[96:97], v[2:3], v[38:39], v[0:1]
	buffer_load_dword v26, off, s[0:3], 0 offset:20
	buffer_load_dword v38, off, s[0:3], 0 offset:4
	;; [unrolled: 1-line block ×3, first 2 shown]
	v_mov_b32_e32 v121, v89
	v_pk_add_f32 v[0:1], v[28:29], v[120:121]
	v_mov_b32_e32 v41, v43
	v_pk_add_f32 v[0:1], v[0:1], v[40:41]
	;; [unrolled: 2-line block ×5, first 2 shown]
	ds_read2_b64 v[0:3], v81 offset0:224 offset1:240
	v_mov_b32_e32 v115, v85
	v_mov_b32_e32 v117, v55
	;; [unrolled: 1-line block ×4, first 2 shown]
	s_waitcnt lgkmcnt(0)
	v_pk_mul_f32 v[40:41], v[18:19], v[0:1] op_sel:[0,1]
	v_pk_fma_f32 v[42:43], v[18:19], v[0:1], v[40:41] op_sel:[0,0,1] op_sel_hi:[1,0,0] neg_lo:[0,0,1] neg_hi:[0,0,1]
	v_pk_fma_f32 v[40:41], v[18:19], v[0:1], v[40:41] op_sel:[0,0,1] op_sel_hi:[1,0,0]
	v_mov_b32_e32 v43, v41
	v_pk_add_f32 v[28:29], v[28:29], v[106:107]
	v_mov_b32_e32 v113, v93
	v_pk_add_f32 v[28:29], v[28:29], v[112:113]
	v_mov_b32_e32 v4, v9
	v_pk_add_f32 v[28:29], v[28:29], v[42:43]
	v_mov_b32_e32 v42, v9
	v_mov_b32_e32 v91, v5
	;; [unrolled: 1-line block ×7, first 2 shown]
	v_add_co_u32_e32 v34, vcc, 64, v34
	v_addc_co_u32_e32 v35, vcc, 0, v35, vcc
	s_add_u32 s8, s8, 8
	v_add_co_u32_e32 v36, vcc, 64, v36
	s_addc_u32 s9, s9, 0
	v_addc_co_u32_e32 v37, vcc, 0, v37, vcc
	s_waitcnt vmcnt(4)
	v_pk_add_f32 v[40:41], v[94:95], v[114:115]
	v_pk_add_f32 v[40:41], v[40:41], v[116:117]
	;; [unrolled: 1-line block ×3, first 2 shown]
	v_mov_b32_e32 v40, v8
	v_mov_b32_e32 v41, v21
	v_pk_mul_f32 v[40:41], v[40:41], v[68:69]
	v_pk_fma_f32 v[8:9], v[4:5], v[60:61], v[40:41]
	s_waitcnt vmcnt(3)
	v_add_f32_e32 v4, v6, v88
	v_add_f32_e32 v4, v4, v83
	;; [unrolled: 1-line block ×6, first 2 shown]
	v_mul_f32_e32 v5, v18, v2
	v_add_f32_e32 v4, v4, v92
	v_fma_f32 v5, -v19, v3, v5
	v_pk_fma_f32 v[40:41], v[42:43], v[60:61], v[40:41] neg_lo:[0,0,1] neg_hi:[0,0,1]
	v_pk_mul_f32 v[42:43], v[20:21], v[60:61]
	v_add_f32_e32 v4, v4, v5
	v_pk_fma_f32 v[44:45], v[20:21], v[62:63], v[42:43] op_sel:[0,0,1] op_sel_hi:[1,1,0]
	v_pk_fma_f32 v[20:21], v[20:21], v[62:63], v[42:43] op_sel:[0,0,1] op_sel_hi:[1,1,0] neg_lo:[1,0,0] neg_hi:[1,0,0]
	buffer_store_dword v4, off, s[0:3], 0
	s_waitcnt vmcnt(3)
	v_add_f32_e32 v4, v26, v118
	v_pk_add_f32 v[24:25], v[24:25], v[46:47]
	v_mov_b32_e32 v45, v21
	v_add_f32_e32 v4, v4, v122
	v_pk_add_f32 v[20:21], v[24:25], v[44:45]
	v_pk_mul_f32 v[24:25], v[22:23], v[70:71]
	v_add_f32_e32 v4, v4, v123
	v_pk_fma_f32 v[42:43], v[22:23], v[104:105], v[24:25] op_sel:[0,0,1] op_sel_hi:[1,1,0]
	v_pk_fma_f32 v[24:25], v[22:23], v[104:105], v[24:25] op_sel:[0,0,1] op_sel_hi:[1,1,0] neg_lo:[1,0,0] neg_hi:[1,0,0]
	v_add_f32_e32 v4, v4, v124
	v_mov_b32_e32 v43, v25
	v_pk_mul_f32 v[24:25], v[12:13], v[72:73]
	v_add_f32_e32 v4, v4, v125
	v_pk_add_f32 v[20:21], v[20:21], v[42:43]
	v_pk_fma_f32 v[42:43], v[12:13], v[110:111], v[24:25] op_sel:[0,0,1] op_sel_hi:[1,1,0]
	v_pk_fma_f32 v[24:25], v[12:13], v[110:111], v[24:25] op_sel:[0,0,1] op_sel_hi:[1,1,0] neg_lo:[1,0,0] neg_hi:[1,0,0]
	v_add_f32_e32 v4, v4, v126
	v_mov_b32_e32 v43, v25
	v_add_f32_e32 v25, v4, v127
	s_waitcnt vmcnt(1)
	v_pk_add_f32 v[4:5], v[38:39], v[90:91]
	v_pk_add_f32 v[4:5], v[4:5], v[52:53]
	;; [unrolled: 1-line block ×4, first 2 shown]
	v_mov_b32_e32 v9, v41
	v_pk_add_f32 v[4:5], v[4:5], v[8:9]
	v_mov_b32_e32 v8, v10
	v_mov_b32_e32 v9, v23
	;; [unrolled: 1-line block ×3, first 2 shown]
	v_pk_mul_f32 v[8:9], v[8:9], v[74:75]
	v_mov_b32_e32 v10, v11
	v_mov_b32_e32 v11, v22
	v_pk_fma_f32 v[6:7], v[6:7], v[70:71], v[8:9]
	v_pk_fma_f32 v[8:9], v[10:11], v[70:71], v[8:9] neg_lo:[0,0,1] neg_hi:[0,0,1]
	v_mov_b32_e32 v7, v9
	v_pk_add_f32 v[4:5], v[4:5], v[6:7]
	v_mov_b32_e32 v6, v16
	v_mov_b32_e32 v7, v13
	;; [unrolled: 1-line block ×3, first 2 shown]
	v_pk_mul_f32 v[6:7], v[6:7], v[76:77]
	v_mov_b32_e32 v8, v17
	v_mov_b32_e32 v9, v12
	v_pk_fma_f32 v[10:11], v[24:25], v[72:73], v[6:7]
	v_pk_fma_f32 v[6:7], v[8:9], v[72:73], v[6:7] neg_lo:[0,0,1] neg_hi:[0,0,1]
	v_mov_b32_e32 v38, v3
	v_mov_b32_e32 v39, v1
	;; [unrolled: 1-line block ×9, first 2 shown]
	v_pk_mul_f32 v[8:9], v[18:19], v[38:39]
	v_pk_add_f32 v[20:21], v[20:21], v[42:43]
	v_mov_b32_e32 v42, v1
	v_pk_fma_f32 v[0:1], v[0:1], v[44:45], v[8:9]
	v_pk_fma_f32 v[6:7], v[6:7], v[44:45], v[8:9] neg_lo:[0,0,1] neg_hi:[0,0,1]
	v_pk_add_f32 v[4:5], v[4:5], v[10:11]
	v_mov_b32_e32 v1, v7
	v_pk_add_f32 v[0:1], v[4:5], v[0:1]
	v_mov_b32_e32 v43, v3
	buffer_store_dword v1, off, s[0:3], 0 offset:8
	buffer_store_dword v0, off, s[0:3], 0 offset:4
	v_pk_mul_f32 v[0:1], v[14:15], v[44:45]
	v_pk_fma_f32 v[4:5], v[14:15], v[42:43], v[0:1] op_sel:[0,0,1] op_sel_hi:[1,1,0]
	v_pk_fma_f32 v[0:1], v[14:15], v[42:43], v[0:1] op_sel:[0,0,1] op_sel_hi:[1,1,0] neg_lo:[1,0,0] neg_hi:[1,0,0]
	v_mov_b32_e32 v5, v1
	v_mul_f32_e32 v2, v15, v2
	v_fmac_f32_e32 v2, v14, v3
	v_pk_add_f32 v[0:1], v[20:21], v[4:5]
	v_add_f32_e32 v2, v25, v2
	buffer_store_dword v0, off, s[0:3], 0 offset:12
	buffer_store_dword v1, off, s[0:3], 0 offset:16
	;; [unrolled: 1-line block ×3, first 2 shown]
	v_pk_mov_b32 v[0:1], s[16:17], s[16:17] op_sel:[0,1]
	v_cmp_lt_i64_e32 vcc, s[8:9], v[0:1]
	s_barrier
	s_cbranch_vccz .LBB112_10
.LBB112_3:                              ; =>This Inner Loop Header: Depth=1
	v_mov_b32_e32 v1, s9
	v_add_co_u32_e32 v0, vcc, s8, v30
	v_addc_co_u32_e32 v1, vcc, 0, v1, vcc
	v_cmp_le_i64_e32 vcc, s[16:17], v[0:1]
	s_or_b64 s[22:23], s[20:21], vcc
                                        ; implicit-def: $sgpr11
	s_and_saveexec_b64 s[24:25], s[22:23]
	s_xor_b64 s[22:23], exec, s[24:25]
	s_cbranch_execz .LBB112_5
; %bb.4:                                ;   in Loop: Header=BB112_3 Depth=1
	ds_write_b32 v79, v78
	s_mov_b32 s11, 0
.LBB112_5:                              ;   in Loop: Header=BB112_3 Depth=1
	s_or_saveexec_b64 s[22:23], s[22:23]
	v_mov_b32_e32 v0, s11
	s_xor_b64 exec, exec, s[22:23]
	s_cbranch_execz .LBB112_7
; %bb.6:                                ;   in Loop: Header=BB112_3 Depth=1
	global_load_dwordx2 v[2:3], v[36:37], off offset:-4
	s_waitcnt vmcnt(0)
	v_xor_b32_e32 v0, 0x80000000, v3
	ds_write_b32 v79, v2
.LBB112_7:                              ;   in Loop: Header=BB112_3 Depth=1
	s_or_b64 exec, exec, s[22:23]
	ds_write_b32 v79, v0 offset:4
	v_mov_b32_e32 v1, s9
	v_add_co_u32_e32 v0, vcc, s8, v32
	v_addc_co_u32_e32 v1, vcc, 0, v1, vcc
	v_cmp_gt_i64_e32 vcc, s[16:17], v[0:1]
	s_and_b64 s[24:25], vcc, s[6:7]
	v_mov_b32_e32 v0, 0
	v_mov_b32_e32 v1, 0
	s_and_saveexec_b64 s[22:23], s[24:25]
	s_cbranch_execz .LBB112_2
; %bb.8:                                ;   in Loop: Header=BB112_3 Depth=1
	global_load_dwordx2 v[0:1], v[34:35], off
	s_branch .LBB112_2
.LBB112_9:
	v_mov_b32_e32 v29, 0
	v_mov_b32_e32 v28, v78
.LBB112_10:
	s_load_dwordx4 s[28:31], s[4:5], 0x78
	s_load_dwordx8 s[20:27], s[4:5], 0x58
	v_mov_b32_e32 v1, s39
	v_add_co_u32_e32 v0, vcc, s38, v33
	s_waitcnt lgkmcnt(0)
	s_mul_i32 s5, s10, s31
	s_mul_hi_u32 s6, s10, s30
	s_mul_i32 s4, s10, s30
	s_add_i32 s5, s6, s5
	s_lshl_b64 s[4:5], s[4:5], 3
	s_add_u32 s11, s26, s4
	s_addc_u32 s30, s27, s5
	s_or_b32 s4, s34, s35
	v_addc_co_u32_e32 v1, vcc, 0, v1, vcc
	s_bitset0_b32 s4, 31
	s_cmp_lg_u32 s4, 0
	v_cmp_gt_i64_e64 s[4:5], s[14:15], v[0:1]
	s_mov_b64 s[6:7], -1
	s_cbranch_scc1 .LBB112_22
; %bb.11:
	s_and_saveexec_b64 s[16:17], s[4:5]
	s_cbranch_execz .LBB112_21
; %bb.12:
	v_mov_b32_e32 v2, s37
	v_add_co_u32_e32 v4, vcc, s36, v31
	v_addc_co_u32_e32 v5, vcc, 0, v2, vcc
	v_mul_lo_u32 v6, v1, s28
	v_mul_lo_u32 v7, v0, s29
	v_mad_u64_u32 v[2:3], s[6:7], v0, s28, 0
	v_add3_u32 v3, v3, v7, v6
	v_lshlrev_b64 v[2:3], 3, v[2:3]
	v_mov_b32_e32 v7, s30
	v_add_co_u32_e64 v6, s[6:7], s11, v2
	v_cmp_gt_i64_e32 vcc, s[12:13], v[4:5]
	v_addc_co_u32_e64 v7, s[6:7], v7, v3, s[6:7]
	v_lshlrev_b64 v[2:3], 3, v[4:5]
	s_and_saveexec_b64 s[8:9], vcc
	s_cbranch_execz .LBB112_14
; %bb.13:
	v_mul_f32_e32 v8, s19, v29
	v_mul_f32_e32 v9, s18, v29
	v_add_co_u32_e64 v10, s[6:7], v6, v2
	v_fma_f32 v8, v28, s18, -v8
	v_fmac_f32_e32 v9, s19, v28
	v_addc_co_u32_e64 v11, s[6:7], v7, v3, s[6:7]
	global_store_dwordx2 v[10:11], v[8:9], off
.LBB112_14:
	s_or_b64 exec, exec, s[8:9]
	v_add_co_u32_e64 v4, s[6:7], 16, v4
	v_addc_co_u32_e64 v5, s[6:7], 0, v5, s[6:7]
	v_cmp_gt_i64_e64 s[6:7], s[12:13], v[4:5]
	s_and_saveexec_b64 s[26:27], s[6:7]
	s_cbranch_execz .LBB112_16
; %bb.15:
	buffer_load_dword v4, off, s[0:3], 0 offset:4
	buffer_load_dword v8, off, s[0:3], 0
	s_waitcnt vmcnt(1)
	v_mul_f32_e32 v9, s19, v4
	v_mul_f32_e32 v5, s18, v4
	s_waitcnt vmcnt(0)
	v_fma_f32 v4, v8, s18, -v9
	v_fmac_f32_e32 v5, s19, v8
	v_add_co_u32_e64 v8, s[8:9], v6, v2
	v_addc_co_u32_e64 v9, s[8:9], v7, v3, s[8:9]
	global_store_dwordx2 v[8:9], v[4:5], off offset:128
.LBB112_16:
	s_or_b64 exec, exec, s[26:27]
	v_add_co_u32_e64 v4, s[8:9], 16, v0
	v_addc_co_u32_e64 v5, s[8:9], 0, v1, s[8:9]
	v_cmp_gt_i64_e64 s[8:9], s[14:15], v[4:5]
	s_and_b64 exec, exec, s[8:9]
	s_cbranch_execz .LBB112_21
; %bb.17:
	buffer_load_dword v4, off, s[0:3], 0 offset:16
	buffer_load_dword v5, off, s[0:3], 0 offset:20
	s_lshl_b64 s[8:9], s[28:29], 7
	v_mov_b32_e32 v8, s9
	v_add_co_u32_e64 v6, s[8:9], s8, v6
	v_addc_co_u32_e64 v7, s[8:9], v7, v8, s[8:9]
	v_add_co_u32_e64 v2, s[8:9], v6, v2
	v_addc_co_u32_e64 v3, s[8:9], v7, v3, s[8:9]
	s_and_saveexec_b64 s[8:9], vcc
	s_cbranch_execz .LBB112_19
; %bb.18:
	buffer_load_dword v6, off, s[0:3], 0 offset:12
	buffer_load_dword v8, off, s[0:3], 0 offset:8
	s_waitcnt vmcnt(1)
	v_mul_f32_e32 v9, s19, v6
	v_mul_f32_e32 v7, s18, v6
	s_waitcnt vmcnt(0)
	v_fma_f32 v6, v8, s18, -v9
	v_fmac_f32_e32 v7, s19, v8
	global_store_dwordx2 v[2:3], v[6:7], off
.LBB112_19:
	s_or_b64 exec, exec, s[8:9]
	s_and_b64 exec, exec, s[6:7]
	s_cbranch_execz .LBB112_21
; %bb.20:
	s_waitcnt vmcnt(0)
	v_mul_f32_e32 v6, s19, v5
	v_mul_f32_e32 v7, s18, v5
	v_fma_f32 v6, v4, s18, -v6
	v_fmac_f32_e32 v7, s19, v4
	global_store_dwordx2 v[2:3], v[6:7], off offset:128
.LBB112_21:
	s_or_b64 exec, exec, s[16:17]
	s_mov_b64 s[6:7], 0
.LBB112_22:
	s_andn2_b64 vcc, exec, s[6:7]
	s_cbranch_vccnz .LBB112_33
; %bb.23:
	s_and_saveexec_b64 s[6:7], s[4:5]
	s_cbranch_execz .LBB112_33
; %bb.24:
	s_mul_i32 s4, s10, s25
	s_mul_hi_u32 s5, s10, s24
	s_add_i32 s5, s5, s4
	s_mul_i32 s4, s10, s24
	s_lshl_b64 s[4:5], s[4:5], 3
	s_add_u32 s6, s20, s4
	v_mov_b32_e32 v2, s37
	s_waitcnt vmcnt(1)
	v_add_co_u32_e32 v4, vcc, s36, v31
	s_addc_u32 s7, s21, s5
	s_waitcnt vmcnt(0)
	v_addc_co_u32_e32 v5, vcc, 0, v2, vcc
	v_mul_lo_u32 v6, v1, s22
	v_mul_lo_u32 v7, v0, s23
	v_mad_u64_u32 v[2:3], s[4:5], v0, s22, 0
	v_add3_u32 v3, v3, v7, v6
	v_mul_lo_u32 v6, v1, s28
	v_mul_lo_u32 v7, v0, s29
	v_mad_u64_u32 v[8:9], s[4:5], v0, s28, 0
	v_lshlrev_b64 v[2:3], 3, v[2:3]
	v_add3_u32 v9, v9, v7, v6
	v_mov_b32_e32 v7, s7
	v_add_co_u32_e64 v6, s[4:5], s6, v2
	v_addc_co_u32_e64 v7, s[4:5], v7, v3, s[4:5]
	v_lshlrev_b64 v[2:3], 3, v[8:9]
	v_mov_b32_e32 v9, s30
	v_add_co_u32_e64 v8, s[4:5], s11, v2
	v_cmp_gt_i64_e32 vcc, s[12:13], v[4:5]
	v_addc_co_u32_e64 v9, s[4:5], v9, v3, s[4:5]
	v_lshlrev_b64 v[2:3], 3, v[4:5]
	s_and_saveexec_b64 s[6:7], vcc
	s_cbranch_execz .LBB112_26
; %bb.25:
	v_add_co_u32_e64 v10, s[4:5], v6, v2
	v_addc_co_u32_e64 v11, s[4:5], v7, v3, s[4:5]
	global_load_dwordx2 v[10:11], v[10:11], off
	v_mul_f32_e32 v12, s19, v29
	v_mul_f32_e32 v13, s18, v29
	v_fma_f32 v12, v28, s18, -v12
	v_fmac_f32_e32 v13, s19, v28
	s_waitcnt vmcnt(0)
	v_mul_f32_e32 v14, s35, v11
	v_mul_f32_e32 v11, s34, v11
	v_fma_f32 v14, v10, s34, -v14
	v_fmac_f32_e32 v11, s35, v10
	v_add_f32_e32 v10, v12, v14
	v_add_co_u32_e64 v12, s[4:5], v8, v2
	v_add_f32_e32 v11, v13, v11
	v_addc_co_u32_e64 v13, s[4:5], v9, v3, s[4:5]
	global_store_dwordx2 v[12:13], v[10:11], off
.LBB112_26:
	s_or_b64 exec, exec, s[6:7]
	v_add_co_u32_e64 v4, s[4:5], 16, v4
	v_addc_co_u32_e64 v5, s[4:5], 0, v5, s[4:5]
	v_cmp_gt_i64_e64 s[4:5], s[12:13], v[4:5]
	s_and_saveexec_b64 s[8:9], s[4:5]
	s_cbranch_execz .LBB112_28
; %bb.27:
	v_add_co_u32_e64 v4, s[6:7], v6, v2
	buffer_load_dword v10, off, s[0:3], 0
	buffer_load_dword v11, off, s[0:3], 0 offset:4
	v_addc_co_u32_e64 v5, s[6:7], v7, v3, s[6:7]
	global_load_dwordx2 v[4:5], v[4:5], off offset:128
	s_waitcnt vmcnt(1)
	v_mul_f32_e32 v12, s19, v11
	v_mul_f32_e32 v11, s18, v11
	v_fma_f32 v12, v10, s18, -v12
	v_fmac_f32_e32 v11, s19, v10
	s_waitcnt vmcnt(0)
	v_mul_f32_e32 v10, s35, v5
	v_mul_f32_e32 v5, s34, v5
	v_fma_f32 v10, v4, s34, -v10
	v_fmac_f32_e32 v5, s35, v4
	v_add_f32_e32 v4, v12, v10
	v_add_co_u32_e64 v10, s[6:7], v8, v2
	v_add_f32_e32 v5, v11, v5
	v_addc_co_u32_e64 v11, s[6:7], v9, v3, s[6:7]
	global_store_dwordx2 v[10:11], v[4:5], off offset:128
.LBB112_28:
	s_or_b64 exec, exec, s[8:9]
	v_add_co_u32_e64 v0, s[6:7], 16, v0
	v_addc_co_u32_e64 v1, s[6:7], 0, v1, s[6:7]
	v_cmp_gt_i64_e64 s[6:7], s[14:15], v[0:1]
	s_and_b64 exec, exec, s[6:7]
	s_cbranch_execz .LBB112_33
; %bb.29:
	buffer_load_dword v10, off, s[0:3], 0 offset:16
	buffer_load_dword v11, off, s[0:3], 0 offset:20
	s_lshl_b64 s[6:7], s[22:23], 7
	v_mov_b32_e32 v0, s7
	v_add_co_u32_e64 v1, s[6:7], s6, v6
	v_addc_co_u32_e64 v0, s[6:7], v7, v0, s[6:7]
	s_lshl_b64 s[6:7], s[28:29], 7
	v_mov_b32_e32 v4, s7
	v_add_co_u32_e64 v6, s[6:7], s6, v8
	v_addc_co_u32_e64 v7, s[6:7], v9, v4, s[6:7]
	v_add_co_u32_e64 v4, s[6:7], v1, v2
	v_addc_co_u32_e64 v5, s[6:7], v0, v3, s[6:7]
	;; [unrolled: 2-line block ×3, first 2 shown]
	s_and_saveexec_b64 s[6:7], vcc
	s_cbranch_execz .LBB112_31
; %bb.30:
	buffer_load_dword v6, off, s[0:3], 0 offset:12
	buffer_load_dword v7, off, s[0:3], 0 offset:8
	global_load_dwordx2 v[2:3], v[4:5], off
	s_waitcnt vmcnt(2)
	v_mul_f32_e32 v8, s19, v6
	v_mul_f32_e32 v6, s18, v6
	s_waitcnt vmcnt(0)
	v_mul_f32_e32 v9, s35, v3
	v_mul_f32_e32 v3, s34, v3
	v_fma_f32 v8, v7, s18, -v8
	v_fmac_f32_e32 v6, s19, v7
	v_fma_f32 v7, v2, s34, -v9
	v_fmac_f32_e32 v3, s35, v2
	v_add_f32_e32 v2, v8, v7
	v_add_f32_e32 v3, v6, v3
	global_store_dwordx2 v[0:1], v[2:3], off
.LBB112_31:
	s_or_b64 exec, exec, s[6:7]
	s_and_b64 exec, exec, s[4:5]
	s_cbranch_execz .LBB112_33
; %bb.32:
	global_load_dwordx2 v[2:3], v[4:5], off offset:128
	s_waitcnt vmcnt(1)
	v_mul_f32_e32 v4, s19, v11
	v_mul_f32_e32 v5, s18, v11
	v_fma_f32 v4, v10, s18, -v4
	v_fmac_f32_e32 v5, s19, v10
	s_waitcnt vmcnt(0)
	v_mul_f32_e32 v6, s35, v3
	v_mul_f32_e32 v3, s34, v3
	v_fma_f32 v6, v2, s34, -v6
	v_fmac_f32_e32 v3, s35, v2
	v_add_f32_e32 v2, v4, v6
	v_add_f32_e32 v3, v5, v3
	global_store_dwordx2 v[0:1], v[2:3], off offset:128
.LBB112_33:
	s_endpgm
	.section	.rodata,"a",@progbits
	.p2align	6, 0x0
	.amdhsa_kernel _ZN12_GLOBAL__N_135rocblas_gemm_batched_general_kernelI19rocblas_complex_numIfELi16ELi16ELi32ELi32ELi8ELi32ELi8ELi8ELi32ELc67ELc78EKS2_S3_S2_EEvlllT_PT11_llS6_llS4_PT12_llPT13_lli
		.amdhsa_group_segment_fixed_size 4096
		.amdhsa_private_segment_fixed_size 32
		.amdhsa_kernarg_size 140
		.amdhsa_user_sgpr_count 8
		.amdhsa_user_sgpr_private_segment_buffer 1
		.amdhsa_user_sgpr_dispatch_ptr 0
		.amdhsa_user_sgpr_queue_ptr 0
		.amdhsa_user_sgpr_kernarg_segment_ptr 1
		.amdhsa_user_sgpr_dispatch_id 0
		.amdhsa_user_sgpr_flat_scratch_init 1
		.amdhsa_user_sgpr_kernarg_preload_length 0
		.amdhsa_user_sgpr_kernarg_preload_offset 0
		.amdhsa_user_sgpr_private_segment_size 0
		.amdhsa_uses_dynamic_stack 0
		.amdhsa_system_sgpr_private_segment_wavefront_offset 1
		.amdhsa_system_sgpr_workgroup_id_x 1
		.amdhsa_system_sgpr_workgroup_id_y 1
		.amdhsa_system_sgpr_workgroup_id_z 1
		.amdhsa_system_sgpr_workgroup_info 0
		.amdhsa_system_vgpr_workitem_id 1
		.amdhsa_next_free_vgpr 128
		.amdhsa_next_free_sgpr 40
		.amdhsa_accum_offset 128
		.amdhsa_reserve_vcc 1
		.amdhsa_reserve_flat_scratch 0
		.amdhsa_float_round_mode_32 0
		.amdhsa_float_round_mode_16_64 0
		.amdhsa_float_denorm_mode_32 3
		.amdhsa_float_denorm_mode_16_64 3
		.amdhsa_dx10_clamp 1
		.amdhsa_ieee_mode 1
		.amdhsa_fp16_overflow 0
		.amdhsa_tg_split 0
		.amdhsa_exception_fp_ieee_invalid_op 0
		.amdhsa_exception_fp_denorm_src 0
		.amdhsa_exception_fp_ieee_div_zero 0
		.amdhsa_exception_fp_ieee_overflow 0
		.amdhsa_exception_fp_ieee_underflow 0
		.amdhsa_exception_fp_ieee_inexact 0
		.amdhsa_exception_int_div_zero 0
	.end_amdhsa_kernel
	.section	.text._ZN12_GLOBAL__N_135rocblas_gemm_batched_general_kernelI19rocblas_complex_numIfELi16ELi16ELi32ELi32ELi8ELi32ELi8ELi8ELi32ELc67ELc78EKS2_S3_S2_EEvlllT_PT11_llS6_llS4_PT12_llPT13_lli,"axG",@progbits,_ZN12_GLOBAL__N_135rocblas_gemm_batched_general_kernelI19rocblas_complex_numIfELi16ELi16ELi32ELi32ELi8ELi32ELi8ELi8ELi32ELc67ELc78EKS2_S3_S2_EEvlllT_PT11_llS6_llS4_PT12_llPT13_lli,comdat
.Lfunc_end112:
	.size	_ZN12_GLOBAL__N_135rocblas_gemm_batched_general_kernelI19rocblas_complex_numIfELi16ELi16ELi32ELi32ELi8ELi32ELi8ELi8ELi32ELc67ELc78EKS2_S3_S2_EEvlllT_PT11_llS6_llS4_PT12_llPT13_lli, .Lfunc_end112-_ZN12_GLOBAL__N_135rocblas_gemm_batched_general_kernelI19rocblas_complex_numIfELi16ELi16ELi32ELi32ELi8ELi32ELi8ELi8ELi32ELc67ELc78EKS2_S3_S2_EEvlllT_PT11_llS6_llS4_PT12_llPT13_lli
                                        ; -- End function
	.section	.AMDGPU.csdata,"",@progbits
; Kernel info:
; codeLenInByte = 3796
; NumSgprs: 44
; NumVgprs: 128
; NumAgprs: 0
; TotalNumVgprs: 128
; ScratchSize: 32
; MemoryBound: 0
; FloatMode: 240
; IeeeMode: 1
; LDSByteSize: 4096 bytes/workgroup (compile time only)
; SGPRBlocks: 5
; VGPRBlocks: 15
; NumSGPRsForWavesPerEU: 44
; NumVGPRsForWavesPerEU: 128
; AccumOffset: 128
; Occupancy: 4
; WaveLimiterHint : 1
; COMPUTE_PGM_RSRC2:SCRATCH_EN: 1
; COMPUTE_PGM_RSRC2:USER_SGPR: 8
; COMPUTE_PGM_RSRC2:TRAP_HANDLER: 0
; COMPUTE_PGM_RSRC2:TGID_X_EN: 1
; COMPUTE_PGM_RSRC2:TGID_Y_EN: 1
; COMPUTE_PGM_RSRC2:TGID_Z_EN: 1
; COMPUTE_PGM_RSRC2:TIDIG_COMP_CNT: 1
; COMPUTE_PGM_RSRC3_GFX90A:ACCUM_OFFSET: 31
; COMPUTE_PGM_RSRC3_GFX90A:TG_SPLIT: 0
	.section	.text._ZN12_GLOBAL__N_135rocblas_gemm_batched_general_kernelI19rocblas_complex_numIfELi16ELi16ELi32ELi32ELi8ELi32ELi8ELi8ELi32ELc67ELc84EKS2_S3_S2_EEvlllT_PT11_llS6_llS4_PT12_llPT13_lli,"axG",@progbits,_ZN12_GLOBAL__N_135rocblas_gemm_batched_general_kernelI19rocblas_complex_numIfELi16ELi16ELi32ELi32ELi8ELi32ELi8ELi8ELi32ELc67ELc84EKS2_S3_S2_EEvlllT_PT11_llS6_llS4_PT12_llPT13_lli,comdat
	.globl	_ZN12_GLOBAL__N_135rocblas_gemm_batched_general_kernelI19rocblas_complex_numIfELi16ELi16ELi32ELi32ELi8ELi32ELi8ELi8ELi32ELc67ELc84EKS2_S3_S2_EEvlllT_PT11_llS6_llS4_PT12_llPT13_lli ; -- Begin function _ZN12_GLOBAL__N_135rocblas_gemm_batched_general_kernelI19rocblas_complex_numIfELi16ELi16ELi32ELi32ELi8ELi32ELi8ELi8ELi32ELc67ELc84EKS2_S3_S2_EEvlllT_PT11_llS6_llS4_PT12_llPT13_lli
	.p2align	8
	.type	_ZN12_GLOBAL__N_135rocblas_gemm_batched_general_kernelI19rocblas_complex_numIfELi16ELi16ELi32ELi32ELi8ELi32ELi8ELi8ELi32ELc67ELc84EKS2_S3_S2_EEvlllT_PT11_llS6_llS4_PT12_llPT13_lli,@function
_ZN12_GLOBAL__N_135rocblas_gemm_batched_general_kernelI19rocblas_complex_numIfELi16ELi16ELi32ELi32ELi8ELi32ELi8ELi8ELi32ELc67ELc84EKS2_S3_S2_EEvlllT_PT11_llS6_llS4_PT12_llPT13_lli: ; @_ZN12_GLOBAL__N_135rocblas_gemm_batched_general_kernelI19rocblas_complex_numIfELi16ELi16ELi32ELi32ELi8ELi32ELi8ELi8ELi32ELc67ELc84EKS2_S3_S2_EEvlllT_PT11_llS6_llS4_PT12_llPT13_lli
; %bb.0:
	s_load_dwordx16 s[12:27], s[4:5], 0x0
	s_load_dwordx2 s[34:35], s[4:5], 0x50
	s_add_u32 s0, s0, s11
	s_mov_b32 s40, s9
	s_addc_u32 s1, s1, 0
	s_ashr_i32 s9, s8, 31
	s_ashr_i32 s41, s40, 31
	s_waitcnt lgkmcnt(0)
	v_cmp_lt_i64_e64 s[6:7], s[16:17], 1
	v_and_b32_e32 v31, 0x3ff, v0
	v_bfe_u32 v33, v0, 10, 10
	v_mov_b32_e32 v78, 0
	s_lshl_b64 s[36:37], s[8:9], 5
	s_lshl_b64 s[38:39], s[40:41], 5
	s_and_b64 vcc, exec, s[6:7]
	buffer_store_dword v78, off, s[0:3], 0 offset:4
	buffer_store_dword v78, off, s[0:3], 0
	buffer_store_dword v78, off, s[0:3], 0 offset:12
	buffer_store_dword v78, off, s[0:3], 0 offset:8
	;; [unrolled: 1-line block ×4, first 2 shown]
	s_cbranch_vccnz .LBB113_9
; %bb.1:
	v_lshl_add_u32 v4, v33, 4, v31
	s_load_dwordx4 s[28:31], s[4:5], 0x40
	v_lshrrev_b32_e32 v5, 3, v4
	v_mov_b32_e32 v1, s39
	v_add_co_u32_e32 v0, vcc, s38, v5
	v_and_b32_e32 v32, 7, v31
	v_addc_co_u32_e32 v1, vcc, 0, v1, vcc
	v_cmp_gt_i64_e64 s[6:7], s[14:15], v[0:1]
	v_lshlrev_b32_e32 v0, 3, v32
	v_and_b32_e32 v6, 31, v4
	v_lshl_or_b32 v0, v5, 6, v0
	v_mov_b32_e32 v3, s37
	v_or_b32_e32 v2, s36, v6
	v_add_u32_e32 v80, 0x800, v0
	v_mov_b32_e32 v0, 0x800
	s_waitcnt lgkmcnt(0)
	s_mul_i32 s8, s31, s10
	s_mul_hi_u32 s9, s30, s10
	v_lshrrev_b32_e32 v30, 5, v4
	v_cmp_gt_i64_e32 vcc, s[12:13], v[2:3]
	v_lshlrev_b32_e32 v2, 3, v6
	v_lshl_add_u32 v82, v33, 6, v0
	s_add_i32 s9, s9, s8
	s_mul_i32 s8, s30, s10
	v_mad_u64_u32 v[0:1], s[30:31], s28, v32, 0
	v_lshl_or_b32 v79, v30, 8, v2
	v_mov_b32_e32 v2, v1
	v_mad_u64_u32 v[2:3], s[30:31], s29, v32, v[2:3]
	s_lshl_b64 s[8:9], s[8:9], 3
	s_lshl_b64 s[30:31], s[40:41], 8
	v_mov_b32_e32 v1, v2
	s_add_u32 s8, s30, s8
	v_lshlrev_b64 v[0:1], 3, v[0:1]
	s_addc_u32 s9, s31, s9
	v_mov_b32_e32 v2, s9
	v_add_co_u32_e64 v0, s[8:9], s8, v0
	v_addc_co_u32_e64 v1, s[8:9], v2, v1, s[8:9]
	v_and_b32_e32 v2, 0x7ff8, v4
	v_add_co_u32_e64 v0, s[8:9], v0, v2
	v_addc_co_u32_e64 v1, s[8:9], 0, v1, s[8:9]
	v_mov_b32_e32 v2, s27
	v_add_co_u32_e64 v34, s[8:9], s26, v0
	v_addc_co_u32_e64 v35, s[8:9], v2, v1, s[8:9]
	v_mov_b32_e32 v0, s37
	v_add_co_u32_e64 v1, s[8:9], s36, v6
	v_addc_co_u32_e64 v0, s[8:9], 0, v0, s[8:9]
	v_mul_lo_u32 v2, s23, v1
	v_mul_lo_u32 v3, s22, v0
	v_mad_u64_u32 v[0:1], s[8:9], s22, v1, 0
	s_mul_i32 s8, s25, s10
	s_mul_hi_u32 s9, s24, s10
	v_add3_u32 v1, v1, v3, v2
	s_add_i32 s9, s9, s8
	s_mul_i32 s8, s24, s10
	v_lshlrev_b64 v[0:1], 3, v[0:1]
	s_lshl_b64 s[8:9], s[8:9], 3
	v_mov_b32_e32 v2, s9
	v_add_co_u32_e64 v0, s[8:9], s8, v0
	v_addc_co_u32_e64 v1, s[8:9], v1, v2, s[8:9]
	v_lshlrev_b32_e32 v2, 3, v30
	v_add_co_u32_e64 v0, s[8:9], v0, v2
	v_addc_co_u32_e64 v1, s[8:9], 0, v1, s[8:9]
	v_mov_b32_e32 v2, s21
	v_add_co_u32_e64 v0, s[8:9], s20, v0
	v_addc_co_u32_e64 v1, s[8:9], v1, v2, s[8:9]
	v_add_co_u32_e64 v36, s[8:9], 4, v0
	v_mov_b32_e32 v28, 0
	v_addc_co_u32_e64 v37, s[8:9], 0, v1, s[8:9]
	v_lshlrev_b32_e32 v81, 3, v31
	s_lshl_b64 s[26:27], s[28:29], 6
	s_mov_b64 s[8:9], 0
	s_xor_b64 s[20:21], vcc, -1
	v_mov_b32_e32 v29, v28
	s_branch .LBB113_3
.LBB113_2:                              ;   in Loop: Header=BB113_3 Depth=1
	s_or_b64 exec, exec, s[22:23]
	s_waitcnt vmcnt(0)
	ds_write_b64 v80, v[0:1]
	s_waitcnt lgkmcnt(0)
	s_barrier
	ds_read2_b64 v[12:15], v81 offset0:32 offset1:48
	ds_read2_b64 v[16:19], v81 offset0:64 offset1:80
	;; [unrolled: 1-line block ×3, first 2 shown]
	ds_read_b128 v[4:7], v82
	ds_read_b128 v[0:3], v82 offset:16
	ds_read_b128 v[84:87], v82 offset:1024
	ds_read_b128 v[24:27], v82 offset:1040
	s_waitcnt lgkmcnt(6)
	v_mov_b32_e32 v49, v12
	s_waitcnt lgkmcnt(3)
	v_pk_mul_f32 v[20:21], v[6:7], v[12:13] op_sel:[0,1]
	v_pk_fma_f32 v[40:41], v[6:7], v[12:13], v[20:21] op_sel:[0,0,1] op_sel_hi:[1,0,0] neg_lo:[0,0,1] neg_hi:[0,0,1]
	v_pk_fma_f32 v[42:43], v[6:7], v[12:13], v[20:21] op_sel:[0,0,1] op_sel_hi:[1,0,0]
	v_mul_f32_e32 v12, v6, v14
	v_mov_b32_e32 v53, v13
	v_mov_b32_e32 v54, v13
	v_fma_f32 v83, -v7, v15, v12
	s_waitcnt lgkmcnt(2)
	v_pk_mul_f32 v[12:13], v[0:1], v[16:17] op_sel:[0,1]
	v_pk_fma_f32 v[56:57], v[0:1], v[16:17], v[12:13] op_sel:[0,0,1] op_sel_hi:[1,0,0] neg_lo:[0,0,1] neg_hi:[0,0,1]
	v_pk_fma_f32 v[58:59], v[0:1], v[16:17], v[12:13] op_sel:[0,0,1] op_sel_hi:[1,0,0]
	v_mul_f32_e32 v12, v0, v18
	v_fma_f32 v58, -v1, v19, v12
	v_pk_mul_f32 v[12:13], v[2:3], v[8:9] op_sel:[0,1]
	v_mov_b32_e32 v39, v8
	v_pk_fma_f32 v[64:65], v[2:3], v[8:9], v[12:13] op_sel:[0,0,1] op_sel_hi:[1,0,0] neg_lo:[0,0,1] neg_hi:[0,0,1]
	v_pk_fma_f32 v[66:67], v[2:3], v[8:9], v[12:13] op_sel:[0,0,1] op_sel_hi:[1,0,0]
	v_mul_f32_e32 v8, v2, v10
	s_waitcnt lgkmcnt(0)
	v_mul_f32_e32 v124, v27, v10
	v_mov_b32_e32 v38, v10
	v_mov_b32_e32 v96, v11
	;; [unrolled: 1-line block ×5, first 2 shown]
	ds_read2_b64 v[70:73], v81 offset0:128 offset1:144
	v_fma_f32 v66, -v3, v11, v8
	v_fmac_f32_e32 v124, v26, v11
	ds_read_b128 v[8:11], v82 offset:32
	ds_read_b128 v[20:23], v82 offset:1056
	v_mul_f32_e32 v123, v25, v18
	ds_read2_b64 v[88:91], v81 offset0:160 offset1:176
	v_mov_b32_e32 v44, v18
	v_mov_b32_e32 v45, v16
	;; [unrolled: 1-line block ×6, first 2 shown]
	v_fmac_f32_e32 v123, v24, v19
	ds_read_b128 v[16:19], v82 offset:48
	ds_read2_b64 v[92:95], v81 offset0:192 offset1:208
	s_waitcnt lgkmcnt(4)
	v_pk_mul_f32 v[12:13], v[8:9], v[70:71] op_sel:[0,1]
	v_mul_f32_e32 v122, v87, v14
	v_pk_fma_f32 v[100:101], v[8:9], v[70:71], v[12:13] op_sel:[0,0,1] op_sel_hi:[1,0,0] neg_lo:[0,0,1] neg_hi:[0,0,1]
	v_pk_fma_f32 v[102:103], v[8:9], v[70:71], v[12:13] op_sel:[0,0,1] op_sel_hi:[1,0,0]
	v_mul_f32_e32 v12, v8, v72
	v_mov_b32_e32 v48, v14
	v_mov_b32_e32 v52, v15
	;; [unrolled: 1-line block ×3, first 2 shown]
	v_fmac_f32_e32 v122, v86, v15
	v_fma_f32 v102, -v9, v73, v12
	ds_read_b128 v[12:15], v82 offset:1072
	s_waitcnt lgkmcnt(4)
	v_mul_f32_e32 v125, v21, v72
	v_mov_b32_e32 v60, v72
	v_mov_b32_e32 v68, v73
	;; [unrolled: 1-line block ×3, first 2 shown]
	v_fmac_f32_e32 v125, v20, v73
	s_waitcnt lgkmcnt(3)
	v_pk_mul_f32 v[72:73], v[10:11], v[88:89] op_sel:[0,1]
	v_mov_b32_e32 v69, v71
	v_mov_b32_e32 v62, v71
	;; [unrolled: 1-line block ×5, first 2 shown]
	v_pk_fma_f32 v[106:107], v[10:11], v[88:89], v[72:73] op_sel:[0,0,1] op_sel_hi:[1,0,0] neg_lo:[0,0,1] neg_hi:[0,0,1]
	v_pk_fma_f32 v[108:109], v[10:11], v[88:89], v[72:73] op_sel:[0,0,1] op_sel_hi:[1,0,0]
	v_mul_f32_e32 v41, v10, v90
	v_mul_f32_e32 v126, v23, v90
	s_waitcnt lgkmcnt(1)
	v_pk_mul_f32 v[88:89], v[16:17], v[92:93] op_sel:[0,1]
	v_mov_b32_e32 v61, v70
	v_mov_b32_e32 v70, v90
	;; [unrolled: 1-line block ×4, first 2 shown]
	v_fma_f32 v108, -v11, v91, v41
	v_fmac_f32_e32 v126, v22, v91
	v_mov_b32_e32 v73, v92
	v_mov_b32_e32 v77, v93
	;; [unrolled: 1-line block ×3, first 2 shown]
	v_pk_fma_f32 v[112:113], v[16:17], v[92:93], v[88:89] op_sel:[0,0,1] op_sel_hi:[1,0,0] neg_lo:[0,0,1] neg_hi:[0,0,1]
	v_pk_fma_f32 v[92:93], v[16:17], v[92:93], v[88:89] op_sel:[0,0,1] op_sel_hi:[1,0,0]
	ds_read2_b64 v[88:91], v81 offset1:16
	v_mul_f32_e32 v41, v16, v94
	s_waitcnt lgkmcnt(1)
	v_mul_f32_e32 v127, v13, v94
	v_mov_b32_e32 v72, v94
	v_mov_b32_e32 v76, v95
	;; [unrolled: 1-line block ×3, first 2 shown]
	v_fma_f32 v92, -v17, v95, v41
	v_fmac_f32_e32 v127, v12, v95
	s_waitcnt lgkmcnt(0)
	v_mov_b32_e32 v94, v91
	v_mov_b32_e32 v95, v89
	;; [unrolled: 1-line block ×4, first 2 shown]
	v_pk_mul_f32 v[118:119], v[4:5], v[88:89] op_sel:[0,1]
	v_pk_mul_f32 v[94:95], v[114:115], v[94:95]
	v_mov_b32_e32 v115, v88
	v_mov_b32_e32 v116, v89
	v_pk_fma_f32 v[120:121], v[4:5], v[88:89], v[118:119] op_sel:[0,0,1] op_sel_hi:[1,0,0] neg_lo:[0,0,1] neg_hi:[0,0,1]
	v_pk_fma_f32 v[88:89], v[4:5], v[88:89], v[118:119] op_sel:[0,0,1] op_sel_hi:[1,0,0]
	v_mul_f32_e32 v4, v4, v90
	v_fma_f32 v88, -v5, v91, v4
	v_mul_f32_e32 v118, v85, v90
	v_mov_b32_e32 v4, v5
	v_mov_b32_e32 v114, v90
	;; [unrolled: 1-line block ×3, first 2 shown]
	v_fmac_f32_e32 v118, v84, v91
	v_pk_fma_f32 v[90:91], v[4:5], v[90:91], v[94:95]
	v_mov_b32_e32 v5, v84
	v_pk_fma_f32 v[4:5], v[4:5], v[114:115], v[94:95] neg_lo:[0,0,1] neg_hi:[0,0,1]
	v_pk_mul_f32 v[94:95], v[84:85], v[114:115]
	v_pk_fma_f32 v[114:115], v[84:85], v[116:117], v[94:95] op_sel:[0,0,1] op_sel_hi:[1,1,0]
	v_pk_fma_f32 v[84:85], v[84:85], v[116:117], v[94:95] op_sel:[0,0,1] op_sel_hi:[1,1,0] neg_lo:[1,0,0] neg_hi:[1,0,0]
	v_pk_mul_f32 v[94:95], v[86:87], v[48:49]
	v_pk_fma_f32 v[116:117], v[86:87], v[54:55], v[94:95] op_sel:[0,0,1] op_sel_hi:[1,1,0]
	v_pk_fma_f32 v[54:55], v[86:87], v[54:55], v[94:95] op_sel:[0,0,1] op_sel_hi:[1,1,0] neg_lo:[1,0,0] neg_hi:[1,0,0]
	v_mov_b32_e32 v95, v86
	v_mov_b32_e32 v86, v6
	;; [unrolled: 1-line block ×4, first 2 shown]
	v_pk_mul_f32 v[6:7], v[86:87], v[52:53]
	v_pk_fma_f32 v[52:53], v[4:5], v[48:49], v[6:7]
	v_pk_fma_f32 v[6:7], v[94:95], v[48:49], v[6:7] neg_lo:[0,0,1] neg_hi:[0,0,1]
	buffer_load_dword v94, off, s[0:3], 0 offset:12
	buffer_load_dword v95, off, s[0:3], 0 offset:16
	buffer_load_dword v6, off, s[0:3], 0
	v_mov_b32_e32 v48, v0
	v_mov_b32_e32 v49, v25
	v_pk_mul_f32 v[48:49], v[48:49], v[50:51]
	v_mov_b32_e32 v0, v1
	v_mov_b32_e32 v50, v1
	;; [unrolled: 1-line block ×3, first 2 shown]
	v_pk_fma_f32 v[86:87], v[0:1], v[44:45], v[48:49]
	v_pk_mul_f32 v[0:1], v[24:25], v[44:45]
	v_pk_fma_f32 v[48:49], v[50:51], v[44:45], v[48:49] neg_lo:[0,0,1] neg_hi:[0,0,1]
	v_pk_fma_f32 v[44:45], v[24:25], v[46:47], v[0:1] op_sel:[0,0,1] op_sel_hi:[1,1,0]
	v_pk_fma_f32 v[24:25], v[24:25], v[46:47], v[0:1] op_sel:[0,0,1] op_sel_hi:[1,1,0] neg_lo:[1,0,0] neg_hi:[1,0,0]
	v_pk_mul_f32 v[0:1], v[26:27], v[38:39]
	v_pk_fma_f32 v[46:47], v[26:27], v[98:99], v[0:1] op_sel:[0,0,1] op_sel_hi:[1,1,0]
	v_pk_fma_f32 v[50:51], v[26:27], v[98:99], v[0:1] op_sel:[0,0,1] op_sel_hi:[1,1,0] neg_lo:[1,0,0] neg_hi:[1,0,0]
	v_mov_b32_e32 v1, v27
	v_mov_b32_e32 v0, v2
	;; [unrolled: 1-line block ×4, first 2 shown]
	v_pk_mul_f32 v[0:1], v[0:1], v[96:97]
	v_mov_b32_e32 v2, v3
	v_pk_fma_f32 v[26:27], v[26:27], v[38:39], v[0:1] neg_lo:[0,0,1] neg_hi:[0,0,1]
	v_pk_fma_f32 v[96:97], v[2:3], v[38:39], v[0:1]
	buffer_load_dword v26, off, s[0:3], 0 offset:20
	buffer_load_dword v38, off, s[0:3], 0 offset:4
	;; [unrolled: 1-line block ×3, first 2 shown]
	v_mov_b32_e32 v121, v89
	v_pk_add_f32 v[0:1], v[28:29], v[120:121]
	v_mov_b32_e32 v41, v43
	v_pk_add_f32 v[0:1], v[0:1], v[40:41]
	;; [unrolled: 2-line block ×5, first 2 shown]
	ds_read2_b64 v[0:3], v81 offset0:224 offset1:240
	v_mov_b32_e32 v115, v85
	v_mov_b32_e32 v117, v55
	;; [unrolled: 1-line block ×4, first 2 shown]
	s_waitcnt lgkmcnt(0)
	v_pk_mul_f32 v[40:41], v[18:19], v[0:1] op_sel:[0,1]
	v_pk_fma_f32 v[42:43], v[18:19], v[0:1], v[40:41] op_sel:[0,0,1] op_sel_hi:[1,0,0] neg_lo:[0,0,1] neg_hi:[0,0,1]
	v_pk_fma_f32 v[40:41], v[18:19], v[0:1], v[40:41] op_sel:[0,0,1] op_sel_hi:[1,0,0]
	v_mov_b32_e32 v43, v41
	v_pk_add_f32 v[28:29], v[28:29], v[106:107]
	v_mov_b32_e32 v113, v93
	v_pk_add_f32 v[28:29], v[28:29], v[112:113]
	;; [unrolled: 2-line block ×3, first 2 shown]
	v_mov_b32_e32 v42, v9
	v_mov_b32_e32 v91, v5
	;; [unrolled: 1-line block ×7, first 2 shown]
	v_add_co_u32_e32 v34, vcc, s26, v34
	s_add_u32 s8, s8, 8
	s_addc_u32 s9, s9, 0
	s_waitcnt vmcnt(4)
	v_pk_add_f32 v[40:41], v[94:95], v[114:115]
	v_pk_add_f32 v[40:41], v[40:41], v[116:117]
	;; [unrolled: 1-line block ×3, first 2 shown]
	v_mov_b32_e32 v40, v8
	v_mov_b32_e32 v41, v21
	v_pk_mul_f32 v[40:41], v[40:41], v[68:69]
	v_pk_fma_f32 v[8:9], v[4:5], v[60:61], v[40:41]
	s_waitcnt vmcnt(3)
	v_add_f32_e32 v4, v6, v88
	v_add_f32_e32 v4, v4, v83
	;; [unrolled: 1-line block ×6, first 2 shown]
	v_mul_f32_e32 v5, v18, v2
	v_add_f32_e32 v4, v4, v92
	v_fma_f32 v5, -v19, v3, v5
	v_pk_fma_f32 v[40:41], v[42:43], v[60:61], v[40:41] neg_lo:[0,0,1] neg_hi:[0,0,1]
	v_pk_mul_f32 v[42:43], v[20:21], v[60:61]
	v_add_f32_e32 v4, v4, v5
	v_pk_fma_f32 v[44:45], v[20:21], v[62:63], v[42:43] op_sel:[0,0,1] op_sel_hi:[1,1,0]
	v_pk_fma_f32 v[20:21], v[20:21], v[62:63], v[42:43] op_sel:[0,0,1] op_sel_hi:[1,1,0] neg_lo:[1,0,0] neg_hi:[1,0,0]
	buffer_store_dword v4, off, s[0:3], 0
	s_waitcnt vmcnt(3)
	v_add_f32_e32 v4, v26, v118
	v_pk_add_f32 v[24:25], v[24:25], v[46:47]
	v_mov_b32_e32 v45, v21
	v_add_f32_e32 v4, v4, v122
	v_pk_add_f32 v[20:21], v[24:25], v[44:45]
	v_pk_mul_f32 v[24:25], v[22:23], v[70:71]
	v_add_f32_e32 v4, v4, v123
	v_pk_fma_f32 v[42:43], v[22:23], v[104:105], v[24:25] op_sel:[0,0,1] op_sel_hi:[1,1,0]
	v_pk_fma_f32 v[24:25], v[22:23], v[104:105], v[24:25] op_sel:[0,0,1] op_sel_hi:[1,1,0] neg_lo:[1,0,0] neg_hi:[1,0,0]
	v_add_f32_e32 v4, v4, v124
	v_mov_b32_e32 v43, v25
	v_pk_mul_f32 v[24:25], v[12:13], v[72:73]
	v_add_f32_e32 v4, v4, v125
	v_pk_add_f32 v[20:21], v[20:21], v[42:43]
	v_pk_fma_f32 v[42:43], v[12:13], v[110:111], v[24:25] op_sel:[0,0,1] op_sel_hi:[1,1,0]
	v_pk_fma_f32 v[24:25], v[12:13], v[110:111], v[24:25] op_sel:[0,0,1] op_sel_hi:[1,1,0] neg_lo:[1,0,0] neg_hi:[1,0,0]
	v_add_f32_e32 v4, v4, v126
	v_mov_b32_e32 v43, v25
	v_add_f32_e32 v25, v4, v127
	s_waitcnt vmcnt(1)
	v_pk_add_f32 v[4:5], v[38:39], v[90:91]
	v_pk_add_f32 v[4:5], v[4:5], v[52:53]
	;; [unrolled: 1-line block ×4, first 2 shown]
	v_mov_b32_e32 v9, v41
	v_pk_add_f32 v[4:5], v[4:5], v[8:9]
	v_mov_b32_e32 v8, v10
	v_mov_b32_e32 v9, v23
	;; [unrolled: 1-line block ×3, first 2 shown]
	v_pk_mul_f32 v[8:9], v[8:9], v[74:75]
	v_mov_b32_e32 v10, v11
	v_mov_b32_e32 v11, v22
	v_pk_fma_f32 v[6:7], v[6:7], v[70:71], v[8:9]
	v_pk_fma_f32 v[8:9], v[10:11], v[70:71], v[8:9] neg_lo:[0,0,1] neg_hi:[0,0,1]
	v_mov_b32_e32 v7, v9
	v_pk_add_f32 v[4:5], v[4:5], v[6:7]
	v_mov_b32_e32 v6, v16
	v_mov_b32_e32 v7, v13
	;; [unrolled: 1-line block ×3, first 2 shown]
	v_pk_mul_f32 v[6:7], v[6:7], v[76:77]
	v_mov_b32_e32 v8, v17
	v_mov_b32_e32 v9, v12
	v_pk_fma_f32 v[10:11], v[24:25], v[72:73], v[6:7]
	v_pk_fma_f32 v[6:7], v[8:9], v[72:73], v[6:7] neg_lo:[0,0,1] neg_hi:[0,0,1]
	v_mov_b32_e32 v38, v3
	v_mov_b32_e32 v39, v1
	v_mov_b32_e32 v45, v0
	v_mov_b32_e32 v0, v19
	v_mov_b32_e32 v6, v19
	v_mov_b32_e32 v19, v15
	v_mov_b32_e32 v44, v2
	v_mov_b32_e32 v11, v7
	v_mov_b32_e32 v7, v14
	v_pk_mul_f32 v[8:9], v[18:19], v[38:39]
	v_pk_add_f32 v[20:21], v[20:21], v[42:43]
	v_mov_b32_e32 v42, v1
	v_pk_fma_f32 v[0:1], v[0:1], v[44:45], v[8:9]
	v_pk_fma_f32 v[6:7], v[6:7], v[44:45], v[8:9] neg_lo:[0,0,1] neg_hi:[0,0,1]
	v_pk_add_f32 v[4:5], v[4:5], v[10:11]
	v_mov_b32_e32 v1, v7
	v_pk_add_f32 v[0:1], v[4:5], v[0:1]
	v_mov_b32_e32 v43, v3
	buffer_store_dword v1, off, s[0:3], 0 offset:8
	buffer_store_dword v0, off, s[0:3], 0 offset:4
	v_pk_mul_f32 v[0:1], v[14:15], v[44:45]
	v_pk_fma_f32 v[4:5], v[14:15], v[42:43], v[0:1] op_sel:[0,0,1] op_sel_hi:[1,1,0]
	v_pk_fma_f32 v[0:1], v[14:15], v[42:43], v[0:1] op_sel:[0,0,1] op_sel_hi:[1,1,0] neg_lo:[1,0,0] neg_hi:[1,0,0]
	v_mov_b32_e32 v5, v1
	v_mul_f32_e32 v2, v15, v2
	v_fmac_f32_e32 v2, v14, v3
	v_pk_add_f32 v[0:1], v[20:21], v[4:5]
	v_add_f32_e32 v2, v25, v2
	buffer_store_dword v0, off, s[0:3], 0 offset:12
	buffer_store_dword v1, off, s[0:3], 0 offset:16
	;; [unrolled: 1-line block ×3, first 2 shown]
	v_mov_b32_e32 v0, s27
	v_addc_co_u32_e32 v35, vcc, v35, v0, vcc
	v_add_co_u32_e32 v36, vcc, 64, v36
	v_addc_co_u32_e32 v37, vcc, 0, v37, vcc
	v_pk_mov_b32 v[0:1], s[16:17], s[16:17] op_sel:[0,1]
	v_cmp_lt_i64_e32 vcc, s[8:9], v[0:1]
	s_barrier
	s_cbranch_vccz .LBB113_10
.LBB113_3:                              ; =>This Inner Loop Header: Depth=1
	v_mov_b32_e32 v1, s9
	v_add_co_u32_e32 v0, vcc, s8, v30
	v_addc_co_u32_e32 v1, vcc, 0, v1, vcc
	v_cmp_le_i64_e32 vcc, s[16:17], v[0:1]
	s_or_b64 s[22:23], s[20:21], vcc
                                        ; implicit-def: $sgpr11
	s_and_saveexec_b64 s[24:25], s[22:23]
	s_xor_b64 s[22:23], exec, s[24:25]
	s_cbranch_execz .LBB113_5
; %bb.4:                                ;   in Loop: Header=BB113_3 Depth=1
	ds_write_b32 v79, v78
	s_mov_b32 s11, 0
.LBB113_5:                              ;   in Loop: Header=BB113_3 Depth=1
	s_or_saveexec_b64 s[22:23], s[22:23]
	v_mov_b32_e32 v0, s11
	s_xor_b64 exec, exec, s[22:23]
	s_cbranch_execz .LBB113_7
; %bb.6:                                ;   in Loop: Header=BB113_3 Depth=1
	global_load_dwordx2 v[2:3], v[36:37], off offset:-4
	s_waitcnt vmcnt(0)
	v_xor_b32_e32 v0, 0x80000000, v3
	ds_write_b32 v79, v2
.LBB113_7:                              ;   in Loop: Header=BB113_3 Depth=1
	s_or_b64 exec, exec, s[22:23]
	ds_write_b32 v79, v0 offset:4
	v_mov_b32_e32 v1, s9
	v_add_co_u32_e32 v0, vcc, s8, v32
	v_addc_co_u32_e32 v1, vcc, 0, v1, vcc
	v_cmp_gt_i64_e32 vcc, s[16:17], v[0:1]
	s_and_b64 s[24:25], vcc, s[6:7]
	v_mov_b32_e32 v0, 0
	v_mov_b32_e32 v1, 0
	s_and_saveexec_b64 s[22:23], s[24:25]
	s_cbranch_execz .LBB113_2
; %bb.8:                                ;   in Loop: Header=BB113_3 Depth=1
	global_load_dwordx2 v[0:1], v[34:35], off
	s_branch .LBB113_2
.LBB113_9:
	v_mov_b32_e32 v29, 0
	v_mov_b32_e32 v28, v78
.LBB113_10:
	s_load_dwordx4 s[28:31], s[4:5], 0x78
	s_load_dwordx8 s[20:27], s[4:5], 0x58
	v_mov_b32_e32 v1, s39
	v_add_co_u32_e32 v0, vcc, s38, v33
	s_waitcnt lgkmcnt(0)
	s_mul_i32 s5, s10, s31
	s_mul_hi_u32 s6, s10, s30
	s_mul_i32 s4, s10, s30
	s_add_i32 s5, s6, s5
	s_lshl_b64 s[4:5], s[4:5], 3
	s_add_u32 s11, s26, s4
	s_addc_u32 s30, s27, s5
	s_or_b32 s4, s34, s35
	v_addc_co_u32_e32 v1, vcc, 0, v1, vcc
	s_bitset0_b32 s4, 31
	s_cmp_lg_u32 s4, 0
	v_cmp_gt_i64_e64 s[4:5], s[14:15], v[0:1]
	s_mov_b64 s[6:7], -1
	s_cbranch_scc1 .LBB113_22
; %bb.11:
	s_and_saveexec_b64 s[16:17], s[4:5]
	s_cbranch_execz .LBB113_21
; %bb.12:
	v_mov_b32_e32 v2, s37
	v_add_co_u32_e32 v4, vcc, s36, v31
	v_addc_co_u32_e32 v5, vcc, 0, v2, vcc
	v_mul_lo_u32 v6, v1, s28
	v_mul_lo_u32 v7, v0, s29
	v_mad_u64_u32 v[2:3], s[6:7], v0, s28, 0
	v_add3_u32 v3, v3, v7, v6
	v_lshlrev_b64 v[2:3], 3, v[2:3]
	v_mov_b32_e32 v7, s30
	v_add_co_u32_e64 v6, s[6:7], s11, v2
	v_cmp_gt_i64_e32 vcc, s[12:13], v[4:5]
	v_addc_co_u32_e64 v7, s[6:7], v7, v3, s[6:7]
	v_lshlrev_b64 v[2:3], 3, v[4:5]
	s_and_saveexec_b64 s[8:9], vcc
	s_cbranch_execz .LBB113_14
; %bb.13:
	v_mul_f32_e32 v8, s19, v29
	v_mul_f32_e32 v9, s18, v29
	v_add_co_u32_e64 v10, s[6:7], v6, v2
	v_fma_f32 v8, v28, s18, -v8
	v_fmac_f32_e32 v9, s19, v28
	v_addc_co_u32_e64 v11, s[6:7], v7, v3, s[6:7]
	global_store_dwordx2 v[10:11], v[8:9], off
.LBB113_14:
	s_or_b64 exec, exec, s[8:9]
	v_add_co_u32_e64 v4, s[6:7], 16, v4
	v_addc_co_u32_e64 v5, s[6:7], 0, v5, s[6:7]
	v_cmp_gt_i64_e64 s[6:7], s[12:13], v[4:5]
	s_and_saveexec_b64 s[26:27], s[6:7]
	s_cbranch_execz .LBB113_16
; %bb.15:
	buffer_load_dword v4, off, s[0:3], 0 offset:4
	buffer_load_dword v8, off, s[0:3], 0
	s_waitcnt vmcnt(1)
	v_mul_f32_e32 v9, s19, v4
	v_mul_f32_e32 v5, s18, v4
	s_waitcnt vmcnt(0)
	v_fma_f32 v4, v8, s18, -v9
	v_fmac_f32_e32 v5, s19, v8
	v_add_co_u32_e64 v8, s[8:9], v6, v2
	v_addc_co_u32_e64 v9, s[8:9], v7, v3, s[8:9]
	global_store_dwordx2 v[8:9], v[4:5], off offset:128
.LBB113_16:
	s_or_b64 exec, exec, s[26:27]
	v_add_co_u32_e64 v4, s[8:9], 16, v0
	v_addc_co_u32_e64 v5, s[8:9], 0, v1, s[8:9]
	v_cmp_gt_i64_e64 s[8:9], s[14:15], v[4:5]
	s_and_b64 exec, exec, s[8:9]
	s_cbranch_execz .LBB113_21
; %bb.17:
	buffer_load_dword v4, off, s[0:3], 0 offset:16
	buffer_load_dword v5, off, s[0:3], 0 offset:20
	s_lshl_b64 s[8:9], s[28:29], 7
	v_mov_b32_e32 v8, s9
	v_add_co_u32_e64 v6, s[8:9], s8, v6
	v_addc_co_u32_e64 v7, s[8:9], v7, v8, s[8:9]
	v_add_co_u32_e64 v2, s[8:9], v6, v2
	v_addc_co_u32_e64 v3, s[8:9], v7, v3, s[8:9]
	s_and_saveexec_b64 s[8:9], vcc
	s_cbranch_execz .LBB113_19
; %bb.18:
	buffer_load_dword v6, off, s[0:3], 0 offset:12
	buffer_load_dword v8, off, s[0:3], 0 offset:8
	s_waitcnt vmcnt(1)
	v_mul_f32_e32 v9, s19, v6
	v_mul_f32_e32 v7, s18, v6
	s_waitcnt vmcnt(0)
	v_fma_f32 v6, v8, s18, -v9
	v_fmac_f32_e32 v7, s19, v8
	global_store_dwordx2 v[2:3], v[6:7], off
.LBB113_19:
	s_or_b64 exec, exec, s[8:9]
	s_and_b64 exec, exec, s[6:7]
	s_cbranch_execz .LBB113_21
; %bb.20:
	s_waitcnt vmcnt(0)
	v_mul_f32_e32 v6, s19, v5
	v_mul_f32_e32 v7, s18, v5
	v_fma_f32 v6, v4, s18, -v6
	v_fmac_f32_e32 v7, s19, v4
	global_store_dwordx2 v[2:3], v[6:7], off offset:128
.LBB113_21:
	s_or_b64 exec, exec, s[16:17]
	s_mov_b64 s[6:7], 0
.LBB113_22:
	s_andn2_b64 vcc, exec, s[6:7]
	s_cbranch_vccnz .LBB113_33
; %bb.23:
	s_and_saveexec_b64 s[6:7], s[4:5]
	s_cbranch_execz .LBB113_33
; %bb.24:
	s_mul_i32 s4, s10, s25
	s_mul_hi_u32 s5, s10, s24
	s_add_i32 s5, s5, s4
	s_mul_i32 s4, s10, s24
	s_lshl_b64 s[4:5], s[4:5], 3
	s_add_u32 s6, s20, s4
	v_mov_b32_e32 v2, s37
	s_waitcnt vmcnt(1)
	v_add_co_u32_e32 v4, vcc, s36, v31
	s_addc_u32 s7, s21, s5
	s_waitcnt vmcnt(0)
	v_addc_co_u32_e32 v5, vcc, 0, v2, vcc
	v_mul_lo_u32 v6, v1, s22
	v_mul_lo_u32 v7, v0, s23
	v_mad_u64_u32 v[2:3], s[4:5], v0, s22, 0
	v_add3_u32 v3, v3, v7, v6
	v_mul_lo_u32 v6, v1, s28
	v_mul_lo_u32 v7, v0, s29
	v_mad_u64_u32 v[8:9], s[4:5], v0, s28, 0
	v_lshlrev_b64 v[2:3], 3, v[2:3]
	v_add3_u32 v9, v9, v7, v6
	v_mov_b32_e32 v7, s7
	v_add_co_u32_e64 v6, s[4:5], s6, v2
	v_addc_co_u32_e64 v7, s[4:5], v7, v3, s[4:5]
	v_lshlrev_b64 v[2:3], 3, v[8:9]
	v_mov_b32_e32 v9, s30
	v_add_co_u32_e64 v8, s[4:5], s11, v2
	v_cmp_gt_i64_e32 vcc, s[12:13], v[4:5]
	v_addc_co_u32_e64 v9, s[4:5], v9, v3, s[4:5]
	v_lshlrev_b64 v[2:3], 3, v[4:5]
	s_and_saveexec_b64 s[6:7], vcc
	s_cbranch_execz .LBB113_26
; %bb.25:
	v_add_co_u32_e64 v10, s[4:5], v6, v2
	v_addc_co_u32_e64 v11, s[4:5], v7, v3, s[4:5]
	global_load_dwordx2 v[10:11], v[10:11], off
	v_mul_f32_e32 v12, s19, v29
	v_mul_f32_e32 v13, s18, v29
	v_fma_f32 v12, v28, s18, -v12
	v_fmac_f32_e32 v13, s19, v28
	s_waitcnt vmcnt(0)
	v_mul_f32_e32 v14, s35, v11
	v_mul_f32_e32 v11, s34, v11
	v_fma_f32 v14, v10, s34, -v14
	v_fmac_f32_e32 v11, s35, v10
	v_add_f32_e32 v10, v12, v14
	v_add_co_u32_e64 v12, s[4:5], v8, v2
	v_add_f32_e32 v11, v13, v11
	v_addc_co_u32_e64 v13, s[4:5], v9, v3, s[4:5]
	global_store_dwordx2 v[12:13], v[10:11], off
.LBB113_26:
	s_or_b64 exec, exec, s[6:7]
	v_add_co_u32_e64 v4, s[4:5], 16, v4
	v_addc_co_u32_e64 v5, s[4:5], 0, v5, s[4:5]
	v_cmp_gt_i64_e64 s[4:5], s[12:13], v[4:5]
	s_and_saveexec_b64 s[8:9], s[4:5]
	s_cbranch_execz .LBB113_28
; %bb.27:
	v_add_co_u32_e64 v4, s[6:7], v6, v2
	buffer_load_dword v10, off, s[0:3], 0
	buffer_load_dword v11, off, s[0:3], 0 offset:4
	v_addc_co_u32_e64 v5, s[6:7], v7, v3, s[6:7]
	global_load_dwordx2 v[4:5], v[4:5], off offset:128
	s_waitcnt vmcnt(1)
	v_mul_f32_e32 v12, s19, v11
	v_mul_f32_e32 v11, s18, v11
	v_fma_f32 v12, v10, s18, -v12
	v_fmac_f32_e32 v11, s19, v10
	s_waitcnt vmcnt(0)
	v_mul_f32_e32 v10, s35, v5
	v_mul_f32_e32 v5, s34, v5
	v_fma_f32 v10, v4, s34, -v10
	v_fmac_f32_e32 v5, s35, v4
	v_add_f32_e32 v4, v12, v10
	v_add_co_u32_e64 v10, s[6:7], v8, v2
	v_add_f32_e32 v5, v11, v5
	v_addc_co_u32_e64 v11, s[6:7], v9, v3, s[6:7]
	global_store_dwordx2 v[10:11], v[4:5], off offset:128
.LBB113_28:
	s_or_b64 exec, exec, s[8:9]
	v_add_co_u32_e64 v0, s[6:7], 16, v0
	v_addc_co_u32_e64 v1, s[6:7], 0, v1, s[6:7]
	v_cmp_gt_i64_e64 s[6:7], s[14:15], v[0:1]
	s_and_b64 exec, exec, s[6:7]
	s_cbranch_execz .LBB113_33
; %bb.29:
	buffer_load_dword v10, off, s[0:3], 0 offset:16
	buffer_load_dword v11, off, s[0:3], 0 offset:20
	s_lshl_b64 s[6:7], s[22:23], 7
	v_mov_b32_e32 v0, s7
	v_add_co_u32_e64 v1, s[6:7], s6, v6
	v_addc_co_u32_e64 v0, s[6:7], v7, v0, s[6:7]
	s_lshl_b64 s[6:7], s[28:29], 7
	v_mov_b32_e32 v4, s7
	v_add_co_u32_e64 v6, s[6:7], s6, v8
	v_addc_co_u32_e64 v7, s[6:7], v9, v4, s[6:7]
	v_add_co_u32_e64 v4, s[6:7], v1, v2
	v_addc_co_u32_e64 v5, s[6:7], v0, v3, s[6:7]
	;; [unrolled: 2-line block ×3, first 2 shown]
	s_and_saveexec_b64 s[6:7], vcc
	s_cbranch_execz .LBB113_31
; %bb.30:
	buffer_load_dword v6, off, s[0:3], 0 offset:12
	buffer_load_dword v7, off, s[0:3], 0 offset:8
	global_load_dwordx2 v[2:3], v[4:5], off
	s_waitcnt vmcnt(2)
	v_mul_f32_e32 v8, s19, v6
	v_mul_f32_e32 v6, s18, v6
	s_waitcnt vmcnt(0)
	v_mul_f32_e32 v9, s35, v3
	v_mul_f32_e32 v3, s34, v3
	v_fma_f32 v8, v7, s18, -v8
	v_fmac_f32_e32 v6, s19, v7
	v_fma_f32 v7, v2, s34, -v9
	v_fmac_f32_e32 v3, s35, v2
	v_add_f32_e32 v2, v8, v7
	v_add_f32_e32 v3, v6, v3
	global_store_dwordx2 v[0:1], v[2:3], off
.LBB113_31:
	s_or_b64 exec, exec, s[6:7]
	s_and_b64 exec, exec, s[4:5]
	s_cbranch_execz .LBB113_33
; %bb.32:
	global_load_dwordx2 v[2:3], v[4:5], off offset:128
	s_waitcnt vmcnt(1)
	v_mul_f32_e32 v4, s19, v11
	v_mul_f32_e32 v5, s18, v11
	v_fma_f32 v4, v10, s18, -v4
	v_fmac_f32_e32 v5, s19, v10
	s_waitcnt vmcnt(0)
	v_mul_f32_e32 v6, s35, v3
	v_mul_f32_e32 v3, s34, v3
	v_fma_f32 v6, v2, s34, -v6
	v_fmac_f32_e32 v3, s35, v2
	v_add_f32_e32 v2, v4, v6
	v_add_f32_e32 v3, v5, v3
	global_store_dwordx2 v[0:1], v[2:3], off offset:128
.LBB113_33:
	s_endpgm
	.section	.rodata,"a",@progbits
	.p2align	6, 0x0
	.amdhsa_kernel _ZN12_GLOBAL__N_135rocblas_gemm_batched_general_kernelI19rocblas_complex_numIfELi16ELi16ELi32ELi32ELi8ELi32ELi8ELi8ELi32ELc67ELc84EKS2_S3_S2_EEvlllT_PT11_llS6_llS4_PT12_llPT13_lli
		.amdhsa_group_segment_fixed_size 4096
		.amdhsa_private_segment_fixed_size 32
		.amdhsa_kernarg_size 140
		.amdhsa_user_sgpr_count 8
		.amdhsa_user_sgpr_private_segment_buffer 1
		.amdhsa_user_sgpr_dispatch_ptr 0
		.amdhsa_user_sgpr_queue_ptr 0
		.amdhsa_user_sgpr_kernarg_segment_ptr 1
		.amdhsa_user_sgpr_dispatch_id 0
		.amdhsa_user_sgpr_flat_scratch_init 1
		.amdhsa_user_sgpr_kernarg_preload_length 0
		.amdhsa_user_sgpr_kernarg_preload_offset 0
		.amdhsa_user_sgpr_private_segment_size 0
		.amdhsa_uses_dynamic_stack 0
		.amdhsa_system_sgpr_private_segment_wavefront_offset 1
		.amdhsa_system_sgpr_workgroup_id_x 1
		.amdhsa_system_sgpr_workgroup_id_y 1
		.amdhsa_system_sgpr_workgroup_id_z 1
		.amdhsa_system_sgpr_workgroup_info 0
		.amdhsa_system_vgpr_workitem_id 1
		.amdhsa_next_free_vgpr 128
		.amdhsa_next_free_sgpr 42
		.amdhsa_accum_offset 128
		.amdhsa_reserve_vcc 1
		.amdhsa_reserve_flat_scratch 0
		.amdhsa_float_round_mode_32 0
		.amdhsa_float_round_mode_16_64 0
		.amdhsa_float_denorm_mode_32 3
		.amdhsa_float_denorm_mode_16_64 3
		.amdhsa_dx10_clamp 1
		.amdhsa_ieee_mode 1
		.amdhsa_fp16_overflow 0
		.amdhsa_tg_split 0
		.amdhsa_exception_fp_ieee_invalid_op 0
		.amdhsa_exception_fp_denorm_src 0
		.amdhsa_exception_fp_ieee_div_zero 0
		.amdhsa_exception_fp_ieee_overflow 0
		.amdhsa_exception_fp_ieee_underflow 0
		.amdhsa_exception_fp_ieee_inexact 0
		.amdhsa_exception_int_div_zero 0
	.end_amdhsa_kernel
	.section	.text._ZN12_GLOBAL__N_135rocblas_gemm_batched_general_kernelI19rocblas_complex_numIfELi16ELi16ELi32ELi32ELi8ELi32ELi8ELi8ELi32ELc67ELc84EKS2_S3_S2_EEvlllT_PT11_llS6_llS4_PT12_llPT13_lli,"axG",@progbits,_ZN12_GLOBAL__N_135rocblas_gemm_batched_general_kernelI19rocblas_complex_numIfELi16ELi16ELi32ELi32ELi8ELi32ELi8ELi8ELi32ELc67ELc84EKS2_S3_S2_EEvlllT_PT11_llS6_llS4_PT12_llPT13_lli,comdat
.Lfunc_end113:
	.size	_ZN12_GLOBAL__N_135rocblas_gemm_batched_general_kernelI19rocblas_complex_numIfELi16ELi16ELi32ELi32ELi8ELi32ELi8ELi8ELi32ELc67ELc84EKS2_S3_S2_EEvlllT_PT11_llS6_llS4_PT12_llPT13_lli, .Lfunc_end113-_ZN12_GLOBAL__N_135rocblas_gemm_batched_general_kernelI19rocblas_complex_numIfELi16ELi16ELi32ELi32ELi8ELi32ELi8ELi8ELi32ELc67ELc84EKS2_S3_S2_EEvlllT_PT11_llS6_llS4_PT12_llPT13_lli
                                        ; -- End function
	.section	.AMDGPU.csdata,"",@progbits
; Kernel info:
; codeLenInByte = 3816
; NumSgprs: 46
; NumVgprs: 128
; NumAgprs: 0
; TotalNumVgprs: 128
; ScratchSize: 32
; MemoryBound: 0
; FloatMode: 240
; IeeeMode: 1
; LDSByteSize: 4096 bytes/workgroup (compile time only)
; SGPRBlocks: 5
; VGPRBlocks: 15
; NumSGPRsForWavesPerEU: 46
; NumVGPRsForWavesPerEU: 128
; AccumOffset: 128
; Occupancy: 4
; WaveLimiterHint : 1
; COMPUTE_PGM_RSRC2:SCRATCH_EN: 1
; COMPUTE_PGM_RSRC2:USER_SGPR: 8
; COMPUTE_PGM_RSRC2:TRAP_HANDLER: 0
; COMPUTE_PGM_RSRC2:TGID_X_EN: 1
; COMPUTE_PGM_RSRC2:TGID_Y_EN: 1
; COMPUTE_PGM_RSRC2:TGID_Z_EN: 1
; COMPUTE_PGM_RSRC2:TIDIG_COMP_CNT: 1
; COMPUTE_PGM_RSRC3_GFX90A:ACCUM_OFFSET: 31
; COMPUTE_PGM_RSRC3_GFX90A:TG_SPLIT: 0
	.section	.text._ZN12_GLOBAL__N_135rocblas_gemm_batched_general_kernelI19rocblas_complex_numIfELi16ELi16ELi32ELi32ELi8ELi32ELi8ELi8ELi32ELc78ELc67EKS2_S3_S2_EEvlllT_PT11_llS6_llS4_PT12_llPT13_lli,"axG",@progbits,_ZN12_GLOBAL__N_135rocblas_gemm_batched_general_kernelI19rocblas_complex_numIfELi16ELi16ELi32ELi32ELi8ELi32ELi8ELi8ELi32ELc78ELc67EKS2_S3_S2_EEvlllT_PT11_llS6_llS4_PT12_llPT13_lli,comdat
	.globl	_ZN12_GLOBAL__N_135rocblas_gemm_batched_general_kernelI19rocblas_complex_numIfELi16ELi16ELi32ELi32ELi8ELi32ELi8ELi8ELi32ELc78ELc67EKS2_S3_S2_EEvlllT_PT11_llS6_llS4_PT12_llPT13_lli ; -- Begin function _ZN12_GLOBAL__N_135rocblas_gemm_batched_general_kernelI19rocblas_complex_numIfELi16ELi16ELi32ELi32ELi8ELi32ELi8ELi8ELi32ELc78ELc67EKS2_S3_S2_EEvlllT_PT11_llS6_llS4_PT12_llPT13_lli
	.p2align	8
	.type	_ZN12_GLOBAL__N_135rocblas_gemm_batched_general_kernelI19rocblas_complex_numIfELi16ELi16ELi32ELi32ELi8ELi32ELi8ELi8ELi32ELc78ELc67EKS2_S3_S2_EEvlllT_PT11_llS6_llS4_PT12_llPT13_lli,@function
_ZN12_GLOBAL__N_135rocblas_gemm_batched_general_kernelI19rocblas_complex_numIfELi16ELi16ELi32ELi32ELi8ELi32ELi8ELi8ELi32ELc78ELc67EKS2_S3_S2_EEvlllT_PT11_llS6_llS4_PT12_llPT13_lli: ; @_ZN12_GLOBAL__N_135rocblas_gemm_batched_general_kernelI19rocblas_complex_numIfELi16ELi16ELi32ELi32ELi8ELi32ELi8ELi8ELi32ELc78ELc67EKS2_S3_S2_EEvlllT_PT11_llS6_llS4_PT12_llPT13_lli
; %bb.0:
	s_load_dwordx16 s[16:31], s[4:5], 0x0
	s_load_dwordx2 s[34:35], s[4:5], 0x50
	s_add_u32 s0, s0, s11
	s_mov_b32 s12, s9
	s_addc_u32 s1, s1, 0
	s_ashr_i32 s9, s8, 31
	s_ashr_i32 s13, s12, 31
	s_waitcnt lgkmcnt(0)
	v_cmp_lt_i64_e64 s[6:7], s[20:21], 1
	v_and_b32_e32 v31, 0x3ff, v0
	v_bfe_u32 v33, v0, 10, 10
	v_mov_b32_e32 v78, 0
	s_lshl_b64 s[40:41], s[8:9], 5
	s_lshl_b64 s[42:43], s[12:13], 5
	s_and_b64 vcc, exec, s[6:7]
	buffer_store_dword v78, off, s[0:3], 0 offset:4
	buffer_store_dword v78, off, s[0:3], 0
	buffer_store_dword v78, off, s[0:3], 0 offset:12
	buffer_store_dword v78, off, s[0:3], 0 offset:8
	;; [unrolled: 1-line block ×4, first 2 shown]
	s_cbranch_vccnz .LBB114_9
; %bb.1:
	v_lshl_add_u32 v4, v33, 4, v31
	s_load_dwordx4 s[36:39], s[4:5], 0x40
	v_lshrrev_b32_e32 v5, 3, v4
	v_mov_b32_e32 v1, s43
	v_add_co_u32_e32 v0, vcc, s42, v5
	v_and_b32_e32 v32, 7, v31
	v_addc_co_u32_e32 v1, vcc, 0, v1, vcc
	v_cmp_gt_i64_e32 vcc, s[18:19], v[0:1]
	v_lshlrev_b32_e32 v0, 3, v32
	v_lshl_or_b32 v0, v5, 6, v0
	v_and_b32_e32 v6, 31, v4
	v_add_u32_e32 v80, 0x800, v0
	v_mov_b32_e32 v0, 0x800
	s_waitcnt lgkmcnt(0)
	s_mul_i32 s11, s39, s10
	s_mul_hi_u32 s14, s38, s10
	v_mov_b32_e32 v3, s41
	v_or_b32_e32 v2, s40, v6
	v_lshl_add_u32 v82, v33, 6, v0
	s_add_i32 s15, s14, s11
	s_mul_i32 s14, s38, s10
	v_mad_u64_u32 v[0:1], s[38:39], s36, v32, 0
	v_cmp_gt_i64_e64 s[6:7], s[16:17], v[2:3]
	v_mov_b32_e32 v2, v1
	s_lshl_b64 s[14:15], s[14:15], 3
	v_mad_u64_u32 v[2:3], s[38:39], s37, v32, v[2:3]
	s_lshl_b64 s[12:13], s[12:13], 8
	v_mov_b32_e32 v1, v2
	s_add_u32 s11, s12, s14
	v_lshlrev_b64 v[0:1], 3, v[0:1]
	s_addc_u32 s12, s13, s15
	v_mov_b32_e32 v2, s12
	v_add_co_u32_e64 v0, s[12:13], s11, v0
	v_addc_co_u32_e64 v1, s[12:13], v2, v1, s[12:13]
	v_and_b32_e32 v2, 0x7ff8, v4
	v_add_co_u32_e64 v0, s[12:13], v0, v2
	v_addc_co_u32_e64 v1, s[12:13], 0, v1, s[12:13]
	v_mov_b32_e32 v2, s31
	v_add_co_u32_e64 v0, s[12:13], s30, v0
	v_addc_co_u32_e64 v1, s[12:13], v1, v2, s[12:13]
	v_lshrrev_b32_e32 v30, 5, v4
	v_add_co_u32_e64 v34, s[12:13], 4, v0
	v_addc_co_u32_e64 v35, s[12:13], 0, v1, s[12:13]
	v_mad_u64_u32 v[0:1], s[14:15], s26, v30, 0
	v_mov_b32_e32 v2, v1
	v_mad_u64_u32 v[2:3], s[14:15], s27, v30, v[2:3]
	s_mul_i32 s11, s29, s10
	s_mul_hi_u32 s14, s28, s10
	s_add_i32 s15, s14, s11
	s_mul_i32 s14, s28, s10
	s_lshl_b64 s[12:13], s[36:37], 6
	s_lshl_b64 s[14:15], s[14:15], 3
	;; [unrolled: 1-line block ×3, first 2 shown]
	v_mov_b32_e32 v1, v2
	s_add_u32 s8, s8, s14
	v_lshlrev_b64 v[0:1], 3, v[0:1]
	s_addc_u32 s9, s9, s15
	v_mov_b32_e32 v2, s9
	v_add_co_u32_e64 v0, s[8:9], s8, v0
	v_lshlrev_b32_e32 v6, 3, v6
	v_addc_co_u32_e64 v1, s[8:9], v2, v1, s[8:9]
	v_add_co_u32_e64 v0, s[8:9], v0, v6
	v_addc_co_u32_e64 v1, s[8:9], 0, v1, s[8:9]
	v_mov_b32_e32 v2, s25
	v_add_co_u32_e64 v36, s[8:9], s24, v0
	v_mov_b32_e32 v28, 0
	v_addc_co_u32_e64 v37, s[8:9], v2, v1, s[8:9]
	v_lshl_or_b32 v79, v30, 8, v6
	v_lshlrev_b32_e32 v81, 3, v31
	s_lshl_b64 s[8:9], s[26:27], 6
	s_mov_b64 s[14:15], 0
	s_xor_b64 s[24:25], vcc, -1
	v_mov_b32_e32 v29, v28
	s_branch .LBB114_3
.LBB114_2:                              ;   in Loop: Header=BB114_3 Depth=1
	s_or_b64 exec, exec, s[26:27]
	ds_write_b32 v80, v0 offset:4
	s_waitcnt lgkmcnt(0)
	s_barrier
	ds_read2_b64 v[12:15], v81 offset0:32 offset1:48
	ds_read2_b64 v[16:19], v81 offset0:64 offset1:80
	;; [unrolled: 1-line block ×3, first 2 shown]
	ds_read_b128 v[4:7], v82
	ds_read_b128 v[0:3], v82 offset:16
	ds_read_b128 v[84:87], v82 offset:1024
	;; [unrolled: 1-line block ×3, first 2 shown]
	s_waitcnt lgkmcnt(6)
	v_mov_b32_e32 v49, v12
	s_waitcnt lgkmcnt(3)
	v_pk_mul_f32 v[20:21], v[6:7], v[12:13] op_sel:[0,1]
	v_pk_fma_f32 v[40:41], v[6:7], v[12:13], v[20:21] op_sel:[0,0,1] op_sel_hi:[1,0,0] neg_lo:[0,0,1] neg_hi:[0,0,1]
	v_pk_fma_f32 v[42:43], v[6:7], v[12:13], v[20:21] op_sel:[0,0,1] op_sel_hi:[1,0,0]
	v_mul_f32_e32 v12, v6, v14
	v_mov_b32_e32 v53, v13
	v_mov_b32_e32 v54, v13
	v_fma_f32 v83, -v7, v15, v12
	s_waitcnt lgkmcnt(2)
	v_pk_mul_f32 v[12:13], v[0:1], v[16:17] op_sel:[0,1]
	v_pk_fma_f32 v[56:57], v[0:1], v[16:17], v[12:13] op_sel:[0,0,1] op_sel_hi:[1,0,0] neg_lo:[0,0,1] neg_hi:[0,0,1]
	v_pk_fma_f32 v[58:59], v[0:1], v[16:17], v[12:13] op_sel:[0,0,1] op_sel_hi:[1,0,0]
	v_mul_f32_e32 v12, v0, v18
	v_fma_f32 v58, -v1, v19, v12
	v_pk_mul_f32 v[12:13], v[2:3], v[8:9] op_sel:[0,1]
	v_mov_b32_e32 v39, v8
	v_pk_fma_f32 v[64:65], v[2:3], v[8:9], v[12:13] op_sel:[0,0,1] op_sel_hi:[1,0,0] neg_lo:[0,0,1] neg_hi:[0,0,1]
	v_pk_fma_f32 v[66:67], v[2:3], v[8:9], v[12:13] op_sel:[0,0,1] op_sel_hi:[1,0,0]
	v_mul_f32_e32 v8, v2, v10
	s_waitcnt lgkmcnt(0)
	v_mul_f32_e32 v124, v27, v10
	v_mov_b32_e32 v38, v10
	v_mov_b32_e32 v96, v11
	v_mov_b32_e32 v97, v9
	v_mov_b32_e32 v98, v9
	v_mov_b32_e32 v99, v11
	ds_read2_b64 v[70:73], v81 offset0:128 offset1:144
	v_fma_f32 v66, -v3, v11, v8
	v_fmac_f32_e32 v124, v26, v11
	ds_read_b128 v[8:11], v82 offset:32
	ds_read_b128 v[20:23], v82 offset:1056
	v_mul_f32_e32 v123, v25, v18
	ds_read2_b64 v[88:91], v81 offset0:160 offset1:176
	v_mov_b32_e32 v44, v18
	v_mov_b32_e32 v45, v16
	;; [unrolled: 1-line block ×6, first 2 shown]
	v_fmac_f32_e32 v123, v24, v19
	ds_read_b128 v[16:19], v82 offset:48
	ds_read2_b64 v[92:95], v81 offset0:192 offset1:208
	s_waitcnt lgkmcnt(4)
	v_pk_mul_f32 v[12:13], v[8:9], v[70:71] op_sel:[0,1]
	v_mul_f32_e32 v122, v87, v14
	v_pk_fma_f32 v[100:101], v[8:9], v[70:71], v[12:13] op_sel:[0,0,1] op_sel_hi:[1,0,0] neg_lo:[0,0,1] neg_hi:[0,0,1]
	v_pk_fma_f32 v[102:103], v[8:9], v[70:71], v[12:13] op_sel:[0,0,1] op_sel_hi:[1,0,0]
	v_mul_f32_e32 v12, v8, v72
	v_mov_b32_e32 v48, v14
	v_mov_b32_e32 v52, v15
	;; [unrolled: 1-line block ×3, first 2 shown]
	v_fmac_f32_e32 v122, v86, v15
	v_fma_f32 v102, -v9, v73, v12
	ds_read_b128 v[12:15], v82 offset:1072
	s_waitcnt lgkmcnt(4)
	v_mul_f32_e32 v125, v21, v72
	v_mov_b32_e32 v60, v72
	v_mov_b32_e32 v68, v73
	;; [unrolled: 1-line block ×3, first 2 shown]
	v_fmac_f32_e32 v125, v20, v73
	s_waitcnt lgkmcnt(3)
	v_pk_mul_f32 v[72:73], v[10:11], v[88:89] op_sel:[0,1]
	v_mov_b32_e32 v69, v71
	v_mov_b32_e32 v62, v71
	;; [unrolled: 1-line block ×5, first 2 shown]
	v_pk_fma_f32 v[106:107], v[10:11], v[88:89], v[72:73] op_sel:[0,0,1] op_sel_hi:[1,0,0] neg_lo:[0,0,1] neg_hi:[0,0,1]
	v_pk_fma_f32 v[108:109], v[10:11], v[88:89], v[72:73] op_sel:[0,0,1] op_sel_hi:[1,0,0]
	v_mul_f32_e32 v41, v10, v90
	v_mul_f32_e32 v126, v23, v90
	s_waitcnt lgkmcnt(1)
	v_pk_mul_f32 v[88:89], v[16:17], v[92:93] op_sel:[0,1]
	v_mov_b32_e32 v61, v70
	v_mov_b32_e32 v70, v90
	;; [unrolled: 1-line block ×4, first 2 shown]
	v_fma_f32 v108, -v11, v91, v41
	v_fmac_f32_e32 v126, v22, v91
	v_mov_b32_e32 v73, v92
	v_mov_b32_e32 v77, v93
	v_mov_b32_e32 v110, v93
	v_pk_fma_f32 v[112:113], v[16:17], v[92:93], v[88:89] op_sel:[0,0,1] op_sel_hi:[1,0,0] neg_lo:[0,0,1] neg_hi:[0,0,1]
	v_pk_fma_f32 v[92:93], v[16:17], v[92:93], v[88:89] op_sel:[0,0,1] op_sel_hi:[1,0,0]
	ds_read2_b64 v[88:91], v81 offset1:16
	v_mul_f32_e32 v41, v16, v94
	s_waitcnt lgkmcnt(1)
	v_mul_f32_e32 v127, v13, v94
	v_mov_b32_e32 v72, v94
	v_mov_b32_e32 v76, v95
	v_mov_b32_e32 v111, v95
	v_fma_f32 v92, -v17, v95, v41
	v_fmac_f32_e32 v127, v12, v95
	s_waitcnt lgkmcnt(0)
	v_mov_b32_e32 v94, v91
	v_mov_b32_e32 v95, v89
	;; [unrolled: 1-line block ×4, first 2 shown]
	v_pk_mul_f32 v[118:119], v[4:5], v[88:89] op_sel:[0,1]
	v_pk_mul_f32 v[94:95], v[114:115], v[94:95]
	v_mov_b32_e32 v115, v88
	v_mov_b32_e32 v116, v89
	v_pk_fma_f32 v[120:121], v[4:5], v[88:89], v[118:119] op_sel:[0,0,1] op_sel_hi:[1,0,0] neg_lo:[0,0,1] neg_hi:[0,0,1]
	v_pk_fma_f32 v[88:89], v[4:5], v[88:89], v[118:119] op_sel:[0,0,1] op_sel_hi:[1,0,0]
	v_mul_f32_e32 v4, v4, v90
	v_fma_f32 v88, -v5, v91, v4
	v_mul_f32_e32 v118, v85, v90
	v_mov_b32_e32 v4, v5
	v_mov_b32_e32 v114, v90
	;; [unrolled: 1-line block ×3, first 2 shown]
	v_fmac_f32_e32 v118, v84, v91
	v_pk_fma_f32 v[90:91], v[4:5], v[90:91], v[94:95]
	v_mov_b32_e32 v5, v84
	v_pk_fma_f32 v[4:5], v[4:5], v[114:115], v[94:95] neg_lo:[0,0,1] neg_hi:[0,0,1]
	v_pk_mul_f32 v[94:95], v[84:85], v[114:115]
	v_pk_fma_f32 v[114:115], v[84:85], v[116:117], v[94:95] op_sel:[0,0,1] op_sel_hi:[1,1,0]
	v_pk_fma_f32 v[84:85], v[84:85], v[116:117], v[94:95] op_sel:[0,0,1] op_sel_hi:[1,1,0] neg_lo:[1,0,0] neg_hi:[1,0,0]
	v_pk_mul_f32 v[94:95], v[86:87], v[48:49]
	v_pk_fma_f32 v[116:117], v[86:87], v[54:55], v[94:95] op_sel:[0,0,1] op_sel_hi:[1,1,0]
	v_pk_fma_f32 v[54:55], v[86:87], v[54:55], v[94:95] op_sel:[0,0,1] op_sel_hi:[1,1,0] neg_lo:[1,0,0] neg_hi:[1,0,0]
	v_mov_b32_e32 v95, v86
	v_mov_b32_e32 v86, v6
	v_mov_b32_e32 v94, v7
	v_mov_b32_e32 v4, v7
	v_pk_mul_f32 v[6:7], v[86:87], v[52:53]
	v_pk_fma_f32 v[52:53], v[4:5], v[48:49], v[6:7]
	v_pk_fma_f32 v[6:7], v[94:95], v[48:49], v[6:7] neg_lo:[0,0,1] neg_hi:[0,0,1]
	buffer_load_dword v94, off, s[0:3], 0 offset:12
	buffer_load_dword v95, off, s[0:3], 0 offset:16
	buffer_load_dword v6, off, s[0:3], 0
	v_mov_b32_e32 v48, v0
	v_mov_b32_e32 v49, v25
	v_pk_mul_f32 v[48:49], v[48:49], v[50:51]
	v_mov_b32_e32 v0, v1
	v_mov_b32_e32 v50, v1
	;; [unrolled: 1-line block ×3, first 2 shown]
	v_pk_fma_f32 v[86:87], v[0:1], v[44:45], v[48:49]
	v_pk_mul_f32 v[0:1], v[24:25], v[44:45]
	v_pk_fma_f32 v[48:49], v[50:51], v[44:45], v[48:49] neg_lo:[0,0,1] neg_hi:[0,0,1]
	v_pk_fma_f32 v[44:45], v[24:25], v[46:47], v[0:1] op_sel:[0,0,1] op_sel_hi:[1,1,0]
	v_pk_fma_f32 v[24:25], v[24:25], v[46:47], v[0:1] op_sel:[0,0,1] op_sel_hi:[1,1,0] neg_lo:[1,0,0] neg_hi:[1,0,0]
	v_pk_mul_f32 v[0:1], v[26:27], v[38:39]
	v_pk_fma_f32 v[46:47], v[26:27], v[98:99], v[0:1] op_sel:[0,0,1] op_sel_hi:[1,1,0]
	v_pk_fma_f32 v[50:51], v[26:27], v[98:99], v[0:1] op_sel:[0,0,1] op_sel_hi:[1,1,0] neg_lo:[1,0,0] neg_hi:[1,0,0]
	v_mov_b32_e32 v1, v27
	v_mov_b32_e32 v0, v2
	;; [unrolled: 1-line block ×4, first 2 shown]
	v_pk_mul_f32 v[0:1], v[0:1], v[96:97]
	v_mov_b32_e32 v2, v3
	v_pk_fma_f32 v[26:27], v[26:27], v[38:39], v[0:1] neg_lo:[0,0,1] neg_hi:[0,0,1]
	v_pk_fma_f32 v[96:97], v[2:3], v[38:39], v[0:1]
	buffer_load_dword v26, off, s[0:3], 0 offset:20
	buffer_load_dword v38, off, s[0:3], 0 offset:4
	;; [unrolled: 1-line block ×3, first 2 shown]
	v_mov_b32_e32 v121, v89
	v_pk_add_f32 v[0:1], v[28:29], v[120:121]
	v_mov_b32_e32 v41, v43
	v_pk_add_f32 v[0:1], v[0:1], v[40:41]
	v_mov_b32_e32 v57, v59
	v_pk_add_f32 v[0:1], v[0:1], v[56:57]
	v_mov_b32_e32 v65, v67
	v_pk_add_f32 v[0:1], v[0:1], v[64:65]
	v_mov_b32_e32 v101, v103
	v_pk_add_f32 v[28:29], v[0:1], v[100:101]
	ds_read2_b64 v[0:3], v81 offset0:224 offset1:240
	v_mov_b32_e32 v115, v85
	v_mov_b32_e32 v117, v55
	v_mov_b32_e32 v107, v109
	v_mov_b32_e32 v45, v25
	s_waitcnt lgkmcnt(0)
	v_pk_mul_f32 v[40:41], v[18:19], v[0:1] op_sel:[0,1]
	v_pk_fma_f32 v[42:43], v[18:19], v[0:1], v[40:41] op_sel:[0,0,1] op_sel_hi:[1,0,0] neg_lo:[0,0,1] neg_hi:[0,0,1]
	v_pk_fma_f32 v[40:41], v[18:19], v[0:1], v[40:41] op_sel:[0,0,1] op_sel_hi:[1,0,0]
	v_mov_b32_e32 v43, v41
	v_pk_add_f32 v[28:29], v[28:29], v[106:107]
	v_mov_b32_e32 v113, v93
	v_pk_add_f32 v[28:29], v[28:29], v[112:113]
	;; [unrolled: 2-line block ×3, first 2 shown]
	v_mov_b32_e32 v42, v9
	v_mov_b32_e32 v91, v5
	;; [unrolled: 1-line block ×7, first 2 shown]
	v_add_co_u32_e32 v34, vcc, s12, v34
	s_add_u32 s14, s14, 8
	s_addc_u32 s15, s15, 0
	s_waitcnt vmcnt(4)
	v_pk_add_f32 v[40:41], v[94:95], v[114:115]
	v_pk_add_f32 v[40:41], v[40:41], v[116:117]
	;; [unrolled: 1-line block ×3, first 2 shown]
	v_mov_b32_e32 v40, v8
	v_mov_b32_e32 v41, v21
	v_pk_mul_f32 v[40:41], v[40:41], v[68:69]
	v_pk_fma_f32 v[8:9], v[4:5], v[60:61], v[40:41]
	s_waitcnt vmcnt(3)
	v_add_f32_e32 v4, v6, v88
	v_add_f32_e32 v4, v4, v83
	;; [unrolled: 1-line block ×6, first 2 shown]
	v_mul_f32_e32 v5, v18, v2
	v_add_f32_e32 v4, v4, v92
	v_fma_f32 v5, -v19, v3, v5
	v_pk_fma_f32 v[40:41], v[42:43], v[60:61], v[40:41] neg_lo:[0,0,1] neg_hi:[0,0,1]
	v_pk_mul_f32 v[42:43], v[20:21], v[60:61]
	v_add_f32_e32 v4, v4, v5
	v_pk_fma_f32 v[44:45], v[20:21], v[62:63], v[42:43] op_sel:[0,0,1] op_sel_hi:[1,1,0]
	v_pk_fma_f32 v[20:21], v[20:21], v[62:63], v[42:43] op_sel:[0,0,1] op_sel_hi:[1,1,0] neg_lo:[1,0,0] neg_hi:[1,0,0]
	buffer_store_dword v4, off, s[0:3], 0
	s_waitcnt vmcnt(3)
	v_add_f32_e32 v4, v26, v118
	v_pk_add_f32 v[24:25], v[24:25], v[46:47]
	v_mov_b32_e32 v45, v21
	v_add_f32_e32 v4, v4, v122
	v_pk_add_f32 v[20:21], v[24:25], v[44:45]
	v_pk_mul_f32 v[24:25], v[22:23], v[70:71]
	v_add_f32_e32 v4, v4, v123
	v_pk_fma_f32 v[42:43], v[22:23], v[104:105], v[24:25] op_sel:[0,0,1] op_sel_hi:[1,1,0]
	v_pk_fma_f32 v[24:25], v[22:23], v[104:105], v[24:25] op_sel:[0,0,1] op_sel_hi:[1,1,0] neg_lo:[1,0,0] neg_hi:[1,0,0]
	v_add_f32_e32 v4, v4, v124
	v_mov_b32_e32 v43, v25
	v_pk_mul_f32 v[24:25], v[12:13], v[72:73]
	v_add_f32_e32 v4, v4, v125
	v_pk_add_f32 v[20:21], v[20:21], v[42:43]
	v_pk_fma_f32 v[42:43], v[12:13], v[110:111], v[24:25] op_sel:[0,0,1] op_sel_hi:[1,1,0]
	v_pk_fma_f32 v[24:25], v[12:13], v[110:111], v[24:25] op_sel:[0,0,1] op_sel_hi:[1,1,0] neg_lo:[1,0,0] neg_hi:[1,0,0]
	v_add_f32_e32 v4, v4, v126
	v_mov_b32_e32 v43, v25
	v_add_f32_e32 v25, v4, v127
	s_waitcnt vmcnt(1)
	v_pk_add_f32 v[4:5], v[38:39], v[90:91]
	v_pk_add_f32 v[4:5], v[4:5], v[52:53]
	;; [unrolled: 1-line block ×4, first 2 shown]
	v_mov_b32_e32 v9, v41
	v_pk_add_f32 v[4:5], v[4:5], v[8:9]
	v_mov_b32_e32 v8, v10
	v_mov_b32_e32 v9, v23
	;; [unrolled: 1-line block ×3, first 2 shown]
	v_pk_mul_f32 v[8:9], v[8:9], v[74:75]
	v_mov_b32_e32 v10, v11
	v_mov_b32_e32 v11, v22
	v_pk_fma_f32 v[6:7], v[6:7], v[70:71], v[8:9]
	v_pk_fma_f32 v[8:9], v[10:11], v[70:71], v[8:9] neg_lo:[0,0,1] neg_hi:[0,0,1]
	v_mov_b32_e32 v7, v9
	v_pk_add_f32 v[4:5], v[4:5], v[6:7]
	v_mov_b32_e32 v6, v16
	v_mov_b32_e32 v7, v13
	;; [unrolled: 1-line block ×3, first 2 shown]
	v_pk_mul_f32 v[6:7], v[6:7], v[76:77]
	v_mov_b32_e32 v8, v17
	v_mov_b32_e32 v9, v12
	v_pk_fma_f32 v[10:11], v[24:25], v[72:73], v[6:7]
	v_pk_fma_f32 v[6:7], v[8:9], v[72:73], v[6:7] neg_lo:[0,0,1] neg_hi:[0,0,1]
	v_mov_b32_e32 v38, v3
	v_mov_b32_e32 v39, v1
	;; [unrolled: 1-line block ×9, first 2 shown]
	v_pk_mul_f32 v[8:9], v[18:19], v[38:39]
	v_pk_add_f32 v[20:21], v[20:21], v[42:43]
	v_mov_b32_e32 v42, v1
	v_pk_fma_f32 v[0:1], v[0:1], v[44:45], v[8:9]
	v_pk_fma_f32 v[6:7], v[6:7], v[44:45], v[8:9] neg_lo:[0,0,1] neg_hi:[0,0,1]
	v_pk_add_f32 v[4:5], v[4:5], v[10:11]
	v_mov_b32_e32 v1, v7
	v_pk_add_f32 v[0:1], v[4:5], v[0:1]
	v_mov_b32_e32 v43, v3
	buffer_store_dword v1, off, s[0:3], 0 offset:8
	buffer_store_dword v0, off, s[0:3], 0 offset:4
	v_pk_mul_f32 v[0:1], v[14:15], v[44:45]
	v_pk_fma_f32 v[4:5], v[14:15], v[42:43], v[0:1] op_sel:[0,0,1] op_sel_hi:[1,1,0]
	v_pk_fma_f32 v[0:1], v[14:15], v[42:43], v[0:1] op_sel:[0,0,1] op_sel_hi:[1,1,0] neg_lo:[1,0,0] neg_hi:[1,0,0]
	v_mov_b32_e32 v5, v1
	v_mul_f32_e32 v2, v15, v2
	v_fmac_f32_e32 v2, v14, v3
	v_pk_add_f32 v[0:1], v[20:21], v[4:5]
	v_add_f32_e32 v2, v25, v2
	buffer_store_dword v0, off, s[0:3], 0 offset:12
	buffer_store_dword v1, off, s[0:3], 0 offset:16
	;; [unrolled: 1-line block ×3, first 2 shown]
	v_mov_b32_e32 v0, s13
	v_addc_co_u32_e32 v35, vcc, v35, v0, vcc
	v_mov_b32_e32 v0, s9
	v_add_co_u32_e32 v36, vcc, s8, v36
	v_addc_co_u32_e32 v37, vcc, v37, v0, vcc
	v_pk_mov_b32 v[0:1], s[20:21], s[20:21] op_sel:[0,1]
	v_cmp_lt_i64_e32 vcc, s[14:15], v[0:1]
	s_barrier
	s_cbranch_vccz .LBB114_10
.LBB114_3:                              ; =>This Inner Loop Header: Depth=1
	v_mov_b32_e32 v1, s15
	v_add_co_u32_e32 v0, vcc, s14, v30
	v_addc_co_u32_e32 v1, vcc, 0, v1, vcc
	v_cmp_gt_i64_e32 vcc, s[20:21], v[0:1]
	s_and_b64 s[28:29], s[6:7], vcc
	v_mov_b32_e32 v0, 0
	v_mov_b32_e32 v1, 0
	s_and_saveexec_b64 s[26:27], s[28:29]
	s_cbranch_execz .LBB114_5
; %bb.4:                                ;   in Loop: Header=BB114_3 Depth=1
	global_load_dwordx2 v[0:1], v[36:37], off
.LBB114_5:                              ;   in Loop: Header=BB114_3 Depth=1
	s_or_b64 exec, exec, s[26:27]
	s_waitcnt vmcnt(0)
	ds_write_b64 v79, v[0:1]
	v_mov_b32_e32 v1, s15
	v_add_co_u32_e32 v0, vcc, s14, v32
	v_addc_co_u32_e32 v1, vcc, 0, v1, vcc
	v_cmp_le_i64_e32 vcc, s[20:21], v[0:1]
	s_or_b64 s[26:27], vcc, s[24:25]
                                        ; implicit-def: $sgpr11
	s_and_saveexec_b64 s[28:29], s[26:27]
	s_xor_b64 s[26:27], exec, s[28:29]
	s_cbranch_execz .LBB114_7
; %bb.6:                                ;   in Loop: Header=BB114_3 Depth=1
	ds_write_b32 v80, v78
	s_mov_b32 s11, 0
.LBB114_7:                              ;   in Loop: Header=BB114_3 Depth=1
	s_or_saveexec_b64 s[26:27], s[26:27]
	v_mov_b32_e32 v0, s11
	s_xor_b64 exec, exec, s[26:27]
	s_cbranch_execz .LBB114_2
; %bb.8:                                ;   in Loop: Header=BB114_3 Depth=1
	global_load_dwordx2 v[2:3], v[34:35], off offset:-4
	s_waitcnt vmcnt(0)
	v_xor_b32_e32 v0, 0x80000000, v3
	ds_write_b32 v80, v2
	s_branch .LBB114_2
.LBB114_9:
	v_mov_b32_e32 v29, 0
	v_mov_b32_e32 v28, v78
.LBB114_10:
	s_load_dwordx4 s[12:15], s[4:5], 0x78
	s_load_dwordx8 s[24:31], s[4:5], 0x58
	v_mov_b32_e32 v1, s43
	v_add_co_u32_e32 v0, vcc, s42, v33
	s_waitcnt lgkmcnt(0)
	s_mul_i32 s5, s10, s15
	s_mul_hi_u32 s6, s10, s14
	s_mul_i32 s4, s10, s14
	s_add_i32 s5, s6, s5
	s_lshl_b64 s[4:5], s[4:5], 3
	s_add_u32 s11, s30, s4
	s_addc_u32 s30, s31, s5
	s_or_b32 s4, s34, s35
	v_addc_co_u32_e32 v1, vcc, 0, v1, vcc
	s_bitset0_b32 s4, 31
	s_cmp_lg_u32 s4, 0
	v_cmp_gt_i64_e64 s[4:5], s[18:19], v[0:1]
	s_mov_b64 s[6:7], -1
	s_cbranch_scc1 .LBB114_22
; %bb.11:
	s_and_saveexec_b64 s[14:15], s[4:5]
	s_cbranch_execz .LBB114_21
; %bb.12:
	v_mov_b32_e32 v2, s41
	v_add_co_u32_e32 v4, vcc, s40, v31
	v_addc_co_u32_e32 v5, vcc, 0, v2, vcc
	v_mul_lo_u32 v6, v1, s12
	v_mul_lo_u32 v7, v0, s13
	v_mad_u64_u32 v[2:3], s[6:7], v0, s12, 0
	v_add3_u32 v3, v3, v7, v6
	v_lshlrev_b64 v[2:3], 3, v[2:3]
	v_mov_b32_e32 v7, s30
	v_add_co_u32_e64 v6, s[6:7], s11, v2
	v_cmp_gt_i64_e32 vcc, s[16:17], v[4:5]
	v_addc_co_u32_e64 v7, s[6:7], v7, v3, s[6:7]
	v_lshlrev_b64 v[2:3], 3, v[4:5]
	s_and_saveexec_b64 s[8:9], vcc
	s_cbranch_execz .LBB114_14
; %bb.13:
	v_mul_f32_e32 v8, s23, v29
	v_mul_f32_e32 v9, s22, v29
	v_add_co_u32_e64 v10, s[6:7], v6, v2
	v_fma_f32 v8, v28, s22, -v8
	v_fmac_f32_e32 v9, s23, v28
	v_addc_co_u32_e64 v11, s[6:7], v7, v3, s[6:7]
	global_store_dwordx2 v[10:11], v[8:9], off
.LBB114_14:
	s_or_b64 exec, exec, s[8:9]
	v_add_co_u32_e64 v4, s[6:7], 16, v4
	v_addc_co_u32_e64 v5, s[6:7], 0, v5, s[6:7]
	v_cmp_gt_i64_e64 s[6:7], s[16:17], v[4:5]
	s_and_saveexec_b64 s[20:21], s[6:7]
	s_cbranch_execz .LBB114_16
; %bb.15:
	buffer_load_dword v4, off, s[0:3], 0 offset:4
	buffer_load_dword v8, off, s[0:3], 0
	s_waitcnt vmcnt(1)
	v_mul_f32_e32 v9, s23, v4
	v_mul_f32_e32 v5, s22, v4
	s_waitcnt vmcnt(0)
	v_fma_f32 v4, v8, s22, -v9
	v_fmac_f32_e32 v5, s23, v8
	v_add_co_u32_e64 v8, s[8:9], v6, v2
	v_addc_co_u32_e64 v9, s[8:9], v7, v3, s[8:9]
	global_store_dwordx2 v[8:9], v[4:5], off offset:128
.LBB114_16:
	s_or_b64 exec, exec, s[20:21]
	v_add_co_u32_e64 v4, s[8:9], 16, v0
	v_addc_co_u32_e64 v5, s[8:9], 0, v1, s[8:9]
	v_cmp_gt_i64_e64 s[8:9], s[18:19], v[4:5]
	s_and_b64 exec, exec, s[8:9]
	s_cbranch_execz .LBB114_21
; %bb.17:
	buffer_load_dword v4, off, s[0:3], 0 offset:16
	buffer_load_dword v5, off, s[0:3], 0 offset:20
	s_lshl_b64 s[8:9], s[12:13], 7
	v_mov_b32_e32 v8, s9
	v_add_co_u32_e64 v6, s[8:9], s8, v6
	v_addc_co_u32_e64 v7, s[8:9], v7, v8, s[8:9]
	v_add_co_u32_e64 v2, s[8:9], v6, v2
	v_addc_co_u32_e64 v3, s[8:9], v7, v3, s[8:9]
	s_and_saveexec_b64 s[8:9], vcc
	s_cbranch_execz .LBB114_19
; %bb.18:
	buffer_load_dword v6, off, s[0:3], 0 offset:12
	buffer_load_dword v8, off, s[0:3], 0 offset:8
	s_waitcnt vmcnt(1)
	v_mul_f32_e32 v9, s23, v6
	v_mul_f32_e32 v7, s22, v6
	s_waitcnt vmcnt(0)
	v_fma_f32 v6, v8, s22, -v9
	v_fmac_f32_e32 v7, s23, v8
	global_store_dwordx2 v[2:3], v[6:7], off
.LBB114_19:
	s_or_b64 exec, exec, s[8:9]
	s_and_b64 exec, exec, s[6:7]
	s_cbranch_execz .LBB114_21
; %bb.20:
	s_waitcnt vmcnt(0)
	v_mul_f32_e32 v6, s23, v5
	v_mul_f32_e32 v7, s22, v5
	v_fma_f32 v6, v4, s22, -v6
	v_fmac_f32_e32 v7, s23, v4
	global_store_dwordx2 v[2:3], v[6:7], off offset:128
.LBB114_21:
	s_or_b64 exec, exec, s[14:15]
	s_mov_b64 s[6:7], 0
.LBB114_22:
	s_andn2_b64 vcc, exec, s[6:7]
	s_cbranch_vccnz .LBB114_33
; %bb.23:
	s_and_saveexec_b64 s[6:7], s[4:5]
	s_cbranch_execz .LBB114_33
; %bb.24:
	s_mul_i32 s4, s10, s29
	s_mul_hi_u32 s5, s10, s28
	s_add_i32 s5, s5, s4
	s_mul_i32 s4, s10, s28
	s_lshl_b64 s[4:5], s[4:5], 3
	s_add_u32 s6, s24, s4
	v_mov_b32_e32 v2, s41
	s_waitcnt vmcnt(1)
	v_add_co_u32_e32 v4, vcc, s40, v31
	s_addc_u32 s7, s25, s5
	s_waitcnt vmcnt(0)
	v_addc_co_u32_e32 v5, vcc, 0, v2, vcc
	v_mul_lo_u32 v6, v1, s26
	v_mul_lo_u32 v7, v0, s27
	v_mad_u64_u32 v[2:3], s[4:5], v0, s26, 0
	v_add3_u32 v3, v3, v7, v6
	v_mul_lo_u32 v6, v1, s12
	v_mul_lo_u32 v7, v0, s13
	v_mad_u64_u32 v[8:9], s[4:5], v0, s12, 0
	v_lshlrev_b64 v[2:3], 3, v[2:3]
	v_add3_u32 v9, v9, v7, v6
	v_mov_b32_e32 v7, s7
	v_add_co_u32_e64 v6, s[4:5], s6, v2
	v_addc_co_u32_e64 v7, s[4:5], v7, v3, s[4:5]
	v_lshlrev_b64 v[2:3], 3, v[8:9]
	v_mov_b32_e32 v9, s30
	v_add_co_u32_e64 v8, s[4:5], s11, v2
	v_cmp_gt_i64_e32 vcc, s[16:17], v[4:5]
	v_addc_co_u32_e64 v9, s[4:5], v9, v3, s[4:5]
	v_lshlrev_b64 v[2:3], 3, v[4:5]
	s_and_saveexec_b64 s[6:7], vcc
	s_cbranch_execz .LBB114_26
; %bb.25:
	v_add_co_u32_e64 v10, s[4:5], v6, v2
	v_addc_co_u32_e64 v11, s[4:5], v7, v3, s[4:5]
	global_load_dwordx2 v[10:11], v[10:11], off
	v_mul_f32_e32 v12, s23, v29
	v_mul_f32_e32 v13, s22, v29
	v_fma_f32 v12, v28, s22, -v12
	v_fmac_f32_e32 v13, s23, v28
	s_waitcnt vmcnt(0)
	v_mul_f32_e32 v14, s35, v11
	v_mul_f32_e32 v11, s34, v11
	v_fma_f32 v14, v10, s34, -v14
	v_fmac_f32_e32 v11, s35, v10
	v_add_f32_e32 v10, v12, v14
	v_add_co_u32_e64 v12, s[4:5], v8, v2
	v_add_f32_e32 v11, v13, v11
	v_addc_co_u32_e64 v13, s[4:5], v9, v3, s[4:5]
	global_store_dwordx2 v[12:13], v[10:11], off
.LBB114_26:
	s_or_b64 exec, exec, s[6:7]
	v_add_co_u32_e64 v4, s[4:5], 16, v4
	v_addc_co_u32_e64 v5, s[4:5], 0, v5, s[4:5]
	v_cmp_gt_i64_e64 s[4:5], s[16:17], v[4:5]
	s_and_saveexec_b64 s[8:9], s[4:5]
	s_cbranch_execz .LBB114_28
; %bb.27:
	v_add_co_u32_e64 v4, s[6:7], v6, v2
	buffer_load_dword v10, off, s[0:3], 0
	buffer_load_dword v11, off, s[0:3], 0 offset:4
	v_addc_co_u32_e64 v5, s[6:7], v7, v3, s[6:7]
	global_load_dwordx2 v[4:5], v[4:5], off offset:128
	s_waitcnt vmcnt(1)
	v_mul_f32_e32 v12, s23, v11
	v_mul_f32_e32 v11, s22, v11
	v_fma_f32 v12, v10, s22, -v12
	v_fmac_f32_e32 v11, s23, v10
	s_waitcnt vmcnt(0)
	v_mul_f32_e32 v10, s35, v5
	v_mul_f32_e32 v5, s34, v5
	v_fma_f32 v10, v4, s34, -v10
	v_fmac_f32_e32 v5, s35, v4
	v_add_f32_e32 v4, v12, v10
	v_add_co_u32_e64 v10, s[6:7], v8, v2
	v_add_f32_e32 v5, v11, v5
	v_addc_co_u32_e64 v11, s[6:7], v9, v3, s[6:7]
	global_store_dwordx2 v[10:11], v[4:5], off offset:128
.LBB114_28:
	s_or_b64 exec, exec, s[8:9]
	v_add_co_u32_e64 v0, s[6:7], 16, v0
	v_addc_co_u32_e64 v1, s[6:7], 0, v1, s[6:7]
	v_cmp_gt_i64_e64 s[6:7], s[18:19], v[0:1]
	s_and_b64 exec, exec, s[6:7]
	s_cbranch_execz .LBB114_33
; %bb.29:
	buffer_load_dword v10, off, s[0:3], 0 offset:16
	buffer_load_dword v11, off, s[0:3], 0 offset:20
	s_lshl_b64 s[6:7], s[26:27], 7
	v_mov_b32_e32 v0, s7
	v_add_co_u32_e64 v1, s[6:7], s6, v6
	v_addc_co_u32_e64 v0, s[6:7], v7, v0, s[6:7]
	s_lshl_b64 s[6:7], s[12:13], 7
	v_mov_b32_e32 v4, s7
	v_add_co_u32_e64 v6, s[6:7], s6, v8
	v_addc_co_u32_e64 v7, s[6:7], v9, v4, s[6:7]
	v_add_co_u32_e64 v4, s[6:7], v1, v2
	v_addc_co_u32_e64 v5, s[6:7], v0, v3, s[6:7]
	v_add_co_u32_e64 v0, s[6:7], v6, v2
	v_addc_co_u32_e64 v1, s[6:7], v7, v3, s[6:7]
	s_and_saveexec_b64 s[6:7], vcc
	s_cbranch_execz .LBB114_31
; %bb.30:
	buffer_load_dword v6, off, s[0:3], 0 offset:12
	buffer_load_dword v7, off, s[0:3], 0 offset:8
	global_load_dwordx2 v[2:3], v[4:5], off
	s_waitcnt vmcnt(2)
	v_mul_f32_e32 v8, s23, v6
	v_mul_f32_e32 v6, s22, v6
	s_waitcnt vmcnt(0)
	v_mul_f32_e32 v9, s35, v3
	v_mul_f32_e32 v3, s34, v3
	v_fma_f32 v8, v7, s22, -v8
	v_fmac_f32_e32 v6, s23, v7
	v_fma_f32 v7, v2, s34, -v9
	v_fmac_f32_e32 v3, s35, v2
	v_add_f32_e32 v2, v8, v7
	v_add_f32_e32 v3, v6, v3
	global_store_dwordx2 v[0:1], v[2:3], off
.LBB114_31:
	s_or_b64 exec, exec, s[6:7]
	s_and_b64 exec, exec, s[4:5]
	s_cbranch_execz .LBB114_33
; %bb.32:
	global_load_dwordx2 v[2:3], v[4:5], off offset:128
	s_waitcnt vmcnt(1)
	v_mul_f32_e32 v4, s23, v11
	v_mul_f32_e32 v5, s22, v11
	v_fma_f32 v4, v10, s22, -v4
	v_fmac_f32_e32 v5, s23, v10
	s_waitcnt vmcnt(0)
	v_mul_f32_e32 v6, s35, v3
	v_mul_f32_e32 v3, s34, v3
	v_fma_f32 v6, v2, s34, -v6
	v_fmac_f32_e32 v3, s35, v2
	v_add_f32_e32 v2, v4, v6
	v_add_f32_e32 v3, v5, v3
	global_store_dwordx2 v[0:1], v[2:3], off offset:128
.LBB114_33:
	s_endpgm
	.section	.rodata,"a",@progbits
	.p2align	6, 0x0
	.amdhsa_kernel _ZN12_GLOBAL__N_135rocblas_gemm_batched_general_kernelI19rocblas_complex_numIfELi16ELi16ELi32ELi32ELi8ELi32ELi8ELi8ELi32ELc78ELc67EKS2_S3_S2_EEvlllT_PT11_llS6_llS4_PT12_llPT13_lli
		.amdhsa_group_segment_fixed_size 4096
		.amdhsa_private_segment_fixed_size 32
		.amdhsa_kernarg_size 140
		.amdhsa_user_sgpr_count 8
		.amdhsa_user_sgpr_private_segment_buffer 1
		.amdhsa_user_sgpr_dispatch_ptr 0
		.amdhsa_user_sgpr_queue_ptr 0
		.amdhsa_user_sgpr_kernarg_segment_ptr 1
		.amdhsa_user_sgpr_dispatch_id 0
		.amdhsa_user_sgpr_flat_scratch_init 1
		.amdhsa_user_sgpr_kernarg_preload_length 0
		.amdhsa_user_sgpr_kernarg_preload_offset 0
		.amdhsa_user_sgpr_private_segment_size 0
		.amdhsa_uses_dynamic_stack 0
		.amdhsa_system_sgpr_private_segment_wavefront_offset 1
		.amdhsa_system_sgpr_workgroup_id_x 1
		.amdhsa_system_sgpr_workgroup_id_y 1
		.amdhsa_system_sgpr_workgroup_id_z 1
		.amdhsa_system_sgpr_workgroup_info 0
		.amdhsa_system_vgpr_workitem_id 1
		.amdhsa_next_free_vgpr 128
		.amdhsa_next_free_sgpr 44
		.amdhsa_accum_offset 128
		.amdhsa_reserve_vcc 1
		.amdhsa_reserve_flat_scratch 0
		.amdhsa_float_round_mode_32 0
		.amdhsa_float_round_mode_16_64 0
		.amdhsa_float_denorm_mode_32 3
		.amdhsa_float_denorm_mode_16_64 3
		.amdhsa_dx10_clamp 1
		.amdhsa_ieee_mode 1
		.amdhsa_fp16_overflow 0
		.amdhsa_tg_split 0
		.amdhsa_exception_fp_ieee_invalid_op 0
		.amdhsa_exception_fp_denorm_src 0
		.amdhsa_exception_fp_ieee_div_zero 0
		.amdhsa_exception_fp_ieee_overflow 0
		.amdhsa_exception_fp_ieee_underflow 0
		.amdhsa_exception_fp_ieee_inexact 0
		.amdhsa_exception_int_div_zero 0
	.end_amdhsa_kernel
	.section	.text._ZN12_GLOBAL__N_135rocblas_gemm_batched_general_kernelI19rocblas_complex_numIfELi16ELi16ELi32ELi32ELi8ELi32ELi8ELi8ELi32ELc78ELc67EKS2_S3_S2_EEvlllT_PT11_llS6_llS4_PT12_llPT13_lli,"axG",@progbits,_ZN12_GLOBAL__N_135rocblas_gemm_batched_general_kernelI19rocblas_complex_numIfELi16ELi16ELi32ELi32ELi8ELi32ELi8ELi8ELi32ELc78ELc67EKS2_S3_S2_EEvlllT_PT11_llS6_llS4_PT12_llPT13_lli,comdat
.Lfunc_end114:
	.size	_ZN12_GLOBAL__N_135rocblas_gemm_batched_general_kernelI19rocblas_complex_numIfELi16ELi16ELi32ELi32ELi8ELi32ELi8ELi8ELi32ELc78ELc67EKS2_S3_S2_EEvlllT_PT11_llS6_llS4_PT12_llPT13_lli, .Lfunc_end114-_ZN12_GLOBAL__N_135rocblas_gemm_batched_general_kernelI19rocblas_complex_numIfELi16ELi16ELi32ELi32ELi8ELi32ELi8ELi8ELi32ELc78ELc67EKS2_S3_S2_EEvlllT_PT11_llS6_llS4_PT12_llPT13_lli
                                        ; -- End function
	.section	.AMDGPU.csdata,"",@progbits
; Kernel info:
; codeLenInByte = 3804
; NumSgprs: 48
; NumVgprs: 128
; NumAgprs: 0
; TotalNumVgprs: 128
; ScratchSize: 32
; MemoryBound: 0
; FloatMode: 240
; IeeeMode: 1
; LDSByteSize: 4096 bytes/workgroup (compile time only)
; SGPRBlocks: 5
; VGPRBlocks: 15
; NumSGPRsForWavesPerEU: 48
; NumVGPRsForWavesPerEU: 128
; AccumOffset: 128
; Occupancy: 4
; WaveLimiterHint : 1
; COMPUTE_PGM_RSRC2:SCRATCH_EN: 1
; COMPUTE_PGM_RSRC2:USER_SGPR: 8
; COMPUTE_PGM_RSRC2:TRAP_HANDLER: 0
; COMPUTE_PGM_RSRC2:TGID_X_EN: 1
; COMPUTE_PGM_RSRC2:TGID_Y_EN: 1
; COMPUTE_PGM_RSRC2:TGID_Z_EN: 1
; COMPUTE_PGM_RSRC2:TIDIG_COMP_CNT: 1
; COMPUTE_PGM_RSRC3_GFX90A:ACCUM_OFFSET: 31
; COMPUTE_PGM_RSRC3_GFX90A:TG_SPLIT: 0
	.section	.text._ZN12_GLOBAL__N_135rocblas_gemm_batched_general_kernelI19rocblas_complex_numIfELi16ELi16ELi32ELi32ELi8ELi32ELi8ELi8ELi32ELc84ELc67EKS2_S3_S2_EEvlllT_PT11_llS6_llS4_PT12_llPT13_lli,"axG",@progbits,_ZN12_GLOBAL__N_135rocblas_gemm_batched_general_kernelI19rocblas_complex_numIfELi16ELi16ELi32ELi32ELi8ELi32ELi8ELi8ELi32ELc84ELc67EKS2_S3_S2_EEvlllT_PT11_llS6_llS4_PT12_llPT13_lli,comdat
	.globl	_ZN12_GLOBAL__N_135rocblas_gemm_batched_general_kernelI19rocblas_complex_numIfELi16ELi16ELi32ELi32ELi8ELi32ELi8ELi8ELi32ELc84ELc67EKS2_S3_S2_EEvlllT_PT11_llS6_llS4_PT12_llPT13_lli ; -- Begin function _ZN12_GLOBAL__N_135rocblas_gemm_batched_general_kernelI19rocblas_complex_numIfELi16ELi16ELi32ELi32ELi8ELi32ELi8ELi8ELi32ELc84ELc67EKS2_S3_S2_EEvlllT_PT11_llS6_llS4_PT12_llPT13_lli
	.p2align	8
	.type	_ZN12_GLOBAL__N_135rocblas_gemm_batched_general_kernelI19rocblas_complex_numIfELi16ELi16ELi32ELi32ELi8ELi32ELi8ELi8ELi32ELc84ELc67EKS2_S3_S2_EEvlllT_PT11_llS6_llS4_PT12_llPT13_lli,@function
_ZN12_GLOBAL__N_135rocblas_gemm_batched_general_kernelI19rocblas_complex_numIfELi16ELi16ELi32ELi32ELi8ELi32ELi8ELi8ELi32ELc84ELc67EKS2_S3_S2_EEvlllT_PT11_llS6_llS4_PT12_llPT13_lli: ; @_ZN12_GLOBAL__N_135rocblas_gemm_batched_general_kernelI19rocblas_complex_numIfELi16ELi16ELi32ELi32ELi8ELi32ELi8ELi8ELi32ELc84ELc67EKS2_S3_S2_EEvlllT_PT11_llS6_llS4_PT12_llPT13_lli
; %bb.0:
	s_load_dwordx16 s[12:27], s[4:5], 0x0
	s_load_dwordx2 s[34:35], s[4:5], 0x50
	s_add_u32 s0, s0, s11
	s_mov_b32 s40, s9
	s_addc_u32 s1, s1, 0
	s_ashr_i32 s9, s8, 31
	s_ashr_i32 s41, s40, 31
	s_waitcnt lgkmcnt(0)
	v_cmp_lt_i64_e64 s[6:7], s[16:17], 1
	v_and_b32_e32 v31, 0x3ff, v0
	v_bfe_u32 v33, v0, 10, 10
	v_mov_b32_e32 v78, 0
	s_lshl_b64 s[36:37], s[8:9], 5
	s_lshl_b64 s[38:39], s[40:41], 5
	s_and_b64 vcc, exec, s[6:7]
	buffer_store_dword v78, off, s[0:3], 0 offset:4
	buffer_store_dword v78, off, s[0:3], 0
	buffer_store_dword v78, off, s[0:3], 0 offset:12
	buffer_store_dword v78, off, s[0:3], 0 offset:8
	buffer_store_dword v78, off, s[0:3], 0 offset:20
	buffer_store_dword v78, off, s[0:3], 0 offset:16
	s_cbranch_vccnz .LBB115_9
; %bb.1:
	v_lshl_add_u32 v4, v33, 4, v31
	s_load_dwordx4 s[28:31], s[4:5], 0x40
	v_lshrrev_b32_e32 v5, 3, v4
	v_mov_b32_e32 v1, s39
	v_add_co_u32_e32 v0, vcc, s38, v5
	v_and_b32_e32 v32, 7, v31
	v_addc_co_u32_e32 v1, vcc, 0, v1, vcc
	v_cmp_gt_i64_e32 vcc, s[14:15], v[0:1]
	v_lshlrev_b32_e32 v0, 3, v32
	v_and_b32_e32 v6, 31, v4
	v_lshl_or_b32 v0, v5, 6, v0
	v_mov_b32_e32 v3, s37
	v_or_b32_e32 v2, s36, v6
	v_add_u32_e32 v80, 0x800, v0
	v_mov_b32_e32 v0, 0x800
	s_waitcnt lgkmcnt(0)
	s_mul_i32 s8, s31, s10
	s_mul_hi_u32 s9, s30, s10
	v_lshrrev_b32_e32 v30, 5, v4
	v_cmp_gt_i64_e64 s[6:7], s[12:13], v[2:3]
	v_lshlrev_b32_e32 v2, 3, v6
	v_lshl_add_u32 v82, v33, 6, v0
	s_add_i32 s9, s9, s8
	s_mul_i32 s8, s30, s10
	v_mad_u64_u32 v[0:1], s[30:31], s28, v32, 0
	v_lshl_or_b32 v79, v30, 8, v2
	v_mov_b32_e32 v2, v1
	v_mad_u64_u32 v[2:3], s[30:31], s29, v32, v[2:3]
	s_lshl_b64 s[8:9], s[8:9], 3
	s_lshl_b64 s[30:31], s[40:41], 8
	v_mov_b32_e32 v1, v2
	s_add_u32 s8, s30, s8
	v_lshlrev_b64 v[0:1], 3, v[0:1]
	s_addc_u32 s9, s31, s9
	v_mov_b32_e32 v2, s9
	v_add_co_u32_e64 v0, s[8:9], s8, v0
	v_addc_co_u32_e64 v1, s[8:9], v2, v1, s[8:9]
	v_and_b32_e32 v2, 0x7ff8, v4
	v_add_co_u32_e64 v0, s[8:9], v0, v2
	v_addc_co_u32_e64 v1, s[8:9], 0, v1, s[8:9]
	v_mov_b32_e32 v2, s27
	v_add_co_u32_e64 v0, s[8:9], s26, v0
	v_addc_co_u32_e64 v1, s[8:9], v1, v2, s[8:9]
	v_add_co_u32_e64 v34, s[8:9], 4, v0
	v_addc_co_u32_e64 v35, s[8:9], 0, v1, s[8:9]
	v_mov_b32_e32 v0, s37
	v_add_co_u32_e64 v1, s[8:9], s36, v6
	v_addc_co_u32_e64 v0, s[8:9], 0, v0, s[8:9]
	v_mul_lo_u32 v2, s23, v1
	v_mul_lo_u32 v3, s22, v0
	v_mad_u64_u32 v[0:1], s[8:9], s22, v1, 0
	s_mul_i32 s8, s25, s10
	s_mul_hi_u32 s9, s24, s10
	v_add3_u32 v1, v1, v3, v2
	s_add_i32 s9, s9, s8
	s_mul_i32 s8, s24, s10
	v_lshlrev_b64 v[0:1], 3, v[0:1]
	s_lshl_b64 s[8:9], s[8:9], 3
	v_mov_b32_e32 v2, s9
	v_add_co_u32_e64 v0, s[8:9], s8, v0
	v_addc_co_u32_e64 v1, s[8:9], v1, v2, s[8:9]
	v_lshlrev_b32_e32 v2, 3, v30
	v_add_co_u32_e64 v0, s[8:9], v0, v2
	v_addc_co_u32_e64 v1, s[8:9], 0, v1, s[8:9]
	v_mov_b32_e32 v2, s21
	v_add_co_u32_e64 v36, s[8:9], s20, v0
	v_mov_b32_e32 v28, 0
	v_addc_co_u32_e64 v37, s[8:9], v2, v1, s[8:9]
	v_lshlrev_b32_e32 v81, 3, v31
	s_lshl_b64 s[26:27], s[28:29], 6
	s_mov_b64 s[8:9], 0
	s_xor_b64 s[20:21], vcc, -1
	v_mov_b32_e32 v29, v28
	s_branch .LBB115_3
.LBB115_2:                              ;   in Loop: Header=BB115_3 Depth=1
	s_or_b64 exec, exec, s[22:23]
	ds_write_b32 v80, v0 offset:4
	s_waitcnt lgkmcnt(0)
	s_barrier
	ds_read2_b64 v[12:15], v81 offset0:32 offset1:48
	ds_read2_b64 v[16:19], v81 offset0:64 offset1:80
	;; [unrolled: 1-line block ×3, first 2 shown]
	ds_read_b128 v[4:7], v82
	ds_read_b128 v[0:3], v82 offset:16
	ds_read_b128 v[84:87], v82 offset:1024
	;; [unrolled: 1-line block ×3, first 2 shown]
	s_waitcnt lgkmcnt(6)
	v_mov_b32_e32 v49, v12
	s_waitcnt lgkmcnt(3)
	v_pk_mul_f32 v[20:21], v[6:7], v[12:13] op_sel:[0,1]
	v_pk_fma_f32 v[40:41], v[6:7], v[12:13], v[20:21] op_sel:[0,0,1] op_sel_hi:[1,0,0] neg_lo:[0,0,1] neg_hi:[0,0,1]
	v_pk_fma_f32 v[42:43], v[6:7], v[12:13], v[20:21] op_sel:[0,0,1] op_sel_hi:[1,0,0]
	v_mul_f32_e32 v12, v6, v14
	v_mov_b32_e32 v53, v13
	v_mov_b32_e32 v54, v13
	v_fma_f32 v83, -v7, v15, v12
	s_waitcnt lgkmcnt(2)
	v_pk_mul_f32 v[12:13], v[0:1], v[16:17] op_sel:[0,1]
	v_pk_fma_f32 v[56:57], v[0:1], v[16:17], v[12:13] op_sel:[0,0,1] op_sel_hi:[1,0,0] neg_lo:[0,0,1] neg_hi:[0,0,1]
	v_pk_fma_f32 v[58:59], v[0:1], v[16:17], v[12:13] op_sel:[0,0,1] op_sel_hi:[1,0,0]
	v_mul_f32_e32 v12, v0, v18
	v_fma_f32 v58, -v1, v19, v12
	v_pk_mul_f32 v[12:13], v[2:3], v[8:9] op_sel:[0,1]
	v_mov_b32_e32 v39, v8
	v_pk_fma_f32 v[64:65], v[2:3], v[8:9], v[12:13] op_sel:[0,0,1] op_sel_hi:[1,0,0] neg_lo:[0,0,1] neg_hi:[0,0,1]
	v_pk_fma_f32 v[66:67], v[2:3], v[8:9], v[12:13] op_sel:[0,0,1] op_sel_hi:[1,0,0]
	v_mul_f32_e32 v8, v2, v10
	s_waitcnt lgkmcnt(0)
	v_mul_f32_e32 v124, v27, v10
	v_mov_b32_e32 v38, v10
	v_mov_b32_e32 v96, v11
	;; [unrolled: 1-line block ×5, first 2 shown]
	ds_read2_b64 v[70:73], v81 offset0:128 offset1:144
	v_fma_f32 v66, -v3, v11, v8
	v_fmac_f32_e32 v124, v26, v11
	ds_read_b128 v[8:11], v82 offset:32
	ds_read_b128 v[20:23], v82 offset:1056
	v_mul_f32_e32 v123, v25, v18
	ds_read2_b64 v[88:91], v81 offset0:160 offset1:176
	v_mov_b32_e32 v44, v18
	v_mov_b32_e32 v45, v16
	v_mov_b32_e32 v50, v19
	v_mov_b32_e32 v51, v17
	v_mov_b32_e32 v46, v17
	v_mov_b32_e32 v47, v19
	v_fmac_f32_e32 v123, v24, v19
	ds_read_b128 v[16:19], v82 offset:48
	ds_read2_b64 v[92:95], v81 offset0:192 offset1:208
	s_waitcnt lgkmcnt(4)
	v_pk_mul_f32 v[12:13], v[8:9], v[70:71] op_sel:[0,1]
	v_mul_f32_e32 v122, v87, v14
	v_pk_fma_f32 v[100:101], v[8:9], v[70:71], v[12:13] op_sel:[0,0,1] op_sel_hi:[1,0,0] neg_lo:[0,0,1] neg_hi:[0,0,1]
	v_pk_fma_f32 v[102:103], v[8:9], v[70:71], v[12:13] op_sel:[0,0,1] op_sel_hi:[1,0,0]
	v_mul_f32_e32 v12, v8, v72
	v_mov_b32_e32 v48, v14
	v_mov_b32_e32 v52, v15
	;; [unrolled: 1-line block ×3, first 2 shown]
	v_fmac_f32_e32 v122, v86, v15
	v_fma_f32 v102, -v9, v73, v12
	ds_read_b128 v[12:15], v82 offset:1072
	s_waitcnt lgkmcnt(4)
	v_mul_f32_e32 v125, v21, v72
	v_mov_b32_e32 v60, v72
	v_mov_b32_e32 v68, v73
	;; [unrolled: 1-line block ×3, first 2 shown]
	v_fmac_f32_e32 v125, v20, v73
	s_waitcnt lgkmcnt(3)
	v_pk_mul_f32 v[72:73], v[10:11], v[88:89] op_sel:[0,1]
	v_mov_b32_e32 v69, v71
	v_mov_b32_e32 v62, v71
	;; [unrolled: 1-line block ×5, first 2 shown]
	v_pk_fma_f32 v[106:107], v[10:11], v[88:89], v[72:73] op_sel:[0,0,1] op_sel_hi:[1,0,0] neg_lo:[0,0,1] neg_hi:[0,0,1]
	v_pk_fma_f32 v[108:109], v[10:11], v[88:89], v[72:73] op_sel:[0,0,1] op_sel_hi:[1,0,0]
	v_mul_f32_e32 v41, v10, v90
	v_mul_f32_e32 v126, v23, v90
	s_waitcnt lgkmcnt(1)
	v_pk_mul_f32 v[88:89], v[16:17], v[92:93] op_sel:[0,1]
	v_mov_b32_e32 v61, v70
	v_mov_b32_e32 v70, v90
	;; [unrolled: 1-line block ×4, first 2 shown]
	v_fma_f32 v108, -v11, v91, v41
	v_fmac_f32_e32 v126, v22, v91
	v_mov_b32_e32 v73, v92
	v_mov_b32_e32 v77, v93
	;; [unrolled: 1-line block ×3, first 2 shown]
	v_pk_fma_f32 v[112:113], v[16:17], v[92:93], v[88:89] op_sel:[0,0,1] op_sel_hi:[1,0,0] neg_lo:[0,0,1] neg_hi:[0,0,1]
	v_pk_fma_f32 v[92:93], v[16:17], v[92:93], v[88:89] op_sel:[0,0,1] op_sel_hi:[1,0,0]
	ds_read2_b64 v[88:91], v81 offset1:16
	v_mul_f32_e32 v41, v16, v94
	s_waitcnt lgkmcnt(1)
	v_mul_f32_e32 v127, v13, v94
	v_mov_b32_e32 v72, v94
	v_mov_b32_e32 v76, v95
	;; [unrolled: 1-line block ×3, first 2 shown]
	v_fma_f32 v92, -v17, v95, v41
	v_fmac_f32_e32 v127, v12, v95
	s_waitcnt lgkmcnt(0)
	v_mov_b32_e32 v94, v91
	v_mov_b32_e32 v95, v89
	;; [unrolled: 1-line block ×4, first 2 shown]
	v_pk_mul_f32 v[118:119], v[4:5], v[88:89] op_sel:[0,1]
	v_pk_mul_f32 v[94:95], v[114:115], v[94:95]
	v_mov_b32_e32 v115, v88
	v_mov_b32_e32 v116, v89
	v_pk_fma_f32 v[120:121], v[4:5], v[88:89], v[118:119] op_sel:[0,0,1] op_sel_hi:[1,0,0] neg_lo:[0,0,1] neg_hi:[0,0,1]
	v_pk_fma_f32 v[88:89], v[4:5], v[88:89], v[118:119] op_sel:[0,0,1] op_sel_hi:[1,0,0]
	v_mul_f32_e32 v4, v4, v90
	v_fma_f32 v88, -v5, v91, v4
	v_mul_f32_e32 v118, v85, v90
	v_mov_b32_e32 v4, v5
	v_mov_b32_e32 v114, v90
	;; [unrolled: 1-line block ×3, first 2 shown]
	v_fmac_f32_e32 v118, v84, v91
	v_pk_fma_f32 v[90:91], v[4:5], v[90:91], v[94:95]
	v_mov_b32_e32 v5, v84
	v_pk_fma_f32 v[4:5], v[4:5], v[114:115], v[94:95] neg_lo:[0,0,1] neg_hi:[0,0,1]
	v_pk_mul_f32 v[94:95], v[84:85], v[114:115]
	v_pk_fma_f32 v[114:115], v[84:85], v[116:117], v[94:95] op_sel:[0,0,1] op_sel_hi:[1,1,0]
	v_pk_fma_f32 v[84:85], v[84:85], v[116:117], v[94:95] op_sel:[0,0,1] op_sel_hi:[1,1,0] neg_lo:[1,0,0] neg_hi:[1,0,0]
	v_pk_mul_f32 v[94:95], v[86:87], v[48:49]
	v_pk_fma_f32 v[116:117], v[86:87], v[54:55], v[94:95] op_sel:[0,0,1] op_sel_hi:[1,1,0]
	v_pk_fma_f32 v[54:55], v[86:87], v[54:55], v[94:95] op_sel:[0,0,1] op_sel_hi:[1,1,0] neg_lo:[1,0,0] neg_hi:[1,0,0]
	v_mov_b32_e32 v95, v86
	v_mov_b32_e32 v86, v6
	;; [unrolled: 1-line block ×4, first 2 shown]
	v_pk_mul_f32 v[6:7], v[86:87], v[52:53]
	v_pk_fma_f32 v[52:53], v[4:5], v[48:49], v[6:7]
	v_pk_fma_f32 v[6:7], v[94:95], v[48:49], v[6:7] neg_lo:[0,0,1] neg_hi:[0,0,1]
	buffer_load_dword v94, off, s[0:3], 0 offset:12
	buffer_load_dword v95, off, s[0:3], 0 offset:16
	buffer_load_dword v6, off, s[0:3], 0
	v_mov_b32_e32 v48, v0
	v_mov_b32_e32 v49, v25
	v_pk_mul_f32 v[48:49], v[48:49], v[50:51]
	v_mov_b32_e32 v0, v1
	v_mov_b32_e32 v50, v1
	;; [unrolled: 1-line block ×3, first 2 shown]
	v_pk_fma_f32 v[86:87], v[0:1], v[44:45], v[48:49]
	v_pk_mul_f32 v[0:1], v[24:25], v[44:45]
	v_pk_fma_f32 v[48:49], v[50:51], v[44:45], v[48:49] neg_lo:[0,0,1] neg_hi:[0,0,1]
	v_pk_fma_f32 v[44:45], v[24:25], v[46:47], v[0:1] op_sel:[0,0,1] op_sel_hi:[1,1,0]
	v_pk_fma_f32 v[24:25], v[24:25], v[46:47], v[0:1] op_sel:[0,0,1] op_sel_hi:[1,1,0] neg_lo:[1,0,0] neg_hi:[1,0,0]
	v_pk_mul_f32 v[0:1], v[26:27], v[38:39]
	v_pk_fma_f32 v[46:47], v[26:27], v[98:99], v[0:1] op_sel:[0,0,1] op_sel_hi:[1,1,0]
	v_pk_fma_f32 v[50:51], v[26:27], v[98:99], v[0:1] op_sel:[0,0,1] op_sel_hi:[1,1,0] neg_lo:[1,0,0] neg_hi:[1,0,0]
	v_mov_b32_e32 v1, v27
	v_mov_b32_e32 v0, v2
	;; [unrolled: 1-line block ×4, first 2 shown]
	v_pk_mul_f32 v[0:1], v[0:1], v[96:97]
	v_mov_b32_e32 v2, v3
	v_pk_fma_f32 v[26:27], v[26:27], v[38:39], v[0:1] neg_lo:[0,0,1] neg_hi:[0,0,1]
	v_pk_fma_f32 v[96:97], v[2:3], v[38:39], v[0:1]
	buffer_load_dword v26, off, s[0:3], 0 offset:20
	buffer_load_dword v38, off, s[0:3], 0 offset:4
	;; [unrolled: 1-line block ×3, first 2 shown]
	v_mov_b32_e32 v121, v89
	v_pk_add_f32 v[0:1], v[28:29], v[120:121]
	v_mov_b32_e32 v41, v43
	v_pk_add_f32 v[0:1], v[0:1], v[40:41]
	;; [unrolled: 2-line block ×5, first 2 shown]
	ds_read2_b64 v[0:3], v81 offset0:224 offset1:240
	v_mov_b32_e32 v115, v85
	v_mov_b32_e32 v117, v55
	;; [unrolled: 1-line block ×4, first 2 shown]
	s_waitcnt lgkmcnt(0)
	v_pk_mul_f32 v[40:41], v[18:19], v[0:1] op_sel:[0,1]
	v_pk_fma_f32 v[42:43], v[18:19], v[0:1], v[40:41] op_sel:[0,0,1] op_sel_hi:[1,0,0] neg_lo:[0,0,1] neg_hi:[0,0,1]
	v_pk_fma_f32 v[40:41], v[18:19], v[0:1], v[40:41] op_sel:[0,0,1] op_sel_hi:[1,0,0]
	v_mov_b32_e32 v43, v41
	v_pk_add_f32 v[28:29], v[28:29], v[106:107]
	v_mov_b32_e32 v113, v93
	v_pk_add_f32 v[28:29], v[28:29], v[112:113]
	;; [unrolled: 2-line block ×3, first 2 shown]
	v_mov_b32_e32 v42, v9
	v_mov_b32_e32 v91, v5
	;; [unrolled: 1-line block ×7, first 2 shown]
	v_add_co_u32_e32 v34, vcc, s26, v34
	s_add_u32 s8, s8, 8
	s_addc_u32 s9, s9, 0
	s_waitcnt vmcnt(4)
	v_pk_add_f32 v[40:41], v[94:95], v[114:115]
	v_pk_add_f32 v[40:41], v[40:41], v[116:117]
	;; [unrolled: 1-line block ×3, first 2 shown]
	v_mov_b32_e32 v40, v8
	v_mov_b32_e32 v41, v21
	v_pk_mul_f32 v[40:41], v[40:41], v[68:69]
	v_pk_fma_f32 v[8:9], v[4:5], v[60:61], v[40:41]
	s_waitcnt vmcnt(3)
	v_add_f32_e32 v4, v6, v88
	v_add_f32_e32 v4, v4, v83
	;; [unrolled: 1-line block ×6, first 2 shown]
	v_mul_f32_e32 v5, v18, v2
	v_add_f32_e32 v4, v4, v92
	v_fma_f32 v5, -v19, v3, v5
	v_pk_fma_f32 v[40:41], v[42:43], v[60:61], v[40:41] neg_lo:[0,0,1] neg_hi:[0,0,1]
	v_pk_mul_f32 v[42:43], v[20:21], v[60:61]
	v_add_f32_e32 v4, v4, v5
	v_pk_fma_f32 v[44:45], v[20:21], v[62:63], v[42:43] op_sel:[0,0,1] op_sel_hi:[1,1,0]
	v_pk_fma_f32 v[20:21], v[20:21], v[62:63], v[42:43] op_sel:[0,0,1] op_sel_hi:[1,1,0] neg_lo:[1,0,0] neg_hi:[1,0,0]
	buffer_store_dword v4, off, s[0:3], 0
	s_waitcnt vmcnt(3)
	v_add_f32_e32 v4, v26, v118
	v_pk_add_f32 v[24:25], v[24:25], v[46:47]
	v_mov_b32_e32 v45, v21
	v_add_f32_e32 v4, v4, v122
	v_pk_add_f32 v[20:21], v[24:25], v[44:45]
	v_pk_mul_f32 v[24:25], v[22:23], v[70:71]
	v_add_f32_e32 v4, v4, v123
	v_pk_fma_f32 v[42:43], v[22:23], v[104:105], v[24:25] op_sel:[0,0,1] op_sel_hi:[1,1,0]
	v_pk_fma_f32 v[24:25], v[22:23], v[104:105], v[24:25] op_sel:[0,0,1] op_sel_hi:[1,1,0] neg_lo:[1,0,0] neg_hi:[1,0,0]
	v_add_f32_e32 v4, v4, v124
	v_mov_b32_e32 v43, v25
	v_pk_mul_f32 v[24:25], v[12:13], v[72:73]
	v_add_f32_e32 v4, v4, v125
	v_pk_add_f32 v[20:21], v[20:21], v[42:43]
	v_pk_fma_f32 v[42:43], v[12:13], v[110:111], v[24:25] op_sel:[0,0,1] op_sel_hi:[1,1,0]
	v_pk_fma_f32 v[24:25], v[12:13], v[110:111], v[24:25] op_sel:[0,0,1] op_sel_hi:[1,1,0] neg_lo:[1,0,0] neg_hi:[1,0,0]
	v_add_f32_e32 v4, v4, v126
	v_mov_b32_e32 v43, v25
	v_add_f32_e32 v25, v4, v127
	s_waitcnt vmcnt(1)
	v_pk_add_f32 v[4:5], v[38:39], v[90:91]
	v_pk_add_f32 v[4:5], v[4:5], v[52:53]
	;; [unrolled: 1-line block ×4, first 2 shown]
	v_mov_b32_e32 v9, v41
	v_pk_add_f32 v[4:5], v[4:5], v[8:9]
	v_mov_b32_e32 v8, v10
	v_mov_b32_e32 v9, v23
	;; [unrolled: 1-line block ×3, first 2 shown]
	v_pk_mul_f32 v[8:9], v[8:9], v[74:75]
	v_mov_b32_e32 v10, v11
	v_mov_b32_e32 v11, v22
	v_pk_fma_f32 v[6:7], v[6:7], v[70:71], v[8:9]
	v_pk_fma_f32 v[8:9], v[10:11], v[70:71], v[8:9] neg_lo:[0,0,1] neg_hi:[0,0,1]
	v_mov_b32_e32 v7, v9
	v_pk_add_f32 v[4:5], v[4:5], v[6:7]
	v_mov_b32_e32 v6, v16
	v_mov_b32_e32 v7, v13
	v_mov_b32_e32 v24, v17
	v_pk_mul_f32 v[6:7], v[6:7], v[76:77]
	v_mov_b32_e32 v8, v17
	v_mov_b32_e32 v9, v12
	v_pk_fma_f32 v[10:11], v[24:25], v[72:73], v[6:7]
	v_pk_fma_f32 v[6:7], v[8:9], v[72:73], v[6:7] neg_lo:[0,0,1] neg_hi:[0,0,1]
	v_mov_b32_e32 v38, v3
	v_mov_b32_e32 v39, v1
	v_mov_b32_e32 v45, v0
	v_mov_b32_e32 v0, v19
	v_mov_b32_e32 v6, v19
	v_mov_b32_e32 v19, v15
	v_mov_b32_e32 v44, v2
	v_mov_b32_e32 v11, v7
	v_mov_b32_e32 v7, v14
	v_pk_mul_f32 v[8:9], v[18:19], v[38:39]
	v_pk_add_f32 v[20:21], v[20:21], v[42:43]
	v_mov_b32_e32 v42, v1
	v_pk_fma_f32 v[0:1], v[0:1], v[44:45], v[8:9]
	v_pk_fma_f32 v[6:7], v[6:7], v[44:45], v[8:9] neg_lo:[0,0,1] neg_hi:[0,0,1]
	v_pk_add_f32 v[4:5], v[4:5], v[10:11]
	v_mov_b32_e32 v1, v7
	v_pk_add_f32 v[0:1], v[4:5], v[0:1]
	v_mov_b32_e32 v43, v3
	buffer_store_dword v1, off, s[0:3], 0 offset:8
	buffer_store_dword v0, off, s[0:3], 0 offset:4
	v_pk_mul_f32 v[0:1], v[14:15], v[44:45]
	v_pk_fma_f32 v[4:5], v[14:15], v[42:43], v[0:1] op_sel:[0,0,1] op_sel_hi:[1,1,0]
	v_pk_fma_f32 v[0:1], v[14:15], v[42:43], v[0:1] op_sel:[0,0,1] op_sel_hi:[1,1,0] neg_lo:[1,0,0] neg_hi:[1,0,0]
	v_mov_b32_e32 v5, v1
	v_mul_f32_e32 v2, v15, v2
	v_fmac_f32_e32 v2, v14, v3
	v_pk_add_f32 v[0:1], v[20:21], v[4:5]
	v_add_f32_e32 v2, v25, v2
	buffer_store_dword v0, off, s[0:3], 0 offset:12
	buffer_store_dword v1, off, s[0:3], 0 offset:16
	;; [unrolled: 1-line block ×3, first 2 shown]
	v_mov_b32_e32 v0, s27
	v_addc_co_u32_e32 v35, vcc, v35, v0, vcc
	v_add_co_u32_e32 v36, vcc, 64, v36
	v_addc_co_u32_e32 v37, vcc, 0, v37, vcc
	v_pk_mov_b32 v[0:1], s[16:17], s[16:17] op_sel:[0,1]
	v_cmp_lt_i64_e32 vcc, s[8:9], v[0:1]
	s_barrier
	s_cbranch_vccz .LBB115_10
.LBB115_3:                              ; =>This Inner Loop Header: Depth=1
	v_mov_b32_e32 v1, s9
	v_add_co_u32_e32 v0, vcc, s8, v30
	v_addc_co_u32_e32 v1, vcc, 0, v1, vcc
	v_cmp_gt_i64_e32 vcc, s[16:17], v[0:1]
	s_and_b64 s[24:25], s[6:7], vcc
	v_mov_b32_e32 v0, 0
	v_mov_b32_e32 v1, 0
	s_and_saveexec_b64 s[22:23], s[24:25]
	s_cbranch_execz .LBB115_5
; %bb.4:                                ;   in Loop: Header=BB115_3 Depth=1
	global_load_dwordx2 v[0:1], v[36:37], off
.LBB115_5:                              ;   in Loop: Header=BB115_3 Depth=1
	s_or_b64 exec, exec, s[22:23]
	s_waitcnt vmcnt(0)
	ds_write_b64 v79, v[0:1]
	v_mov_b32_e32 v1, s9
	v_add_co_u32_e32 v0, vcc, s8, v32
	v_addc_co_u32_e32 v1, vcc, 0, v1, vcc
	v_cmp_le_i64_e32 vcc, s[16:17], v[0:1]
	s_or_b64 s[22:23], vcc, s[20:21]
                                        ; implicit-def: $sgpr11
	s_and_saveexec_b64 s[24:25], s[22:23]
	s_xor_b64 s[22:23], exec, s[24:25]
	s_cbranch_execz .LBB115_7
; %bb.6:                                ;   in Loop: Header=BB115_3 Depth=1
	ds_write_b32 v80, v78
	s_mov_b32 s11, 0
.LBB115_7:                              ;   in Loop: Header=BB115_3 Depth=1
	s_or_saveexec_b64 s[22:23], s[22:23]
	v_mov_b32_e32 v0, s11
	s_xor_b64 exec, exec, s[22:23]
	s_cbranch_execz .LBB115_2
; %bb.8:                                ;   in Loop: Header=BB115_3 Depth=1
	global_load_dwordx2 v[2:3], v[34:35], off offset:-4
	s_waitcnt vmcnt(0)
	v_xor_b32_e32 v0, 0x80000000, v3
	ds_write_b32 v80, v2
	s_branch .LBB115_2
.LBB115_9:
	v_mov_b32_e32 v29, 0
	v_mov_b32_e32 v28, v78
.LBB115_10:
	s_load_dwordx4 s[28:31], s[4:5], 0x78
	s_load_dwordx8 s[20:27], s[4:5], 0x58
	v_mov_b32_e32 v1, s39
	v_add_co_u32_e32 v0, vcc, s38, v33
	s_waitcnt lgkmcnt(0)
	s_mul_i32 s5, s10, s31
	s_mul_hi_u32 s6, s10, s30
	s_mul_i32 s4, s10, s30
	s_add_i32 s5, s6, s5
	s_lshl_b64 s[4:5], s[4:5], 3
	s_add_u32 s11, s26, s4
	s_addc_u32 s30, s27, s5
	s_or_b32 s4, s34, s35
	v_addc_co_u32_e32 v1, vcc, 0, v1, vcc
	s_bitset0_b32 s4, 31
	s_cmp_lg_u32 s4, 0
	v_cmp_gt_i64_e64 s[4:5], s[14:15], v[0:1]
	s_mov_b64 s[6:7], -1
	s_cbranch_scc1 .LBB115_22
; %bb.11:
	s_and_saveexec_b64 s[16:17], s[4:5]
	s_cbranch_execz .LBB115_21
; %bb.12:
	v_mov_b32_e32 v2, s37
	v_add_co_u32_e32 v4, vcc, s36, v31
	v_addc_co_u32_e32 v5, vcc, 0, v2, vcc
	v_mul_lo_u32 v6, v1, s28
	v_mul_lo_u32 v7, v0, s29
	v_mad_u64_u32 v[2:3], s[6:7], v0, s28, 0
	v_add3_u32 v3, v3, v7, v6
	v_lshlrev_b64 v[2:3], 3, v[2:3]
	v_mov_b32_e32 v7, s30
	v_add_co_u32_e64 v6, s[6:7], s11, v2
	v_cmp_gt_i64_e32 vcc, s[12:13], v[4:5]
	v_addc_co_u32_e64 v7, s[6:7], v7, v3, s[6:7]
	v_lshlrev_b64 v[2:3], 3, v[4:5]
	s_and_saveexec_b64 s[8:9], vcc
	s_cbranch_execz .LBB115_14
; %bb.13:
	v_mul_f32_e32 v8, s19, v29
	v_mul_f32_e32 v9, s18, v29
	v_add_co_u32_e64 v10, s[6:7], v6, v2
	v_fma_f32 v8, v28, s18, -v8
	v_fmac_f32_e32 v9, s19, v28
	v_addc_co_u32_e64 v11, s[6:7], v7, v3, s[6:7]
	global_store_dwordx2 v[10:11], v[8:9], off
.LBB115_14:
	s_or_b64 exec, exec, s[8:9]
	v_add_co_u32_e64 v4, s[6:7], 16, v4
	v_addc_co_u32_e64 v5, s[6:7], 0, v5, s[6:7]
	v_cmp_gt_i64_e64 s[6:7], s[12:13], v[4:5]
	s_and_saveexec_b64 s[26:27], s[6:7]
	s_cbranch_execz .LBB115_16
; %bb.15:
	buffer_load_dword v4, off, s[0:3], 0 offset:4
	buffer_load_dword v8, off, s[0:3], 0
	s_waitcnt vmcnt(1)
	v_mul_f32_e32 v9, s19, v4
	v_mul_f32_e32 v5, s18, v4
	s_waitcnt vmcnt(0)
	v_fma_f32 v4, v8, s18, -v9
	v_fmac_f32_e32 v5, s19, v8
	v_add_co_u32_e64 v8, s[8:9], v6, v2
	v_addc_co_u32_e64 v9, s[8:9], v7, v3, s[8:9]
	global_store_dwordx2 v[8:9], v[4:5], off offset:128
.LBB115_16:
	s_or_b64 exec, exec, s[26:27]
	v_add_co_u32_e64 v4, s[8:9], 16, v0
	v_addc_co_u32_e64 v5, s[8:9], 0, v1, s[8:9]
	v_cmp_gt_i64_e64 s[8:9], s[14:15], v[4:5]
	s_and_b64 exec, exec, s[8:9]
	s_cbranch_execz .LBB115_21
; %bb.17:
	buffer_load_dword v4, off, s[0:3], 0 offset:16
	buffer_load_dword v5, off, s[0:3], 0 offset:20
	s_lshl_b64 s[8:9], s[28:29], 7
	v_mov_b32_e32 v8, s9
	v_add_co_u32_e64 v6, s[8:9], s8, v6
	v_addc_co_u32_e64 v7, s[8:9], v7, v8, s[8:9]
	v_add_co_u32_e64 v2, s[8:9], v6, v2
	v_addc_co_u32_e64 v3, s[8:9], v7, v3, s[8:9]
	s_and_saveexec_b64 s[8:9], vcc
	s_cbranch_execz .LBB115_19
; %bb.18:
	buffer_load_dword v6, off, s[0:3], 0 offset:12
	buffer_load_dword v8, off, s[0:3], 0 offset:8
	s_waitcnt vmcnt(1)
	v_mul_f32_e32 v9, s19, v6
	v_mul_f32_e32 v7, s18, v6
	s_waitcnt vmcnt(0)
	v_fma_f32 v6, v8, s18, -v9
	v_fmac_f32_e32 v7, s19, v8
	global_store_dwordx2 v[2:3], v[6:7], off
.LBB115_19:
	s_or_b64 exec, exec, s[8:9]
	s_and_b64 exec, exec, s[6:7]
	s_cbranch_execz .LBB115_21
; %bb.20:
	s_waitcnt vmcnt(0)
	v_mul_f32_e32 v6, s19, v5
	v_mul_f32_e32 v7, s18, v5
	v_fma_f32 v6, v4, s18, -v6
	v_fmac_f32_e32 v7, s19, v4
	global_store_dwordx2 v[2:3], v[6:7], off offset:128
.LBB115_21:
	s_or_b64 exec, exec, s[16:17]
	s_mov_b64 s[6:7], 0
.LBB115_22:
	s_andn2_b64 vcc, exec, s[6:7]
	s_cbranch_vccnz .LBB115_33
; %bb.23:
	s_and_saveexec_b64 s[6:7], s[4:5]
	s_cbranch_execz .LBB115_33
; %bb.24:
	s_mul_i32 s4, s10, s25
	s_mul_hi_u32 s5, s10, s24
	s_add_i32 s5, s5, s4
	s_mul_i32 s4, s10, s24
	s_lshl_b64 s[4:5], s[4:5], 3
	s_add_u32 s6, s20, s4
	v_mov_b32_e32 v2, s37
	s_waitcnt vmcnt(1)
	v_add_co_u32_e32 v4, vcc, s36, v31
	s_addc_u32 s7, s21, s5
	s_waitcnt vmcnt(0)
	v_addc_co_u32_e32 v5, vcc, 0, v2, vcc
	v_mul_lo_u32 v6, v1, s22
	v_mul_lo_u32 v7, v0, s23
	v_mad_u64_u32 v[2:3], s[4:5], v0, s22, 0
	v_add3_u32 v3, v3, v7, v6
	v_mul_lo_u32 v6, v1, s28
	v_mul_lo_u32 v7, v0, s29
	v_mad_u64_u32 v[8:9], s[4:5], v0, s28, 0
	v_lshlrev_b64 v[2:3], 3, v[2:3]
	v_add3_u32 v9, v9, v7, v6
	v_mov_b32_e32 v7, s7
	v_add_co_u32_e64 v6, s[4:5], s6, v2
	v_addc_co_u32_e64 v7, s[4:5], v7, v3, s[4:5]
	v_lshlrev_b64 v[2:3], 3, v[8:9]
	v_mov_b32_e32 v9, s30
	v_add_co_u32_e64 v8, s[4:5], s11, v2
	v_cmp_gt_i64_e32 vcc, s[12:13], v[4:5]
	v_addc_co_u32_e64 v9, s[4:5], v9, v3, s[4:5]
	v_lshlrev_b64 v[2:3], 3, v[4:5]
	s_and_saveexec_b64 s[6:7], vcc
	s_cbranch_execz .LBB115_26
; %bb.25:
	v_add_co_u32_e64 v10, s[4:5], v6, v2
	v_addc_co_u32_e64 v11, s[4:5], v7, v3, s[4:5]
	global_load_dwordx2 v[10:11], v[10:11], off
	v_mul_f32_e32 v12, s19, v29
	v_mul_f32_e32 v13, s18, v29
	v_fma_f32 v12, v28, s18, -v12
	v_fmac_f32_e32 v13, s19, v28
	s_waitcnt vmcnt(0)
	v_mul_f32_e32 v14, s35, v11
	v_mul_f32_e32 v11, s34, v11
	v_fma_f32 v14, v10, s34, -v14
	v_fmac_f32_e32 v11, s35, v10
	v_add_f32_e32 v10, v12, v14
	v_add_co_u32_e64 v12, s[4:5], v8, v2
	v_add_f32_e32 v11, v13, v11
	v_addc_co_u32_e64 v13, s[4:5], v9, v3, s[4:5]
	global_store_dwordx2 v[12:13], v[10:11], off
.LBB115_26:
	s_or_b64 exec, exec, s[6:7]
	v_add_co_u32_e64 v4, s[4:5], 16, v4
	v_addc_co_u32_e64 v5, s[4:5], 0, v5, s[4:5]
	v_cmp_gt_i64_e64 s[4:5], s[12:13], v[4:5]
	s_and_saveexec_b64 s[8:9], s[4:5]
	s_cbranch_execz .LBB115_28
; %bb.27:
	v_add_co_u32_e64 v4, s[6:7], v6, v2
	buffer_load_dword v10, off, s[0:3], 0
	buffer_load_dword v11, off, s[0:3], 0 offset:4
	v_addc_co_u32_e64 v5, s[6:7], v7, v3, s[6:7]
	global_load_dwordx2 v[4:5], v[4:5], off offset:128
	s_waitcnt vmcnt(1)
	v_mul_f32_e32 v12, s19, v11
	v_mul_f32_e32 v11, s18, v11
	v_fma_f32 v12, v10, s18, -v12
	v_fmac_f32_e32 v11, s19, v10
	s_waitcnt vmcnt(0)
	v_mul_f32_e32 v10, s35, v5
	v_mul_f32_e32 v5, s34, v5
	v_fma_f32 v10, v4, s34, -v10
	v_fmac_f32_e32 v5, s35, v4
	v_add_f32_e32 v4, v12, v10
	v_add_co_u32_e64 v10, s[6:7], v8, v2
	v_add_f32_e32 v5, v11, v5
	v_addc_co_u32_e64 v11, s[6:7], v9, v3, s[6:7]
	global_store_dwordx2 v[10:11], v[4:5], off offset:128
.LBB115_28:
	s_or_b64 exec, exec, s[8:9]
	v_add_co_u32_e64 v0, s[6:7], 16, v0
	v_addc_co_u32_e64 v1, s[6:7], 0, v1, s[6:7]
	v_cmp_gt_i64_e64 s[6:7], s[14:15], v[0:1]
	s_and_b64 exec, exec, s[6:7]
	s_cbranch_execz .LBB115_33
; %bb.29:
	buffer_load_dword v10, off, s[0:3], 0 offset:16
	buffer_load_dword v11, off, s[0:3], 0 offset:20
	s_lshl_b64 s[6:7], s[22:23], 7
	v_mov_b32_e32 v0, s7
	v_add_co_u32_e64 v1, s[6:7], s6, v6
	v_addc_co_u32_e64 v0, s[6:7], v7, v0, s[6:7]
	s_lshl_b64 s[6:7], s[28:29], 7
	v_mov_b32_e32 v4, s7
	v_add_co_u32_e64 v6, s[6:7], s6, v8
	v_addc_co_u32_e64 v7, s[6:7], v9, v4, s[6:7]
	v_add_co_u32_e64 v4, s[6:7], v1, v2
	v_addc_co_u32_e64 v5, s[6:7], v0, v3, s[6:7]
	v_add_co_u32_e64 v0, s[6:7], v6, v2
	v_addc_co_u32_e64 v1, s[6:7], v7, v3, s[6:7]
	s_and_saveexec_b64 s[6:7], vcc
	s_cbranch_execz .LBB115_31
; %bb.30:
	buffer_load_dword v6, off, s[0:3], 0 offset:12
	buffer_load_dword v7, off, s[0:3], 0 offset:8
	global_load_dwordx2 v[2:3], v[4:5], off
	s_waitcnt vmcnt(2)
	v_mul_f32_e32 v8, s19, v6
	v_mul_f32_e32 v6, s18, v6
	s_waitcnt vmcnt(0)
	v_mul_f32_e32 v9, s35, v3
	v_mul_f32_e32 v3, s34, v3
	v_fma_f32 v8, v7, s18, -v8
	v_fmac_f32_e32 v6, s19, v7
	v_fma_f32 v7, v2, s34, -v9
	v_fmac_f32_e32 v3, s35, v2
	v_add_f32_e32 v2, v8, v7
	v_add_f32_e32 v3, v6, v3
	global_store_dwordx2 v[0:1], v[2:3], off
.LBB115_31:
	s_or_b64 exec, exec, s[6:7]
	s_and_b64 exec, exec, s[4:5]
	s_cbranch_execz .LBB115_33
; %bb.32:
	global_load_dwordx2 v[2:3], v[4:5], off offset:128
	s_waitcnt vmcnt(1)
	v_mul_f32_e32 v4, s19, v11
	v_mul_f32_e32 v5, s18, v11
	v_fma_f32 v4, v10, s18, -v4
	v_fmac_f32_e32 v5, s19, v10
	s_waitcnt vmcnt(0)
	v_mul_f32_e32 v6, s35, v3
	v_mul_f32_e32 v3, s34, v3
	v_fma_f32 v6, v2, s34, -v6
	v_fmac_f32_e32 v3, s35, v2
	v_add_f32_e32 v2, v4, v6
	v_add_f32_e32 v3, v5, v3
	global_store_dwordx2 v[0:1], v[2:3], off offset:128
.LBB115_33:
	s_endpgm
	.section	.rodata,"a",@progbits
	.p2align	6, 0x0
	.amdhsa_kernel _ZN12_GLOBAL__N_135rocblas_gemm_batched_general_kernelI19rocblas_complex_numIfELi16ELi16ELi32ELi32ELi8ELi32ELi8ELi8ELi32ELc84ELc67EKS2_S3_S2_EEvlllT_PT11_llS6_llS4_PT12_llPT13_lli
		.amdhsa_group_segment_fixed_size 4096
		.amdhsa_private_segment_fixed_size 32
		.amdhsa_kernarg_size 140
		.amdhsa_user_sgpr_count 8
		.amdhsa_user_sgpr_private_segment_buffer 1
		.amdhsa_user_sgpr_dispatch_ptr 0
		.amdhsa_user_sgpr_queue_ptr 0
		.amdhsa_user_sgpr_kernarg_segment_ptr 1
		.amdhsa_user_sgpr_dispatch_id 0
		.amdhsa_user_sgpr_flat_scratch_init 1
		.amdhsa_user_sgpr_kernarg_preload_length 0
		.amdhsa_user_sgpr_kernarg_preload_offset 0
		.amdhsa_user_sgpr_private_segment_size 0
		.amdhsa_uses_dynamic_stack 0
		.amdhsa_system_sgpr_private_segment_wavefront_offset 1
		.amdhsa_system_sgpr_workgroup_id_x 1
		.amdhsa_system_sgpr_workgroup_id_y 1
		.amdhsa_system_sgpr_workgroup_id_z 1
		.amdhsa_system_sgpr_workgroup_info 0
		.amdhsa_system_vgpr_workitem_id 1
		.amdhsa_next_free_vgpr 128
		.amdhsa_next_free_sgpr 42
		.amdhsa_accum_offset 128
		.amdhsa_reserve_vcc 1
		.amdhsa_reserve_flat_scratch 0
		.amdhsa_float_round_mode_32 0
		.amdhsa_float_round_mode_16_64 0
		.amdhsa_float_denorm_mode_32 3
		.amdhsa_float_denorm_mode_16_64 3
		.amdhsa_dx10_clamp 1
		.amdhsa_ieee_mode 1
		.amdhsa_fp16_overflow 0
		.amdhsa_tg_split 0
		.amdhsa_exception_fp_ieee_invalid_op 0
		.amdhsa_exception_fp_denorm_src 0
		.amdhsa_exception_fp_ieee_div_zero 0
		.amdhsa_exception_fp_ieee_overflow 0
		.amdhsa_exception_fp_ieee_underflow 0
		.amdhsa_exception_fp_ieee_inexact 0
		.amdhsa_exception_int_div_zero 0
	.end_amdhsa_kernel
	.section	.text._ZN12_GLOBAL__N_135rocblas_gemm_batched_general_kernelI19rocblas_complex_numIfELi16ELi16ELi32ELi32ELi8ELi32ELi8ELi8ELi32ELc84ELc67EKS2_S3_S2_EEvlllT_PT11_llS6_llS4_PT12_llPT13_lli,"axG",@progbits,_ZN12_GLOBAL__N_135rocblas_gemm_batched_general_kernelI19rocblas_complex_numIfELi16ELi16ELi32ELi32ELi8ELi32ELi8ELi8ELi32ELc84ELc67EKS2_S3_S2_EEvlllT_PT11_llS6_llS4_PT12_llPT13_lli,comdat
.Lfunc_end115:
	.size	_ZN12_GLOBAL__N_135rocblas_gemm_batched_general_kernelI19rocblas_complex_numIfELi16ELi16ELi32ELi32ELi8ELi32ELi8ELi8ELi32ELc84ELc67EKS2_S3_S2_EEvlllT_PT11_llS6_llS4_PT12_llPT13_lli, .Lfunc_end115-_ZN12_GLOBAL__N_135rocblas_gemm_batched_general_kernelI19rocblas_complex_numIfELi16ELi16ELi32ELi32ELi8ELi32ELi8ELi8ELi32ELc84ELc67EKS2_S3_S2_EEvlllT_PT11_llS6_llS4_PT12_llPT13_lli
                                        ; -- End function
	.section	.AMDGPU.csdata,"",@progbits
; Kernel info:
; codeLenInByte = 3816
; NumSgprs: 46
; NumVgprs: 128
; NumAgprs: 0
; TotalNumVgprs: 128
; ScratchSize: 32
; MemoryBound: 0
; FloatMode: 240
; IeeeMode: 1
; LDSByteSize: 4096 bytes/workgroup (compile time only)
; SGPRBlocks: 5
; VGPRBlocks: 15
; NumSGPRsForWavesPerEU: 46
; NumVGPRsForWavesPerEU: 128
; AccumOffset: 128
; Occupancy: 4
; WaveLimiterHint : 1
; COMPUTE_PGM_RSRC2:SCRATCH_EN: 1
; COMPUTE_PGM_RSRC2:USER_SGPR: 8
; COMPUTE_PGM_RSRC2:TRAP_HANDLER: 0
; COMPUTE_PGM_RSRC2:TGID_X_EN: 1
; COMPUTE_PGM_RSRC2:TGID_Y_EN: 1
; COMPUTE_PGM_RSRC2:TGID_Z_EN: 1
; COMPUTE_PGM_RSRC2:TIDIG_COMP_CNT: 1
; COMPUTE_PGM_RSRC3_GFX90A:ACCUM_OFFSET: 31
; COMPUTE_PGM_RSRC3_GFX90A:TG_SPLIT: 0
	.section	.text._ZN12_GLOBAL__N_125rocblas_gemm_scale_kernelILi32ELi32E19rocblas_complex_numIdEPS2_EEviiT1_T2_llli,"axG",@progbits,_ZN12_GLOBAL__N_125rocblas_gemm_scale_kernelILi32ELi32E19rocblas_complex_numIdEPS2_EEviiT1_T2_llli,comdat
	.globl	_ZN12_GLOBAL__N_125rocblas_gemm_scale_kernelILi32ELi32E19rocblas_complex_numIdEPS2_EEviiT1_T2_llli ; -- Begin function _ZN12_GLOBAL__N_125rocblas_gemm_scale_kernelILi32ELi32E19rocblas_complex_numIdEPS2_EEviiT1_T2_llli
	.p2align	8
	.type	_ZN12_GLOBAL__N_125rocblas_gemm_scale_kernelILi32ELi32E19rocblas_complex_numIdEPS2_EEviiT1_T2_llli,@function
_ZN12_GLOBAL__N_125rocblas_gemm_scale_kernelILi32ELi32E19rocblas_complex_numIdEPS2_EEviiT1_T2_llli: ; @_ZN12_GLOBAL__N_125rocblas_gemm_scale_kernelILi32ELi32E19rocblas_complex_numIdEPS2_EEviiT1_T2_llli
; %bb.0:
	s_load_dwordx2 s[0:1], s[4:5], 0x0
	v_and_b32_e32 v1, 0x3ff, v0
	v_bfe_u32 v0, v0, 10, 10
	v_lshl_add_u32 v4, s6, 5, v1
	v_lshl_add_u32 v0, s7, 5, v0
	s_waitcnt lgkmcnt(0)
	v_cmp_gt_u32_e32 vcc, s0, v4
	v_cmp_gt_u32_e64 s[0:1], s1, v0
	s_and_b64 s[0:1], vcc, s[0:1]
	s_and_saveexec_b64 s[2:3], s[0:1]
	s_cbranch_execz .LBB116_4
; %bb.1:
	s_load_dwordx4 s[20:23], s[4:5], 0x28
	s_load_dwordx8 s[12:19], s[4:5], 0x8
	v_pk_mov_b32 v[2:3], 0, 0
	v_mov_b32_e32 v5, 0
	v_lshlrev_b64 v[4:5], 4, v[4:5]
	s_waitcnt lgkmcnt(0)
	s_mul_i32 s1, s8, s23
	s_mul_hi_u32 s2, s8, s22
	s_mul_i32 s0, s8, s22
	s_add_i32 s1, s2, s1
	s_lshl_b64 s[0:1], s[0:1], 4
	s_add_u32 s2, s16, s0
	s_addc_u32 s3, s17, s1
	s_lshl_b64 s[0:1], s[18:19], 4
	v_mad_u64_u32 v[6:7], s[6:7], v0, s20, 0
	s_add_u32 s0, s2, s0
	v_mov_b32_e32 v8, v7
	s_addc_u32 s1, s3, s1
	v_cmp_neq_f64_e64 s[2:3], s[12:13], 0
	v_cmp_neq_f64_e64 s[4:5], s[14:15], 0
	v_mad_u64_u32 v[0:1], s[6:7], v0, s21, v[8:9]
	v_mov_b32_e32 v7, v0
	s_or_b64 s[2:3], s[2:3], s[4:5]
	s_andn2_b64 vcc, exec, s[2:3]
	v_lshlrev_b64 v[6:7], 4, v[6:7]
	v_pk_mov_b32 v[0:1], v[2:3], v[2:3] op_sel:[0,1]
	s_cbranch_vccnz .LBB116_3
; %bb.2:
	v_mov_b32_e32 v0, s1
	v_add_co_u32_e32 v1, vcc, s0, v6
	v_addc_co_u32_e32 v2, vcc, v0, v7, vcc
	v_add_co_u32_e32 v0, vcc, v1, v4
	v_addc_co_u32_e32 v1, vcc, v2, v5, vcc
	global_load_dwordx4 v[8:11], v[0:1], off
	s_waitcnt vmcnt(0)
	v_mul_f64 v[0:1], s[14:15], v[10:11]
	v_mul_f64 v[2:3], s[12:13], v[10:11]
	v_fma_f64 v[0:1], s[12:13], v[8:9], -v[0:1]
	v_fmac_f64_e32 v[2:3], s[14:15], v[8:9]
.LBB116_3:
	v_mov_b32_e32 v8, s1
	v_add_co_u32_e32 v6, vcc, s0, v6
	v_addc_co_u32_e32 v7, vcc, v8, v7, vcc
	v_add_co_u32_e32 v4, vcc, v6, v4
	v_addc_co_u32_e32 v5, vcc, v7, v5, vcc
	global_store_dwordx4 v[4:5], v[0:3], off
.LBB116_4:
	s_endpgm
	.section	.rodata,"a",@progbits
	.p2align	6, 0x0
	.amdhsa_kernel _ZN12_GLOBAL__N_125rocblas_gemm_scale_kernelILi32ELi32E19rocblas_complex_numIdEPS2_EEviiT1_T2_llli
		.amdhsa_group_segment_fixed_size 0
		.amdhsa_private_segment_fixed_size 0
		.amdhsa_kernarg_size 60
		.amdhsa_user_sgpr_count 6
		.amdhsa_user_sgpr_private_segment_buffer 1
		.amdhsa_user_sgpr_dispatch_ptr 0
		.amdhsa_user_sgpr_queue_ptr 0
		.amdhsa_user_sgpr_kernarg_segment_ptr 1
		.amdhsa_user_sgpr_dispatch_id 0
		.amdhsa_user_sgpr_flat_scratch_init 0
		.amdhsa_user_sgpr_kernarg_preload_length 0
		.amdhsa_user_sgpr_kernarg_preload_offset 0
		.amdhsa_user_sgpr_private_segment_size 0
		.amdhsa_uses_dynamic_stack 0
		.amdhsa_system_sgpr_private_segment_wavefront_offset 0
		.amdhsa_system_sgpr_workgroup_id_x 1
		.amdhsa_system_sgpr_workgroup_id_y 1
		.amdhsa_system_sgpr_workgroup_id_z 1
		.amdhsa_system_sgpr_workgroup_info 0
		.amdhsa_system_vgpr_workitem_id 1
		.amdhsa_next_free_vgpr 12
		.amdhsa_next_free_sgpr 24
		.amdhsa_accum_offset 12
		.amdhsa_reserve_vcc 1
		.amdhsa_reserve_flat_scratch 0
		.amdhsa_float_round_mode_32 0
		.amdhsa_float_round_mode_16_64 0
		.amdhsa_float_denorm_mode_32 3
		.amdhsa_float_denorm_mode_16_64 3
		.amdhsa_dx10_clamp 1
		.amdhsa_ieee_mode 1
		.amdhsa_fp16_overflow 0
		.amdhsa_tg_split 0
		.amdhsa_exception_fp_ieee_invalid_op 0
		.amdhsa_exception_fp_denorm_src 0
		.amdhsa_exception_fp_ieee_div_zero 0
		.amdhsa_exception_fp_ieee_overflow 0
		.amdhsa_exception_fp_ieee_underflow 0
		.amdhsa_exception_fp_ieee_inexact 0
		.amdhsa_exception_int_div_zero 0
	.end_amdhsa_kernel
	.section	.text._ZN12_GLOBAL__N_125rocblas_gemm_scale_kernelILi32ELi32E19rocblas_complex_numIdEPS2_EEviiT1_T2_llli,"axG",@progbits,_ZN12_GLOBAL__N_125rocblas_gemm_scale_kernelILi32ELi32E19rocblas_complex_numIdEPS2_EEviiT1_T2_llli,comdat
.Lfunc_end116:
	.size	_ZN12_GLOBAL__N_125rocblas_gemm_scale_kernelILi32ELi32E19rocblas_complex_numIdEPS2_EEviiT1_T2_llli, .Lfunc_end116-_ZN12_GLOBAL__N_125rocblas_gemm_scale_kernelILi32ELi32E19rocblas_complex_numIdEPS2_EEviiT1_T2_llli
                                        ; -- End function
	.section	.AMDGPU.csdata,"",@progbits
; Kernel info:
; codeLenInByte = 308
; NumSgprs: 28
; NumVgprs: 12
; NumAgprs: 0
; TotalNumVgprs: 12
; ScratchSize: 0
; MemoryBound: 0
; FloatMode: 240
; IeeeMode: 1
; LDSByteSize: 0 bytes/workgroup (compile time only)
; SGPRBlocks: 3
; VGPRBlocks: 1
; NumSGPRsForWavesPerEU: 28
; NumVGPRsForWavesPerEU: 12
; AccumOffset: 12
; Occupancy: 8
; WaveLimiterHint : 0
; COMPUTE_PGM_RSRC2:SCRATCH_EN: 0
; COMPUTE_PGM_RSRC2:USER_SGPR: 6
; COMPUTE_PGM_RSRC2:TRAP_HANDLER: 0
; COMPUTE_PGM_RSRC2:TGID_X_EN: 1
; COMPUTE_PGM_RSRC2:TGID_Y_EN: 1
; COMPUTE_PGM_RSRC2:TGID_Z_EN: 1
; COMPUTE_PGM_RSRC2:TIDIG_COMP_CNT: 1
; COMPUTE_PGM_RSRC3_GFX90A:ACCUM_OFFSET: 2
; COMPUTE_PGM_RSRC3_GFX90A:TG_SPLIT: 0
	.section	.text._ZN12_GLOBAL__N_120gemm_ex_scale_kernelILi32ELi32E19rocblas_complex_numIdEPKS2_PS2_EEviiT1_T2_lllT3_llli,"axG",@progbits,_ZN12_GLOBAL__N_120gemm_ex_scale_kernelILi32ELi32E19rocblas_complex_numIdEPKS2_PS2_EEviiT1_T2_lllT3_llli,comdat
	.globl	_ZN12_GLOBAL__N_120gemm_ex_scale_kernelILi32ELi32E19rocblas_complex_numIdEPKS2_PS2_EEviiT1_T2_lllT3_llli ; -- Begin function _ZN12_GLOBAL__N_120gemm_ex_scale_kernelILi32ELi32E19rocblas_complex_numIdEPKS2_PS2_EEviiT1_T2_lllT3_llli
	.p2align	8
	.type	_ZN12_GLOBAL__N_120gemm_ex_scale_kernelILi32ELi32E19rocblas_complex_numIdEPKS2_PS2_EEviiT1_T2_lllT3_llli,@function
_ZN12_GLOBAL__N_120gemm_ex_scale_kernelILi32ELi32E19rocblas_complex_numIdEPKS2_PS2_EEviiT1_T2_lllT3_llli: ; @_ZN12_GLOBAL__N_120gemm_ex_scale_kernelILi32ELi32E19rocblas_complex_numIdEPKS2_PS2_EEviiT1_T2_lllT3_llli
; %bb.0:
	s_load_dwordx2 s[0:1], s[4:5], 0x0
	v_and_b32_e32 v1, 0x3ff, v0
	v_bfe_u32 v0, v0, 10, 10
	v_lshl_add_u32 v4, s6, 5, v1
	v_lshl_add_u32 v6, s7, 5, v0
	s_waitcnt lgkmcnt(0)
	v_cmp_gt_u32_e32 vcc, s0, v4
	v_cmp_gt_u32_e64 s[0:1], s1, v6
	s_and_b64 s[0:1], vcc, s[0:1]
	s_and_saveexec_b64 s[2:3], s[0:1]
	s_cbranch_execz .LBB117_6
; %bb.1:
	s_load_dwordx16 s[12:27], s[4:5], 0x8
	s_mov_b64 s[0:1], 0
	s_waitcnt lgkmcnt(0)
	v_cmp_neq_f64_e64 s[2:3], s[14:15], 0
	v_cmp_neq_f64_e64 s[6:7], s[12:13], 0
	s_or_b64 s[2:3], s[6:7], s[2:3]
	s_and_b64 vcc, exec, s[2:3]
	s_cbranch_vccnz .LBB117_3
; %bb.2:
	v_mov_b32_e32 v5, 0
	s_mov_b64 s[2:3], 0
	s_andn2_b64 vcc, exec, s[0:1]
	v_pk_mov_b32 v[2:3], s[2:3], s[2:3] op_sel:[0,1]
	v_pk_mov_b32 v[0:1], s[2:3], s[2:3] op_sel:[0,1]
	s_cbranch_vccz .LBB117_4
	s_branch .LBB117_5
.LBB117_3:
                                        ; implicit-def: $sgpr2_sgpr3
	v_pk_mov_b32 v[2:3], s[2:3], s[2:3] op_sel:[0,1]
	v_pk_mov_b32 v[0:1], s[2:3], s[2:3] op_sel:[0,1]
.LBB117_4:
	s_mul_i32 s0, s8, s23
	s_mul_hi_u32 s1, s8, s22
	s_add_i32 s1, s1, s0
	s_mul_i32 s0, s8, s22
	s_lshl_b64 s[0:1], s[0:1], 4
	s_add_u32 s2, s16, s0
	s_addc_u32 s3, s17, s1
	s_lshl_b64 s[0:1], s[18:19], 4
	s_add_u32 s2, s2, s0
	s_addc_u32 s3, s3, s1
	v_mad_u64_u32 v[0:1], s[0:1], v6, s20, 0
	v_mov_b32_e32 v2, v1
	v_mad_u64_u32 v[2:3], s[0:1], v6, s21, v[2:3]
	v_mov_b32_e32 v1, v2
	v_lshlrev_b64 v[0:1], 4, v[0:1]
	v_mov_b32_e32 v5, 0
	v_mov_b32_e32 v2, s3
	v_add_co_u32_e32 v3, vcc, s2, v0
	v_addc_co_u32_e32 v2, vcc, v2, v1, vcc
	v_lshlrev_b64 v[0:1], 4, v[4:5]
	v_add_co_u32_e32 v0, vcc, v3, v0
	v_addc_co_u32_e32 v1, vcc, v2, v1, vcc
	global_load_dwordx4 v[8:11], v[0:1], off
	s_waitcnt vmcnt(0)
	v_mul_f64 v[0:1], s[14:15], v[10:11]
	v_mul_f64 v[2:3], s[12:13], v[10:11]
	v_fma_f64 v[0:1], s[12:13], v[8:9], -v[0:1]
	v_fmac_f64_e32 v[2:3], s[14:15], v[8:9]
.LBB117_5:
	s_load_dwordx4 s[0:3], s[4:5], 0x48
	v_lshlrev_b64 v[4:5], 4, v[4:5]
	s_waitcnt lgkmcnt(0)
	s_mul_i32 s3, s8, s3
	s_mul_hi_u32 s4, s8, s2
	s_mul_i32 s2, s8, s2
	s_add_i32 s3, s4, s3
	s_lshl_b64 s[2:3], s[2:3], 4
	s_add_u32 s4, s24, s2
	s_addc_u32 s5, s25, s3
	s_lshl_b64 s[2:3], s[26:27], 4
	s_add_u32 s4, s4, s2
	s_addc_u32 s5, s5, s3
	v_mad_u64_u32 v[8:9], s[2:3], v6, s0, 0
	v_mov_b32_e32 v10, v9
	v_mad_u64_u32 v[6:7], s[0:1], v6, s1, v[10:11]
	v_mov_b32_e32 v9, v6
	v_lshlrev_b64 v[6:7], 4, v[8:9]
	v_mov_b32_e32 v8, s5
	v_add_co_u32_e32 v6, vcc, s4, v6
	v_addc_co_u32_e32 v7, vcc, v8, v7, vcc
	v_add_co_u32_e32 v4, vcc, v6, v4
	v_addc_co_u32_e32 v5, vcc, v7, v5, vcc
	global_store_dwordx4 v[4:5], v[0:3], off
.LBB117_6:
	s_endpgm
	.section	.rodata,"a",@progbits
	.p2align	6, 0x0
	.amdhsa_kernel _ZN12_GLOBAL__N_120gemm_ex_scale_kernelILi32ELi32E19rocblas_complex_numIdEPKS2_PS2_EEviiT1_T2_lllT3_llli
		.amdhsa_group_segment_fixed_size 0
		.amdhsa_private_segment_fixed_size 0
		.amdhsa_kernarg_size 92
		.amdhsa_user_sgpr_count 6
		.amdhsa_user_sgpr_private_segment_buffer 1
		.amdhsa_user_sgpr_dispatch_ptr 0
		.amdhsa_user_sgpr_queue_ptr 0
		.amdhsa_user_sgpr_kernarg_segment_ptr 1
		.amdhsa_user_sgpr_dispatch_id 0
		.amdhsa_user_sgpr_flat_scratch_init 0
		.amdhsa_user_sgpr_kernarg_preload_length 0
		.amdhsa_user_sgpr_kernarg_preload_offset 0
		.amdhsa_user_sgpr_private_segment_size 0
		.amdhsa_uses_dynamic_stack 0
		.amdhsa_system_sgpr_private_segment_wavefront_offset 0
		.amdhsa_system_sgpr_workgroup_id_x 1
		.amdhsa_system_sgpr_workgroup_id_y 1
		.amdhsa_system_sgpr_workgroup_id_z 1
		.amdhsa_system_sgpr_workgroup_info 0
		.amdhsa_system_vgpr_workitem_id 1
		.amdhsa_next_free_vgpr 12
		.amdhsa_next_free_sgpr 28
		.amdhsa_accum_offset 12
		.amdhsa_reserve_vcc 1
		.amdhsa_reserve_flat_scratch 0
		.amdhsa_float_round_mode_32 0
		.amdhsa_float_round_mode_16_64 0
		.amdhsa_float_denorm_mode_32 3
		.amdhsa_float_denorm_mode_16_64 3
		.amdhsa_dx10_clamp 1
		.amdhsa_ieee_mode 1
		.amdhsa_fp16_overflow 0
		.amdhsa_tg_split 0
		.amdhsa_exception_fp_ieee_invalid_op 0
		.amdhsa_exception_fp_denorm_src 0
		.amdhsa_exception_fp_ieee_div_zero 0
		.amdhsa_exception_fp_ieee_overflow 0
		.amdhsa_exception_fp_ieee_underflow 0
		.amdhsa_exception_fp_ieee_inexact 0
		.amdhsa_exception_int_div_zero 0
	.end_amdhsa_kernel
	.section	.text._ZN12_GLOBAL__N_120gemm_ex_scale_kernelILi32ELi32E19rocblas_complex_numIdEPKS2_PS2_EEviiT1_T2_lllT3_llli,"axG",@progbits,_ZN12_GLOBAL__N_120gemm_ex_scale_kernelILi32ELi32E19rocblas_complex_numIdEPKS2_PS2_EEviiT1_T2_lllT3_llli,comdat
.Lfunc_end117:
	.size	_ZN12_GLOBAL__N_120gemm_ex_scale_kernelILi32ELi32E19rocblas_complex_numIdEPKS2_PS2_EEviiT1_T2_lllT3_llli, .Lfunc_end117-_ZN12_GLOBAL__N_120gemm_ex_scale_kernelILi32ELi32E19rocblas_complex_numIdEPKS2_PS2_EEviiT1_T2_lllT3_llli
                                        ; -- End function
	.section	.AMDGPU.csdata,"",@progbits
; Kernel info:
; codeLenInByte = 432
; NumSgprs: 32
; NumVgprs: 12
; NumAgprs: 0
; TotalNumVgprs: 12
; ScratchSize: 0
; MemoryBound: 0
; FloatMode: 240
; IeeeMode: 1
; LDSByteSize: 0 bytes/workgroup (compile time only)
; SGPRBlocks: 3
; VGPRBlocks: 1
; NumSGPRsForWavesPerEU: 32
; NumVGPRsForWavesPerEU: 12
; AccumOffset: 12
; Occupancy: 8
; WaveLimiterHint : 0
; COMPUTE_PGM_RSRC2:SCRATCH_EN: 0
; COMPUTE_PGM_RSRC2:USER_SGPR: 6
; COMPUTE_PGM_RSRC2:TRAP_HANDLER: 0
; COMPUTE_PGM_RSRC2:TGID_X_EN: 1
; COMPUTE_PGM_RSRC2:TGID_Y_EN: 1
; COMPUTE_PGM_RSRC2:TGID_Z_EN: 1
; COMPUTE_PGM_RSRC2:TIDIG_COMP_CNT: 1
; COMPUTE_PGM_RSRC3_GFX90A:ACCUM_OFFSET: 2
; COMPUTE_PGM_RSRC3_GFX90A:TG_SPLIT: 0
	.section	.text._ZN12_GLOBAL__N_127rocblas_gemm_batched_kernelI19rocblas_complex_numIdELi16ELi16ELi64ELi64ELi4ELi64ELi4ELi4ELi64ELc78ELc78EKS2_S3_S2_EEvlllT_PT11_llS6_llS4_PT12_llPT13_lli,"axG",@progbits,_ZN12_GLOBAL__N_127rocblas_gemm_batched_kernelI19rocblas_complex_numIdELi16ELi16ELi64ELi64ELi4ELi64ELi4ELi4ELi64ELc78ELc78EKS2_S3_S2_EEvlllT_PT11_llS6_llS4_PT12_llPT13_lli,comdat
	.globl	_ZN12_GLOBAL__N_127rocblas_gemm_batched_kernelI19rocblas_complex_numIdELi16ELi16ELi64ELi64ELi4ELi64ELi4ELi4ELi64ELc78ELc78EKS2_S3_S2_EEvlllT_PT11_llS6_llS4_PT12_llPT13_lli ; -- Begin function _ZN12_GLOBAL__N_127rocblas_gemm_batched_kernelI19rocblas_complex_numIdELi16ELi16ELi64ELi64ELi4ELi64ELi4ELi4ELi64ELc78ELc78EKS2_S3_S2_EEvlllT_PT11_llS6_llS4_PT12_llPT13_lli
	.p2align	8
	.type	_ZN12_GLOBAL__N_127rocblas_gemm_batched_kernelI19rocblas_complex_numIdELi16ELi16ELi64ELi64ELi4ELi64ELi4ELi4ELi64ELc78ELc78EKS2_S3_S2_EEvlllT_PT11_llS6_llS4_PT12_llPT13_lli,@function
_ZN12_GLOBAL__N_127rocblas_gemm_batched_kernelI19rocblas_complex_numIdELi16ELi16ELi64ELi64ELi4ELi64ELi4ELi4ELi64ELc78ELc78EKS2_S3_S2_EEvlllT_PT11_llS6_llS4_PT12_llPT13_lli: ; @_ZN12_GLOBAL__N_127rocblas_gemm_batched_kernelI19rocblas_complex_numIdELi16ELi16ELi64ELi64ELi4ELi64ELi4ELi4ELi64ELc78ELc78EKS2_S3_S2_EEvlllT_PT11_llS6_llS4_PT12_llPT13_lli
; %bb.0:
	s_load_dwordx16 s[36:51], s[4:5], 0x10
	s_load_dwordx16 s[12:27], s[4:5], 0x50
	s_mov_b32 s2, s7
	s_ashr_i32 s7, s6, 31
	s_ashr_i32 s3, s2, 31
	s_waitcnt lgkmcnt(0)
	v_cmp_lt_i64_e64 s[10:11], s[36:37], 1
	v_bfe_u32 v101, v0, 10, 10
	v_and_b32_e32 v100, 0x3ff, v0
	s_lshl_b64 s[0:1], s[6:7], 6
	s_lshl_b64 s[2:3], s[2:3], 6
	s_mov_b64 s[6:7], 0
	s_and_b64 vcc, exec, s[10:11]
	s_cbranch_vccnz .LBB118_3
; %bb.1:
	v_lshl_add_u32 v0, v101, 4, v100
	v_lshrrev_b32_e32 v1, 2, v0
	v_mov_b32_e32 v2, s3
	v_add_co_u32_e32 v4, vcc, s2, v1
	v_addc_co_u32_e32 v5, vcc, 0, v2, vcc
	v_and_b32_e32 v2, 3, v100
	v_and_b32_e32 v6, 63, v0
	v_lshrrev_b32_e32 v3, 6, v0
	v_lshlrev_b32_e32 v0, 4, v6
	v_lshlrev_b32_e32 v7, 4, v2
	v_lshl_or_b32 v102, v3, 10, v0
	v_lshl_or_b32 v0, v1, 6, v7
	v_add_u32_e32 v103, 0x1000, v0
	v_mov_b32_e32 v0, 0x1000
	v_lshl_add_u32 v105, v101, 6, v0
	v_pk_mov_b32 v[0:1], s[0:1], s[0:1] op_sel:[0,1]
	v_mad_u64_u32 v[0:1], s[28:29], v3, s44, v[0:1]
	s_mul_i32 s9, s47, s8
	s_mul_hi_u32 s10, s46, s8
	v_mov_b32_e32 v2, v1
	s_add_i32 s11, s10, s9
	s_mul_i32 s10, s46, s8
	v_mad_u64_u32 v[2:3], s[28:29], v3, s45, v[2:3]
	s_lshl_b64 s[10:11], s[10:11], 4
	v_mov_b32_e32 v1, v2
	v_add_co_u32_e32 v0, vcc, v0, v6
	v_addc_co_u32_e32 v1, vcc, 0, v1, vcc
	s_add_u32 s9, s42, s10
	v_lshlrev_b64 v[0:1], 4, v[0:1]
	s_addc_u32 s10, s43, s11
	v_mov_b32_e32 v2, s10
	v_add_co_u32_e32 v24, vcc, s9, v0
	v_addc_co_u32_e32 v25, vcc, v2, v1, vcc
	v_mul_lo_u32 v2, s51, v4
	v_mul_lo_u32 v3, s50, v5
	v_mad_u64_u32 v[0:1], s[28:29], s50, v4, 0
	s_mul_i32 s9, s13, s8
	s_mul_hi_u32 s13, s12, s8
	v_add3_u32 v1, v1, v3, v2
	s_add_i32 s13, s13, s9
	s_mul_i32 s12, s12, s8
	v_lshlrev_b64 v[0:1], 4, v[0:1]
	s_lshl_b64 s[12:13], s[12:13], 4
	v_mov_b32_e32 v2, s13
	v_add_co_u32_e32 v0, vcc, s12, v0
	v_addc_co_u32_e32 v1, vcc, v1, v2, vcc
	v_add_co_u32_e32 v0, vcc, v0, v7
	v_addc_co_u32_e32 v1, vcc, 0, v1, vcc
	s_lshl_b64 s[10:11], s[44:45], 6
	v_mov_b32_e32 v2, s49
	v_add_co_u32_e32 v26, vcc, s48, v0
	v_lshlrev_b32_e32 v104, 4, v100
	v_addc_co_u32_e32 v27, vcc, v2, v1, vcc
	v_pk_mov_b32 v[8:9], 0, 0
	v_mov_b32_e32 v106, s11
	v_pk_mov_b32 v[28:29], s[36:37], s[36:37] op_sel:[0,1]
	v_pk_mov_b32 v[10:11], 0, 0
	v_pk_mov_b32 v[14:15], 0, 0
	;; [unrolled: 1-line block ×31, first 2 shown]
.LBB118_2:                              ; =>This Inner Loop Header: Depth=1
	global_load_dwordx4 v[0:3], v[24:25], off
	v_add_co_u32_e32 v24, vcc, s10, v24
	v_addc_co_u32_e32 v25, vcc, v25, v106, vcc
	s_add_u32 s6, s6, 4
	s_addc_u32 s7, s7, 0
	s_waitcnt vmcnt(0)
	ds_write2_b64 v102, v[0:1], v[2:3] offset1:1
	global_load_dwordx4 v[0:3], v[26:27], off
	v_add_co_u32_e32 v26, vcc, 64, v26
	v_addc_co_u32_e32 v27, vcc, 0, v27, vcc
	v_cmp_lt_i64_e32 vcc, s[6:7], v[28:29]
	s_and_b64 vcc, exec, vcc
	s_waitcnt vmcnt(0)
	ds_write2_b64 v103, v[0:1], v[2:3] offset1:1
	s_waitcnt lgkmcnt(0)
	s_barrier
	ds_read_b128 v[78:81], v105
	ds_read_b128 v[108:111], v105 offset:16
	ds_read_b128 v[4:7], v105 offset:32
	;; [unrolled: 1-line block ×3, first 2 shown]
	ds_read_b128 v[112:115], v104
	ds_read_b128 v[116:119], v104 offset:256
	s_waitcnt lgkmcnt(1)
	v_mul_f64 v[82:83], v[80:81], v[114:115]
	v_mul_f64 v[84:85], v[78:79], v[114:115]
	v_fma_f64 v[82:83], v[78:79], v[112:113], -v[82:83]
	v_fmac_f64_e32 v[84:85], v[80:81], v[112:113]
	v_add_f64 v[120:121], v[60:61], v[82:83]
	v_add_f64 v[122:123], v[64:65], v[84:85]
	s_waitcnt lgkmcnt(0)
	v_mul_f64 v[60:61], v[80:81], v[118:119]
	v_mul_f64 v[64:65], v[78:79], v[118:119]
	v_fma_f64 v[60:61], v[78:79], v[116:117], -v[60:61]
	v_fmac_f64_e32 v[64:65], v[80:81], v[116:117]
	v_add_f64 v[124:125], v[38:39], v[60:61]
	v_add_f64 v[126:127], v[40:41], v[64:65]
	ds_read_b128 v[38:41], v104 offset:512
	s_waitcnt lgkmcnt(0)
	v_mul_f64 v[60:61], v[80:81], v[40:41]
	v_mul_f64 v[64:65], v[78:79], v[40:41]
	v_fma_f64 v[60:61], v[78:79], v[38:39], -v[60:61]
	v_fmac_f64_e32 v[64:65], v[80:81], v[38:39]
	v_add_f64 v[128:129], v[30:31], v[60:61]
	v_add_f64 v[130:131], v[32:33], v[64:65]
	ds_read_b128 v[30:33], v104 offset:768
	;; [unrolled: 8-line block ×3, first 2 shown]
	s_waitcnt lgkmcnt(0)
	v_mul_f64 v[60:61], v[22:23], v[114:115]
	v_fma_f64 v[60:61], v[20:21], v[112:113], -v[60:61]
	v_mul_f64 v[78:79], v[20:21], v[114:115]
	v_add_f64 v[64:65], v[70:71], v[60:61]
	v_mul_f64 v[60:61], v[22:23], v[118:119]
	v_fmac_f64_e32 v[78:79], v[22:23], v[112:113]
	v_fma_f64 v[60:61], v[20:21], v[116:117], -v[60:61]
	v_add_f64 v[70:71], v[72:73], v[78:79]
	v_mul_f64 v[72:73], v[20:21], v[118:119]
	v_add_f64 v[66:67], v[66:67], v[60:61]
	v_mul_f64 v[60:61], v[22:23], v[40:41]
	v_fmac_f64_e32 v[72:73], v[22:23], v[116:117]
	v_fma_f64 v[60:61], v[20:21], v[38:39], -v[60:61]
	v_add_f64 v[68:69], v[68:69], v[72:73]
	v_add_f64 v[72:73], v[54:55], v[60:61]
	v_mul_f64 v[54:55], v[22:23], v[32:33]
	v_mul_f64 v[78:79], v[20:21], v[40:41]
	v_fma_f64 v[54:55], v[20:21], v[30:31], -v[54:55]
	v_mul_f64 v[20:21], v[20:21], v[32:33]
	v_fmac_f64_e32 v[20:21], v[22:23], v[30:31]
	v_fmac_f64_e32 v[78:79], v[22:23], v[38:39]
	v_add_f64 v[98:99], v[48:49], v[20:21]
	ds_read_b128 v[20:23], v105 offset:2048
	v_add_f64 v[96:97], v[46:47], v[54:55]
	v_add_f64 v[94:95], v[56:57], v[78:79]
	s_waitcnt lgkmcnt(0)
	v_mul_f64 v[46:47], v[22:23], v[114:115]
	v_fma_f64 v[46:47], v[20:21], v[112:113], -v[46:47]
	v_add_f64 v[78:79], v[58:59], v[46:47]
	v_mul_f64 v[46:47], v[22:23], v[118:119]
	v_mul_f64 v[48:49], v[20:21], v[114:115]
	v_fma_f64 v[46:47], v[20:21], v[116:117], -v[46:47]
	v_fmac_f64_e32 v[48:49], v[22:23], v[112:113]
	v_add_f64 v[82:83], v[50:51], v[46:47]
	v_mul_f64 v[46:47], v[22:23], v[40:41]
	v_add_f64 v[80:81], v[62:63], v[48:49]
	v_mul_f64 v[48:49], v[20:21], v[118:119]
	v_fma_f64 v[46:47], v[20:21], v[38:39], -v[46:47]
	v_fmac_f64_e32 v[48:49], v[22:23], v[116:117]
	v_add_f64 v[86:87], v[42:43], v[46:47]
	v_mul_f64 v[42:43], v[22:23], v[32:33]
	v_add_f64 v[84:85], v[52:53], v[48:49]
	v_mul_f64 v[48:49], v[20:21], v[40:41]
	v_fma_f64 v[42:43], v[20:21], v[30:31], -v[42:43]
	v_mul_f64 v[20:21], v[20:21], v[32:33]
	v_fmac_f64_e32 v[20:21], v[22:23], v[30:31]
	v_fmac_f64_e32 v[48:49], v[22:23], v[38:39]
	v_add_f64 v[92:93], v[36:37], v[20:21]
	ds_read_b128 v[20:23], v105 offset:3072
	v_add_f64 v[90:91], v[34:35], v[42:43]
	v_add_f64 v[88:89], v[44:45], v[48:49]
	s_waitcnt lgkmcnt(0)
	v_mul_f64 v[34:35], v[22:23], v[114:115]
	v_mul_f64 v[36:37], v[20:21], v[114:115]
	v_fma_f64 v[34:35], v[20:21], v[112:113], -v[34:35]
	v_fmac_f64_e32 v[36:37], v[22:23], v[112:113]
	v_add_f64 v[58:59], v[74:75], v[34:35]
	v_add_f64 v[60:61], v[76:77], v[36:37]
	v_mul_f64 v[34:35], v[22:23], v[118:119]
	v_mul_f64 v[36:37], v[20:21], v[118:119]
	v_fma_f64 v[34:35], v[20:21], v[116:117], -v[34:35]
	v_fmac_f64_e32 v[36:37], v[22:23], v[116:117]
	v_add_f64 v[54:55], v[16:17], v[34:35]
	v_add_f64 v[56:57], v[18:19], v[36:37]
	v_mul_f64 v[16:17], v[22:23], v[40:41]
	v_mul_f64 v[18:19], v[20:21], v[40:41]
	v_fma_f64 v[16:17], v[20:21], v[38:39], -v[16:17]
	v_fmac_f64_e32 v[18:19], v[22:23], v[38:39]
	v_add_f64 v[50:51], v[12:13], v[16:17]
	v_add_f64 v[52:53], v[14:15], v[18:19]
	v_mul_f64 v[12:13], v[22:23], v[32:33]
	v_mul_f64 v[14:15], v[20:21], v[32:33]
	v_fma_f64 v[12:13], v[20:21], v[30:31], -v[12:13]
	v_fmac_f64_e32 v[14:15], v[22:23], v[30:31]
	ds_read_b128 v[20:23], v104 offset:1024
	ds_read_b128 v[16:19], v104 offset:1280
	v_add_f64 v[46:47], v[10:11], v[12:13]
	v_add_f64 v[48:49], v[8:9], v[14:15]
	ds_read_b128 v[12:15], v104 offset:1536
	ds_read_b128 v[74:77], v105 offset:1040
	s_waitcnt lgkmcnt(3)
	v_mul_f64 v[8:9], v[110:111], v[22:23]
	v_mul_f64 v[10:11], v[108:109], v[22:23]
	v_fma_f64 v[8:9], v[108:109], v[20:21], -v[8:9]
	v_fmac_f64_e32 v[10:11], v[110:111], v[20:21]
	v_add_f64 v[42:43], v[120:121], v[8:9]
	v_add_f64 v[44:45], v[122:123], v[10:11]
	s_waitcnt lgkmcnt(2)
	v_mul_f64 v[8:9], v[110:111], v[18:19]
	v_mul_f64 v[10:11], v[108:109], v[18:19]
	v_fma_f64 v[8:9], v[108:109], v[16:17], -v[8:9]
	v_fmac_f64_e32 v[10:11], v[110:111], v[16:17]
	v_add_f64 v[38:39], v[124:125], v[8:9]
	v_add_f64 v[40:41], v[126:127], v[10:11]
	;; [unrolled: 7-line block ×3, first 2 shown]
	ds_read_b128 v[8:11], v104 offset:1792
	s_waitcnt lgkmcnt(1)
	v_mul_f64 v[62:63], v[76:77], v[22:23]
	v_fma_f64 v[62:63], v[74:75], v[20:21], -v[62:63]
	v_add_f64 v[62:63], v[64:65], v[62:63]
	s_waitcnt lgkmcnt(0)
	v_mul_f64 v[30:31], v[110:111], v[10:11]
	v_fma_f64 v[30:31], v[108:109], v[8:9], -v[30:31]
	v_mul_f64 v[32:33], v[108:109], v[10:11]
	v_mul_f64 v[108:109], v[74:75], v[22:23]
	v_fmac_f64_e32 v[108:109], v[76:77], v[20:21]
	v_add_f64 v[64:65], v[70:71], v[108:109]
	v_mul_f64 v[70:71], v[76:77], v[18:19]
	v_mul_f64 v[108:109], v[74:75], v[18:19]
	v_fma_f64 v[70:71], v[74:75], v[16:17], -v[70:71]
	v_fmac_f64_e32 v[108:109], v[76:77], v[16:17]
	v_add_f64 v[66:67], v[66:67], v[70:71]
	v_add_f64 v[68:69], v[68:69], v[108:109]
	v_mul_f64 v[70:71], v[76:77], v[14:15]
	v_mul_f64 v[108:109], v[74:75], v[14:15]
	v_fma_f64 v[70:71], v[74:75], v[12:13], -v[70:71]
	v_fmac_f64_e32 v[108:109], v[76:77], v[12:13]
	v_add_f64 v[70:71], v[72:73], v[70:71]
	v_add_f64 v[72:73], v[94:95], v[108:109]
	v_mul_f64 v[94:95], v[76:77], v[10:11]
	v_fma_f64 v[94:95], v[74:75], v[8:9], -v[94:95]
	v_mul_f64 v[108:109], v[74:75], v[10:11]
	v_add_f64 v[74:75], v[96:97], v[94:95]
	ds_read_b128 v[94:97], v105 offset:2064
	v_fmac_f64_e32 v[108:109], v[76:77], v[8:9]
	v_add_f64 v[76:77], v[98:99], v[108:109]
	v_fmac_f64_e32 v[32:33], v[110:111], v[8:9]
	v_add_f64 v[32:33], v[134:135], v[32:33]
	s_waitcnt lgkmcnt(0)
	v_mul_f64 v[98:99], v[96:97], v[22:23]
	v_mul_f64 v[108:109], v[94:95], v[22:23]
	v_fma_f64 v[98:99], v[94:95], v[20:21], -v[98:99]
	v_fmac_f64_e32 v[108:109], v[96:97], v[20:21]
	v_add_f64 v[78:79], v[78:79], v[98:99]
	v_add_f64 v[80:81], v[80:81], v[108:109]
	v_mul_f64 v[98:99], v[96:97], v[18:19]
	v_mul_f64 v[108:109], v[94:95], v[18:19]
	v_fma_f64 v[98:99], v[94:95], v[16:17], -v[98:99]
	v_fmac_f64_e32 v[108:109], v[96:97], v[16:17]
	v_add_f64 v[82:83], v[82:83], v[98:99]
	v_add_f64 v[84:85], v[84:85], v[108:109]
	;; [unrolled: 6-line block ×4, first 2 shown]
	ds_read_b128 v[90:93], v105 offset:3088
	v_add_f64 v[30:31], v[132:133], v[30:31]
	s_waitcnt lgkmcnt(0)
	v_mul_f64 v[98:99], v[92:93], v[22:23]
	v_mul_f64 v[22:23], v[90:91], v[22:23]
	v_fma_f64 v[98:99], v[90:91], v[20:21], -v[98:99]
	v_fmac_f64_e32 v[22:23], v[92:93], v[20:21]
	v_mul_f64 v[20:21], v[92:93], v[18:19]
	v_mul_f64 v[18:19], v[90:91], v[18:19]
	v_fma_f64 v[20:21], v[90:91], v[16:17], -v[20:21]
	v_fmac_f64_e32 v[18:19], v[92:93], v[16:17]
	;; [unrolled: 4-line block ×3, first 2 shown]
	v_mul_f64 v[12:13], v[92:93], v[10:11]
	v_mul_f64 v[10:11], v[90:91], v[10:11]
	v_fmac_f64_e32 v[10:11], v[92:93], v[8:9]
	v_fma_f64 v[12:13], v[90:91], v[8:9], -v[12:13]
	v_add_f64 v[118:119], v[48:49], v[10:11]
	ds_read_b128 v[8:11], v104 offset:2048
	v_add_f64 v[114:115], v[52:53], v[14:15]
	v_add_f64 v[116:117], v[46:47], v[12:13]
	v_add_f64 v[110:111], v[56:57], v[18:19]
	v_add_f64 v[112:113], v[50:51], v[16:17]
	s_waitcnt lgkmcnt(0)
	v_mul_f64 v[12:13], v[6:7], v[10:11]
	v_mul_f64 v[14:15], v[4:5], v[10:11]
	v_fma_f64 v[12:13], v[4:5], v[8:9], -v[12:13]
	v_fmac_f64_e32 v[14:15], v[6:7], v[8:9]
	v_add_f64 v[120:121], v[42:43], v[12:13]
	v_add_f64 v[122:123], v[44:45], v[14:15]
	ds_read_b128 v[12:15], v104 offset:2304
	v_add_f64 v[60:61], v[60:61], v[22:23]
	v_add_f64 v[108:109], v[54:55], v[20:21]
	;; [unrolled: 1-line block ×3, first 2 shown]
	s_waitcnt lgkmcnt(0)
	v_mul_f64 v[16:17], v[6:7], v[14:15]
	v_mul_f64 v[18:19], v[4:5], v[14:15]
	v_fma_f64 v[16:17], v[4:5], v[12:13], -v[16:17]
	v_fmac_f64_e32 v[18:19], v[6:7], v[12:13]
	v_add_f64 v[38:39], v[38:39], v[16:17]
	v_add_f64 v[40:41], v[40:41], v[18:19]
	ds_read_b128 v[16:19], v104 offset:2560
	s_waitcnt lgkmcnt(0)
	v_mul_f64 v[20:21], v[6:7], v[18:19]
	v_mul_f64 v[22:23], v[4:5], v[18:19]
	v_fma_f64 v[20:21], v[4:5], v[16:17], -v[20:21]
	v_fmac_f64_e32 v[22:23], v[6:7], v[16:17]
	v_add_f64 v[124:125], v[34:35], v[20:21]
	v_add_f64 v[126:127], v[36:37], v[22:23]
	ds_read_b128 v[20:23], v104 offset:2816
	s_waitcnt lgkmcnt(0)
	v_mul_f64 v[34:35], v[6:7], v[22:23]
	v_fma_f64 v[34:35], v[4:5], v[20:21], -v[34:35]
	v_mul_f64 v[4:5], v[4:5], v[22:23]
	v_fmac_f64_e32 v[4:5], v[6:7], v[20:21]
	v_add_f64 v[130:131], v[32:33], v[4:5]
	ds_read_b128 v[4:7], v105 offset:1056
	v_add_f64 v[128:129], v[30:31], v[34:35]
	s_waitcnt lgkmcnt(0)
	v_mul_f64 v[30:31], v[6:7], v[10:11]
	v_fma_f64 v[30:31], v[4:5], v[8:9], -v[30:31]
	v_add_f64 v[46:47], v[62:63], v[30:31]
	v_mul_f64 v[30:31], v[6:7], v[14:15]
	v_mul_f64 v[32:33], v[4:5], v[10:11]
	v_fma_f64 v[30:31], v[4:5], v[12:13], -v[30:31]
	v_fmac_f64_e32 v[32:33], v[6:7], v[8:9]
	v_add_f64 v[50:51], v[66:67], v[30:31]
	v_mul_f64 v[30:31], v[6:7], v[18:19]
	v_add_f64 v[48:49], v[64:65], v[32:33]
	v_mul_f64 v[32:33], v[4:5], v[14:15]
	v_fma_f64 v[30:31], v[4:5], v[16:17], -v[30:31]
	v_fmac_f64_e32 v[32:33], v[6:7], v[12:13]
	v_add_f64 v[54:55], v[70:71], v[30:31]
	v_mul_f64 v[30:31], v[6:7], v[22:23]
	v_add_f64 v[52:53], v[68:69], v[32:33]
	v_mul_f64 v[32:33], v[4:5], v[18:19]
	v_fma_f64 v[30:31], v[4:5], v[20:21], -v[30:31]
	v_mul_f64 v[4:5], v[4:5], v[22:23]
	v_fmac_f64_e32 v[4:5], v[6:7], v[20:21]
	v_fmac_f64_e32 v[32:33], v[6:7], v[16:17]
	v_add_f64 v[62:63], v[76:77], v[4:5]
	ds_read_b128 v[4:7], v105 offset:2080
	v_add_f64 v[58:59], v[74:75], v[30:31]
	v_add_f64 v[56:57], v[72:73], v[32:33]
	s_waitcnt lgkmcnt(0)
	v_mul_f64 v[30:31], v[6:7], v[10:11]
	v_fma_f64 v[30:31], v[4:5], v[8:9], -v[30:31]
	v_add_f64 v[34:35], v[78:79], v[30:31]
	v_mul_f64 v[30:31], v[6:7], v[14:15]
	v_mul_f64 v[32:33], v[4:5], v[10:11]
	v_fma_f64 v[30:31], v[4:5], v[12:13], -v[30:31]
	v_fmac_f64_e32 v[32:33], v[6:7], v[8:9]
	v_add_f64 v[42:43], v[82:83], v[30:31]
	v_mul_f64 v[30:31], v[6:7], v[18:19]
	v_add_f64 v[36:37], v[80:81], v[32:33]
	v_mul_f64 v[32:33], v[4:5], v[14:15]
	v_fma_f64 v[30:31], v[4:5], v[16:17], -v[30:31]
	v_fmac_f64_e32 v[32:33], v[6:7], v[12:13]
	v_add_f64 v[90:91], v[86:87], v[30:31]
	v_mul_f64 v[30:31], v[6:7], v[22:23]
	v_add_f64 v[44:45], v[84:85], v[32:33]
	v_mul_f64 v[32:33], v[4:5], v[18:19]
	v_fma_f64 v[30:31], v[4:5], v[20:21], -v[30:31]
	v_mul_f64 v[4:5], v[4:5], v[22:23]
	v_fmac_f64_e32 v[4:5], v[6:7], v[20:21]
	v_fmac_f64_e32 v[32:33], v[6:7], v[16:17]
	v_add_f64 v[96:97], v[96:97], v[4:5]
	ds_read_b128 v[4:7], v105 offset:3104
	v_add_f64 v[94:95], v[94:95], v[30:31]
	v_add_f64 v[92:93], v[88:89], v[32:33]
	s_waitcnt lgkmcnt(0)
	v_mul_f64 v[30:31], v[6:7], v[10:11]
	v_mul_f64 v[10:11], v[4:5], v[10:11]
	v_fmac_f64_e32 v[10:11], v[6:7], v[8:9]
	v_fma_f64 v[30:31], v[4:5], v[8:9], -v[30:31]
	v_add_f64 v[76:77], v[60:61], v[10:11]
	v_mul_f64 v[8:9], v[6:7], v[14:15]
	v_mul_f64 v[10:11], v[4:5], v[14:15]
	v_fma_f64 v[8:9], v[4:5], v[12:13], -v[8:9]
	v_fmac_f64_e32 v[10:11], v[6:7], v[12:13]
	v_add_f64 v[86:87], v[108:109], v[8:9]
	v_add_f64 v[88:89], v[110:111], v[10:11]
	v_mul_f64 v[8:9], v[6:7], v[18:19]
	v_mul_f64 v[10:11], v[4:5], v[18:19]
	v_fma_f64 v[8:9], v[4:5], v[16:17], -v[8:9]
	v_fmac_f64_e32 v[10:11], v[6:7], v[16:17]
	ds_read_b128 v[16:19], v104 offset:3072
	ds_read_b128 v[12:15], v104 offset:3328
	v_add_f64 v[82:83], v[112:113], v[8:9]
	v_mul_f64 v[8:9], v[6:7], v[22:23]
	v_fma_f64 v[8:9], v[4:5], v[20:21], -v[8:9]
	v_mul_f64 v[4:5], v[4:5], v[22:23]
	v_add_f64 v[84:85], v[114:115], v[10:11]
	v_fmac_f64_e32 v[4:5], v[6:7], v[20:21]
	v_add_f64 v[78:79], v[116:117], v[8:9]
	ds_read_b128 v[8:11], v104 offset:3584
	v_add_f64 v[80:81], v[118:119], v[4:5]
	s_waitcnt lgkmcnt(2)
	v_mul_f64 v[4:5], v[2:3], v[18:19]
	v_mul_f64 v[6:7], v[0:1], v[18:19]
	v_fma_f64 v[4:5], v[0:1], v[16:17], -v[4:5]
	v_fmac_f64_e32 v[6:7], v[2:3], v[16:17]
	v_add_f64 v[60:61], v[120:121], v[4:5]
	v_add_f64 v[64:65], v[122:123], v[6:7]
	s_waitcnt lgkmcnt(1)
	v_mul_f64 v[4:5], v[2:3], v[14:15]
	v_mul_f64 v[6:7], v[0:1], v[14:15]
	v_fma_f64 v[4:5], v[0:1], v[12:13], -v[4:5]
	v_fmac_f64_e32 v[6:7], v[2:3], v[12:13]
	v_add_f64 v[38:39], v[38:39], v[4:5]
	;; [unrolled: 7-line block ×3, first 2 shown]
	v_add_f64 v[30:31], v[124:125], v[4:5]
	v_add_f64 v[32:33], v[126:127], v[6:7]
	ds_read_b128 v[4:7], v104 offset:3840
	s_waitcnt lgkmcnt(0)
	v_mul_f64 v[20:21], v[2:3], v[6:7]
	v_fma_f64 v[20:21], v[0:1], v[4:5], -v[20:21]
	v_mul_f64 v[0:1], v[0:1], v[6:7]
	v_fmac_f64_e32 v[0:1], v[2:3], v[4:5]
	v_add_f64 v[22:23], v[130:131], v[0:1]
	ds_read_b128 v[0:3], v105 offset:1072
	v_add_f64 v[20:21], v[128:129], v[20:21]
	s_waitcnt lgkmcnt(0)
	v_mul_f64 v[66:67], v[2:3], v[18:19]
	v_fma_f64 v[66:67], v[0:1], v[16:17], -v[66:67]
	v_add_f64 v[70:71], v[46:47], v[66:67]
	v_mul_f64 v[46:47], v[2:3], v[14:15]
	v_mul_f64 v[68:69], v[0:1], v[18:19]
	v_fma_f64 v[46:47], v[0:1], v[12:13], -v[46:47]
	v_fmac_f64_e32 v[68:69], v[2:3], v[16:17]
	v_add_f64 v[66:67], v[50:51], v[46:47]
	v_mul_f64 v[46:47], v[2:3], v[10:11]
	v_add_f64 v[72:73], v[48:49], v[68:69]
	v_mul_f64 v[48:49], v[0:1], v[14:15]
	v_fma_f64 v[46:47], v[0:1], v[8:9], -v[46:47]
	v_fmac_f64_e32 v[48:49], v[2:3], v[12:13]
	v_add_f64 v[54:55], v[54:55], v[46:47]
	v_mul_f64 v[46:47], v[2:3], v[6:7]
	v_add_f64 v[68:69], v[52:53], v[48:49]
	v_mul_f64 v[48:49], v[0:1], v[10:11]
	v_fma_f64 v[46:47], v[0:1], v[4:5], -v[46:47]
	v_mul_f64 v[0:1], v[0:1], v[6:7]
	v_fmac_f64_e32 v[48:49], v[2:3], v[8:9]
	v_fmac_f64_e32 v[0:1], v[2:3], v[4:5]
	v_add_f64 v[56:57], v[56:57], v[48:49]
	v_add_f64 v[48:49], v[62:63], v[0:1]
	ds_read_b128 v[0:3], v105 offset:2096
	v_add_f64 v[46:47], v[58:59], v[46:47]
	s_waitcnt lgkmcnt(0)
	v_mul_f64 v[50:51], v[2:3], v[18:19]
	v_fma_f64 v[50:51], v[0:1], v[16:17], -v[50:51]
	v_add_f64 v[58:59], v[34:35], v[50:51]
	v_mul_f64 v[34:35], v[2:3], v[14:15]
	v_mul_f64 v[52:53], v[0:1], v[18:19]
	v_fma_f64 v[34:35], v[0:1], v[12:13], -v[34:35]
	v_fmac_f64_e32 v[52:53], v[2:3], v[16:17]
	v_add_f64 v[50:51], v[42:43], v[34:35]
	v_mul_f64 v[34:35], v[2:3], v[10:11]
	v_add_f64 v[62:63], v[36:37], v[52:53]
	v_mul_f64 v[36:37], v[0:1], v[14:15]
	v_fma_f64 v[34:35], v[0:1], v[8:9], -v[34:35]
	v_fmac_f64_e32 v[36:37], v[2:3], v[12:13]
	v_add_f64 v[42:43], v[90:91], v[34:35]
	v_mul_f64 v[34:35], v[2:3], v[6:7]
	v_add_f64 v[52:53], v[44:45], v[36:37]
	v_mul_f64 v[36:37], v[0:1], v[10:11]
	v_fma_f64 v[34:35], v[0:1], v[4:5], -v[34:35]
	v_mul_f64 v[0:1], v[0:1], v[6:7]
	v_fmac_f64_e32 v[36:37], v[2:3], v[8:9]
	v_fmac_f64_e32 v[0:1], v[2:3], v[4:5]
	v_add_f64 v[44:45], v[92:93], v[36:37]
	v_add_f64 v[36:37], v[96:97], v[0:1]
	ds_read_b128 v[0:3], v105 offset:3120
	v_add_f64 v[34:35], v[94:95], v[34:35]
	s_waitcnt lgkmcnt(0)
	s_barrier
	v_mul_f64 v[90:91], v[2:3], v[18:19]
	v_mul_f64 v[18:19], v[0:1], v[18:19]
	v_fma_f64 v[90:91], v[0:1], v[16:17], -v[90:91]
	v_fmac_f64_e32 v[18:19], v[2:3], v[16:17]
	v_mul_f64 v[16:17], v[2:3], v[14:15]
	v_mul_f64 v[14:15], v[0:1], v[14:15]
	v_fma_f64 v[16:17], v[0:1], v[12:13], -v[16:17]
	v_fmac_f64_e32 v[14:15], v[2:3], v[12:13]
	;; [unrolled: 4-line block ×3, first 2 shown]
	v_mul_f64 v[8:9], v[2:3], v[6:7]
	v_fma_f64 v[8:9], v[0:1], v[4:5], -v[8:9]
	v_mul_f64 v[0:1], v[0:1], v[6:7]
	v_fmac_f64_e32 v[0:1], v[2:3], v[4:5]
	v_add_f64 v[74:75], v[74:75], v[90:91]
	v_add_f64 v[76:77], v[76:77], v[18:19]
	;; [unrolled: 1-line block ×8, first 2 shown]
	s_cbranch_vccnz .LBB118_2
	s_branch .LBB118_4
.LBB118_3:
	v_pk_mov_b32 v[60:61], 0, 0
	v_pk_mov_b32 v[64:65], 0, 0
	;; [unrolled: 1-line block ×32, first 2 shown]
.LBB118_4:
	s_load_dwordx2 s[4:5], s[4:5], 0x90
	v_mov_b32_e32 v0, s3
	v_add_co_u32_e32 v6, vcc, s2, v101
	v_addc_co_u32_e32 v7, vcc, 0, v0, vcc
	s_waitcnt lgkmcnt(0)
	s_mul_i32 s3, s8, s5
	s_mul_hi_u32 s5, s8, s4
	s_mul_i32 s4, s8, s4
	s_add_i32 s5, s5, s3
	s_lshl_b64 s[4:5], s[4:5], 4
	s_add_u32 s4, s24, s4
	v_cmp_neq_f64_e64 s[6:7], s[14:15], 0
	v_cmp_neq_f64_e64 s[10:11], s[16:17], 0
	v_mov_b32_e32 v1, s1
	v_add_co_u32_e32 v0, vcc, s0, v100
	s_addc_u32 s5, s25, s5
	s_or_b64 s[6:7], s[6:7], s[10:11]
	v_addc_co_u32_e32 v1, vcc, 0, v1, vcc
	s_mov_b64 s[2:3], 0
	s_and_b64 vcc, exec, s[6:7]
	s_cbranch_vccnz .LBB118_6
; %bb.5:
	v_mul_lo_u32 v4, v7, s26
	v_mul_lo_u32 v5, v6, s27
	v_mad_u64_u32 v[2:3], s[0:1], v6, s26, 0
	v_add3_u32 v3, v3, v5, v4
	v_lshlrev_b64 v[2:3], 4, v[2:3]
	v_mov_b32_e32 v4, s5
	v_add_co_u32_e32 v26, vcc, s4, v2
	v_addc_co_u32_e32 v27, vcc, v4, v3, vcc
	v_lshlrev_b64 v[24:25], 4, v[0:1]
	v_mul_f64 v[2:3], s[40:41], v[64:65]
	v_mul_f64 v[4:5], s[38:39], v[64:65]
	v_add_co_u32_e32 v24, vcc, v26, v24
	v_fma_f64 v[2:3], s[38:39], v[60:61], -v[2:3]
	v_fmac_f64_e32 v[4:5], s[40:41], v[60:61]
	v_addc_co_u32_e32 v25, vcc, v27, v25, vcc
	global_store_dwordx4 v[24:25], v[2:5], off
	s_lshl_b64 s[0:1], s[26:27], 8
	v_mul_f64 v[2:3], s[40:41], v[40:41]
	v_mul_f64 v[4:5], s[38:39], v[40:41]
	v_fma_f64 v[2:3], s[38:39], v[38:39], -v[2:3]
	v_fmac_f64_e32 v[4:5], s[40:41], v[38:39]
	global_store_dwordx4 v[24:25], v[2:5], off offset:256
	v_mov_b32_e32 v26, s1
	v_mul_f64 v[2:3], s[40:41], v[32:33]
	v_mul_f64 v[4:5], s[38:39], v[32:33]
	v_fma_f64 v[2:3], s[38:39], v[30:31], -v[2:3]
	v_fmac_f64_e32 v[4:5], s[40:41], v[30:31]
	global_store_dwordx4 v[24:25], v[2:5], off offset:512
	s_nop 0
	v_mul_f64 v[2:3], s[40:41], v[22:23]
	v_mul_f64 v[4:5], s[38:39], v[22:23]
	v_fma_f64 v[2:3], s[38:39], v[20:21], -v[2:3]
	v_fmac_f64_e32 v[4:5], s[40:41], v[20:21]
	global_store_dwordx4 v[24:25], v[2:5], off offset:768
	v_add_co_u32_e32 v24, vcc, s0, v24
	v_mul_f64 v[2:3], s[40:41], v[72:73]
	v_mul_f64 v[4:5], s[38:39], v[72:73]
	v_fma_f64 v[2:3], s[38:39], v[70:71], -v[2:3]
	v_fmac_f64_e32 v[4:5], s[40:41], v[70:71]
	v_addc_co_u32_e32 v25, vcc, v25, v26, vcc
	global_store_dwordx4 v[24:25], v[2:5], off
	s_nop 0
	v_mul_f64 v[2:3], s[40:41], v[68:69]
	v_mul_f64 v[4:5], s[38:39], v[68:69]
	v_fma_f64 v[2:3], s[38:39], v[66:67], -v[2:3]
	v_fmac_f64_e32 v[4:5], s[40:41], v[66:67]
	global_store_dwordx4 v[24:25], v[2:5], off offset:256
	s_nop 0
	v_mul_f64 v[2:3], s[40:41], v[56:57]
	v_mul_f64 v[4:5], s[38:39], v[56:57]
	v_fma_f64 v[2:3], s[38:39], v[54:55], -v[2:3]
	v_fmac_f64_e32 v[4:5], s[40:41], v[54:55]
	global_store_dwordx4 v[24:25], v[2:5], off offset:512
	s_nop 0
	v_mul_f64 v[2:3], s[40:41], v[48:49]
	v_mul_f64 v[4:5], s[38:39], v[48:49]
	v_fma_f64 v[2:3], s[38:39], v[46:47], -v[2:3]
	v_fmac_f64_e32 v[4:5], s[40:41], v[46:47]
	global_store_dwordx4 v[24:25], v[2:5], off offset:768
	v_add_co_u32_e32 v24, vcc, s0, v24
	v_mul_f64 v[2:3], s[40:41], v[62:63]
	v_mul_f64 v[4:5], s[38:39], v[62:63]
	v_fma_f64 v[2:3], s[38:39], v[58:59], -v[2:3]
	v_fmac_f64_e32 v[4:5], s[40:41], v[58:59]
	v_addc_co_u32_e32 v25, vcc, v25, v26, vcc
	global_store_dwordx4 v[24:25], v[2:5], off
	s_nop 0
	v_mul_f64 v[2:3], s[40:41], v[52:53]
	v_mul_f64 v[4:5], s[38:39], v[52:53]
	v_fma_f64 v[2:3], s[38:39], v[50:51], -v[2:3]
	v_fmac_f64_e32 v[4:5], s[40:41], v[50:51]
	global_store_dwordx4 v[24:25], v[2:5], off offset:256
	s_nop 0
	;; [unrolled: 25-line block ×3, first 2 shown]
	v_mul_f64 v[2:3], s[40:41], v[14:15]
	v_mul_f64 v[4:5], s[38:39], v[14:15]
	v_fma_f64 v[2:3], s[38:39], v[12:13], -v[2:3]
	v_fmac_f64_e32 v[4:5], s[40:41], v[12:13]
	global_store_dwordx4 v[24:25], v[2:5], off offset:512
	s_nop 0
	v_mul_f64 v[2:3], s[40:41], v[8:9]
	v_fma_f64 v[26:27], s[38:39], v[10:11], -v[2:3]
	v_mul_f64 v[4:5], s[38:39], v[8:9]
	v_add_co_u32_e32 v2, vcc, 0x300, v24
	v_fmac_f64_e32 v[4:5], s[40:41], v[10:11]
	v_addc_co_u32_e32 v3, vcc, 0, v25, vcc
	global_store_dwordx2 v[24:25], v[26:27], off offset:768
	s_andn2_b64 vcc, exec, s[2:3]
	s_cbranch_vccz .LBB118_7
	s_branch .LBB118_8
.LBB118_6:
                                        ; implicit-def: $vgpr4_vgpr5
                                        ; implicit-def: $vgpr2_vgpr3
.LBB118_7:
	s_mul_i32 s0, s8, s23
	s_mul_hi_u32 s1, s8, s22
	s_add_i32 s1, s1, s0
	s_mul_i32 s0, s8, s22
	s_lshl_b64 s[0:1], s[0:1], 4
	s_add_u32 s2, s18, s0
	s_addc_u32 s3, s19, s1
	v_mul_lo_u32 v4, v7, s20
	v_mul_lo_u32 v5, v6, s21
	v_mad_u64_u32 v[2:3], s[0:1], v6, s20, 0
	v_add3_u32 v3, v3, v5, v4
	v_lshlrev_b64 v[2:3], 4, v[2:3]
	v_mov_b32_e32 v4, s3
	v_add_co_u32_e32 v2, vcc, s2, v2
	v_addc_co_u32_e32 v3, vcc, v4, v3, vcc
	v_lshlrev_b64 v[4:5], 4, v[0:1]
	v_add_co_u32_e32 v24, vcc, v2, v4
	v_addc_co_u32_e32 v25, vcc, v3, v5, vcc
	global_load_dwordx4 v[0:3], v[24:25], off
	v_mul_lo_u32 v78, v7, s26
	v_mul_lo_u32 v79, v6, s27
	v_mad_u64_u32 v[6:7], s[0:1], v6, s26, 0
	v_add3_u32 v7, v7, v79, v78
	v_lshlrev_b64 v[6:7], 4, v[6:7]
	v_mov_b32_e32 v80, s5
	v_add_co_u32_e32 v6, vcc, s4, v6
	v_addc_co_u32_e32 v7, vcc, v80, v7, vcc
	v_add_co_u32_e32 v4, vcc, v6, v4
	v_mul_f64 v[26:27], s[40:41], v[64:65]
	v_mul_f64 v[28:29], s[38:39], v[64:65]
	v_addc_co_u32_e32 v5, vcc, v7, v5, vcc
	v_fma_f64 v[26:27], s[38:39], v[60:61], -v[26:27]
	v_fmac_f64_e32 v[28:29], s[40:41], v[60:61]
	s_lshl_b64 s[0:1], s[20:21], 8
	s_lshl_b64 s[2:3], s[26:27], 8
	s_waitcnt vmcnt(0)
	v_mul_f64 v[6:7], s[16:17], v[2:3]
	v_mul_f64 v[2:3], s[14:15], v[2:3]
	v_fma_f64 v[6:7], s[14:15], v[0:1], -v[6:7]
	v_fmac_f64_e32 v[2:3], s[16:17], v[0:1]
	v_add_f64 v[0:1], v[26:27], v[6:7]
	v_add_f64 v[2:3], v[28:29], v[2:3]
	global_store_dwordx4 v[4:5], v[0:3], off
	global_load_dwordx4 v[0:3], v[24:25], off offset:256
	v_mul_f64 v[6:7], s[40:41], v[40:41]
	v_mul_f64 v[26:27], s[38:39], v[40:41]
	v_fma_f64 v[6:7], s[38:39], v[38:39], -v[6:7]
	v_fmac_f64_e32 v[26:27], s[40:41], v[38:39]
	s_waitcnt vmcnt(0)
	v_mul_f64 v[28:29], s[16:17], v[2:3]
	v_mul_f64 v[2:3], s[14:15], v[2:3]
	v_fma_f64 v[28:29], s[14:15], v[0:1], -v[28:29]
	v_fmac_f64_e32 v[2:3], s[16:17], v[0:1]
	v_add_f64 v[0:1], v[6:7], v[28:29]
	v_add_f64 v[2:3], v[26:27], v[2:3]
	global_store_dwordx4 v[4:5], v[0:3], off offset:256
	global_load_dwordx4 v[0:3], v[24:25], off offset:512
	v_mul_f64 v[6:7], s[40:41], v[32:33]
	v_mul_f64 v[26:27], s[38:39], v[32:33]
	v_fma_f64 v[6:7], s[38:39], v[30:31], -v[6:7]
	v_fmac_f64_e32 v[26:27], s[40:41], v[30:31]
	s_waitcnt vmcnt(0)
	v_mul_f64 v[28:29], s[16:17], v[2:3]
	v_mul_f64 v[2:3], s[14:15], v[2:3]
	v_fma_f64 v[28:29], s[14:15], v[0:1], -v[28:29]
	v_fmac_f64_e32 v[2:3], s[16:17], v[0:1]
	v_add_f64 v[0:1], v[6:7], v[28:29]
	v_add_f64 v[2:3], v[26:27], v[2:3]
	global_store_dwordx4 v[4:5], v[0:3], off offset:512
	global_load_dwordx4 v[0:3], v[24:25], off offset:768
	v_mul_f64 v[6:7], s[40:41], v[22:23]
	v_mul_f64 v[22:23], s[38:39], v[22:23]
	v_fma_f64 v[6:7], s[38:39], v[20:21], -v[6:7]
	v_fmac_f64_e32 v[22:23], s[40:41], v[20:21]
	v_mov_b32_e32 v26, s1
	v_add_co_u32_e32 v20, vcc, s0, v24
	v_addc_co_u32_e32 v21, vcc, v25, v26, vcc
	v_mov_b32_e32 v27, s3
	s_waitcnt vmcnt(0)
	v_mul_f64 v[24:25], s[16:17], v[2:3]
	v_mul_f64 v[2:3], s[14:15], v[2:3]
	v_fma_f64 v[24:25], s[14:15], v[0:1], -v[24:25]
	v_fmac_f64_e32 v[2:3], s[16:17], v[0:1]
	v_add_f64 v[0:1], v[6:7], v[24:25]
	v_add_f64 v[2:3], v[22:23], v[2:3]
	global_store_dwordx4 v[4:5], v[0:3], off offset:768
	global_load_dwordx4 v[0:3], v[20:21], off
	v_mul_f64 v[6:7], s[40:41], v[72:73]
	v_mul_f64 v[22:23], s[38:39], v[72:73]
	v_fma_f64 v[6:7], s[38:39], v[70:71], -v[6:7]
	v_fmac_f64_e32 v[22:23], s[40:41], v[70:71]
	v_add_co_u32_e32 v4, vcc, s2, v4
	v_addc_co_u32_e32 v5, vcc, v5, v27, vcc
	s_waitcnt vmcnt(0)
	v_mul_f64 v[24:25], s[16:17], v[2:3]
	v_mul_f64 v[2:3], s[14:15], v[2:3]
	v_fma_f64 v[24:25], s[14:15], v[0:1], -v[24:25]
	v_fmac_f64_e32 v[2:3], s[16:17], v[0:1]
	v_add_f64 v[0:1], v[6:7], v[24:25]
	v_add_f64 v[2:3], v[22:23], v[2:3]
	global_store_dwordx4 v[4:5], v[0:3], off
	global_load_dwordx4 v[0:3], v[20:21], off offset:256
	v_mul_f64 v[6:7], s[40:41], v[68:69]
	v_mul_f64 v[22:23], s[38:39], v[68:69]
	v_fma_f64 v[6:7], s[38:39], v[66:67], -v[6:7]
	v_fmac_f64_e32 v[22:23], s[40:41], v[66:67]
	s_waitcnt vmcnt(0)
	v_mul_f64 v[24:25], s[16:17], v[2:3]
	v_mul_f64 v[2:3], s[14:15], v[2:3]
	v_fma_f64 v[24:25], s[14:15], v[0:1], -v[24:25]
	v_fmac_f64_e32 v[2:3], s[16:17], v[0:1]
	v_add_f64 v[0:1], v[6:7], v[24:25]
	v_add_f64 v[2:3], v[22:23], v[2:3]
	global_store_dwordx4 v[4:5], v[0:3], off offset:256
	global_load_dwordx4 v[0:3], v[20:21], off offset:512
	v_mul_f64 v[6:7], s[40:41], v[56:57]
	v_mul_f64 v[22:23], s[38:39], v[56:57]
	v_fma_f64 v[6:7], s[38:39], v[54:55], -v[6:7]
	v_fmac_f64_e32 v[22:23], s[40:41], v[54:55]
	s_waitcnt vmcnt(0)
	v_mul_f64 v[24:25], s[16:17], v[2:3]
	v_mul_f64 v[2:3], s[14:15], v[2:3]
	v_fma_f64 v[24:25], s[14:15], v[0:1], -v[24:25]
	v_fmac_f64_e32 v[2:3], s[16:17], v[0:1]
	v_add_f64 v[0:1], v[6:7], v[24:25]
	v_add_f64 v[2:3], v[22:23], v[2:3]
	global_store_dwordx4 v[4:5], v[0:3], off offset:512
	global_load_dwordx4 v[0:3], v[20:21], off offset:768
	v_mul_f64 v[6:7], s[40:41], v[48:49]
	v_mul_f64 v[22:23], s[38:39], v[48:49]
	v_fma_f64 v[6:7], s[38:39], v[46:47], -v[6:7]
	v_fmac_f64_e32 v[22:23], s[40:41], v[46:47]
	v_add_co_u32_e32 v20, vcc, s0, v20
	v_addc_co_u32_e32 v21, vcc, v21, v26, vcc
	s_waitcnt vmcnt(0)
	v_mul_f64 v[24:25], s[16:17], v[2:3]
	v_mul_f64 v[2:3], s[14:15], v[2:3]
	v_fma_f64 v[24:25], s[14:15], v[0:1], -v[24:25]
	v_fmac_f64_e32 v[2:3], s[16:17], v[0:1]
	v_add_f64 v[0:1], v[6:7], v[24:25]
	v_add_f64 v[2:3], v[22:23], v[2:3]
	global_store_dwordx4 v[4:5], v[0:3], off offset:768
	global_load_dwordx4 v[0:3], v[20:21], off
	v_mul_f64 v[6:7], s[40:41], v[62:63]
	v_mul_f64 v[22:23], s[38:39], v[62:63]
	v_fma_f64 v[6:7], s[38:39], v[58:59], -v[6:7]
	v_fmac_f64_e32 v[22:23], s[40:41], v[58:59]
	v_add_co_u32_e32 v4, vcc, s2, v4
	v_addc_co_u32_e32 v5, vcc, v5, v27, vcc
	s_waitcnt vmcnt(0)
	v_mul_f64 v[24:25], s[16:17], v[2:3]
	v_mul_f64 v[2:3], s[14:15], v[2:3]
	v_fma_f64 v[24:25], s[14:15], v[0:1], -v[24:25]
	v_fmac_f64_e32 v[2:3], s[16:17], v[0:1]
	v_add_f64 v[0:1], v[6:7], v[24:25]
	v_add_f64 v[2:3], v[22:23], v[2:3]
	global_store_dwordx4 v[4:5], v[0:3], off
	global_load_dwordx4 v[0:3], v[20:21], off offset:256
	v_mul_f64 v[6:7], s[40:41], v[52:53]
	v_mul_f64 v[22:23], s[38:39], v[52:53]
	v_fma_f64 v[6:7], s[38:39], v[50:51], -v[6:7]
	v_fmac_f64_e32 v[22:23], s[40:41], v[50:51]
	s_waitcnt vmcnt(0)
	v_mul_f64 v[24:25], s[16:17], v[2:3]
	v_mul_f64 v[2:3], s[14:15], v[2:3]
	v_fma_f64 v[24:25], s[14:15], v[0:1], -v[24:25]
	v_fmac_f64_e32 v[2:3], s[16:17], v[0:1]
	v_add_f64 v[0:1], v[6:7], v[24:25]
	v_add_f64 v[2:3], v[22:23], v[2:3]
	global_store_dwordx4 v[4:5], v[0:3], off offset:256
	global_load_dwordx4 v[0:3], v[20:21], off offset:512
	v_mul_f64 v[6:7], s[40:41], v[44:45]
	v_mul_f64 v[22:23], s[38:39], v[44:45]
	v_fma_f64 v[6:7], s[38:39], v[42:43], -v[6:7]
	v_fmac_f64_e32 v[22:23], s[40:41], v[42:43]
	s_waitcnt vmcnt(0)
	v_mul_f64 v[24:25], s[16:17], v[2:3]
	v_mul_f64 v[2:3], s[14:15], v[2:3]
	v_fma_f64 v[24:25], s[14:15], v[0:1], -v[24:25]
	v_fmac_f64_e32 v[2:3], s[16:17], v[0:1]
	v_add_f64 v[0:1], v[6:7], v[24:25]
	v_add_f64 v[2:3], v[22:23], v[2:3]
	global_store_dwordx4 v[4:5], v[0:3], off offset:512
	global_load_dwordx4 v[0:3], v[20:21], off offset:768
	v_mul_f64 v[6:7], s[40:41], v[36:37]
	v_mul_f64 v[22:23], s[38:39], v[36:37]
	v_fma_f64 v[6:7], s[38:39], v[34:35], -v[6:7]
	v_fmac_f64_e32 v[22:23], s[40:41], v[34:35]
	v_add_co_u32_e32 v20, vcc, s0, v20
	v_addc_co_u32_e32 v21, vcc, v21, v26, vcc
	s_waitcnt vmcnt(0)
	v_mul_f64 v[24:25], s[16:17], v[2:3]
	v_mul_f64 v[2:3], s[14:15], v[2:3]
	v_fma_f64 v[24:25], s[14:15], v[0:1], -v[24:25]
	v_fmac_f64_e32 v[2:3], s[16:17], v[0:1]
	v_add_f64 v[0:1], v[6:7], v[24:25]
	v_add_f64 v[2:3], v[22:23], v[2:3]
	global_store_dwordx4 v[4:5], v[0:3], off offset:768
	global_load_dwordx4 v[0:3], v[20:21], off
	v_add_co_u32_e32 v24, vcc, s2, v4
	v_mul_f64 v[6:7], s[40:41], v[76:77]
	v_mul_f64 v[22:23], s[38:39], v[76:77]
	v_addc_co_u32_e32 v25, vcc, v5, v27, vcc
	v_fma_f64 v[6:7], s[38:39], v[74:75], -v[6:7]
	v_fmac_f64_e32 v[22:23], s[40:41], v[74:75]
	s_waitcnt vmcnt(0)
	v_mul_f64 v[4:5], s[16:17], v[2:3]
	v_mul_f64 v[2:3], s[14:15], v[2:3]
	v_fma_f64 v[4:5], s[14:15], v[0:1], -v[4:5]
	v_fmac_f64_e32 v[2:3], s[16:17], v[0:1]
	v_add_f64 v[0:1], v[6:7], v[4:5]
	v_add_f64 v[2:3], v[22:23], v[2:3]
	global_store_dwordx4 v[24:25], v[0:3], off
	global_load_dwordx4 v[0:3], v[20:21], off offset:256
	v_mul_f64 v[4:5], s[40:41], v[18:19]
	v_mul_f64 v[6:7], s[38:39], v[18:19]
	v_fma_f64 v[4:5], s[38:39], v[16:17], -v[4:5]
	v_fmac_f64_e32 v[6:7], s[40:41], v[16:17]
	s_waitcnt vmcnt(0)
	v_mul_f64 v[16:17], s[16:17], v[2:3]
	v_mul_f64 v[2:3], s[14:15], v[2:3]
	v_fma_f64 v[16:17], s[14:15], v[0:1], -v[16:17]
	v_fmac_f64_e32 v[2:3], s[16:17], v[0:1]
	v_add_f64 v[0:1], v[4:5], v[16:17]
	v_add_f64 v[2:3], v[6:7], v[2:3]
	global_store_dwordx4 v[24:25], v[0:3], off offset:256
	global_load_dwordx4 v[0:3], v[20:21], off offset:512
	v_mul_f64 v[4:5], s[40:41], v[14:15]
	v_mul_f64 v[6:7], s[38:39], v[14:15]
	v_fma_f64 v[4:5], s[38:39], v[12:13], -v[4:5]
	v_fmac_f64_e32 v[6:7], s[40:41], v[12:13]
	s_waitcnt vmcnt(0)
	v_mul_f64 v[12:13], s[16:17], v[2:3]
	v_mul_f64 v[2:3], s[14:15], v[2:3]
	v_fma_f64 v[12:13], s[14:15], v[0:1], -v[12:13]
	v_fmac_f64_e32 v[2:3], s[16:17], v[0:1]
	v_add_f64 v[0:1], v[4:5], v[12:13]
	v_add_f64 v[2:3], v[6:7], v[2:3]
	global_store_dwordx4 v[24:25], v[0:3], off offset:512
	global_load_dwordx4 v[4:7], v[20:21], off offset:768
	v_mul_f64 v[0:1], s[40:41], v[8:9]
	v_mul_f64 v[8:9], s[38:39], v[8:9]
	v_fma_f64 v[0:1], s[38:39], v[10:11], -v[0:1]
	v_fmac_f64_e32 v[8:9], s[40:41], v[10:11]
	v_add_co_u32_e32 v2, vcc, 0x300, v24
	v_addc_co_u32_e32 v3, vcc, 0, v25, vcc
	s_waitcnt vmcnt(0)
	v_mul_f64 v[10:11], s[16:17], v[6:7]
	v_mul_f64 v[6:7], s[14:15], v[6:7]
	v_fma_f64 v[10:11], s[14:15], v[4:5], -v[10:11]
	v_fmac_f64_e32 v[6:7], s[16:17], v[4:5]
	v_add_f64 v[0:1], v[0:1], v[10:11]
	v_add_f64 v[4:5], v[8:9], v[6:7]
	global_store_dwordx2 v[24:25], v[0:1], off offset:768
.LBB118_8:
	global_store_dwordx2 v[2:3], v[4:5], off offset:8
	s_endpgm
	.section	.rodata,"a",@progbits
	.p2align	6, 0x0
	.amdhsa_kernel _ZN12_GLOBAL__N_127rocblas_gemm_batched_kernelI19rocblas_complex_numIdELi16ELi16ELi64ELi64ELi4ELi64ELi4ELi4ELi64ELc78ELc78EKS2_S3_S2_EEvlllT_PT11_llS6_llS4_PT12_llPT13_lli
		.amdhsa_group_segment_fixed_size 8192
		.amdhsa_private_segment_fixed_size 0
		.amdhsa_kernarg_size 156
		.amdhsa_user_sgpr_count 6
		.amdhsa_user_sgpr_private_segment_buffer 1
		.amdhsa_user_sgpr_dispatch_ptr 0
		.amdhsa_user_sgpr_queue_ptr 0
		.amdhsa_user_sgpr_kernarg_segment_ptr 1
		.amdhsa_user_sgpr_dispatch_id 0
		.amdhsa_user_sgpr_flat_scratch_init 0
		.amdhsa_user_sgpr_kernarg_preload_length 0
		.amdhsa_user_sgpr_kernarg_preload_offset 0
		.amdhsa_user_sgpr_private_segment_size 0
		.amdhsa_uses_dynamic_stack 0
		.amdhsa_system_sgpr_private_segment_wavefront_offset 0
		.amdhsa_system_sgpr_workgroup_id_x 1
		.amdhsa_system_sgpr_workgroup_id_y 1
		.amdhsa_system_sgpr_workgroup_id_z 1
		.amdhsa_system_sgpr_workgroup_info 0
		.amdhsa_system_vgpr_workitem_id 1
		.amdhsa_next_free_vgpr 136
		.amdhsa_next_free_sgpr 52
		.amdhsa_accum_offset 136
		.amdhsa_reserve_vcc 1
		.amdhsa_reserve_flat_scratch 0
		.amdhsa_float_round_mode_32 0
		.amdhsa_float_round_mode_16_64 0
		.amdhsa_float_denorm_mode_32 3
		.amdhsa_float_denorm_mode_16_64 3
		.amdhsa_dx10_clamp 1
		.amdhsa_ieee_mode 1
		.amdhsa_fp16_overflow 0
		.amdhsa_tg_split 0
		.amdhsa_exception_fp_ieee_invalid_op 0
		.amdhsa_exception_fp_denorm_src 0
		.amdhsa_exception_fp_ieee_div_zero 0
		.amdhsa_exception_fp_ieee_overflow 0
		.amdhsa_exception_fp_ieee_underflow 0
		.amdhsa_exception_fp_ieee_inexact 0
		.amdhsa_exception_int_div_zero 0
	.end_amdhsa_kernel
	.section	.text._ZN12_GLOBAL__N_127rocblas_gemm_batched_kernelI19rocblas_complex_numIdELi16ELi16ELi64ELi64ELi4ELi64ELi4ELi4ELi64ELc78ELc78EKS2_S3_S2_EEvlllT_PT11_llS6_llS4_PT12_llPT13_lli,"axG",@progbits,_ZN12_GLOBAL__N_127rocblas_gemm_batched_kernelI19rocblas_complex_numIdELi16ELi16ELi64ELi64ELi4ELi64ELi4ELi4ELi64ELc78ELc78EKS2_S3_S2_EEvlllT_PT11_llS6_llS4_PT12_llPT13_lli,comdat
.Lfunc_end118:
	.size	_ZN12_GLOBAL__N_127rocblas_gemm_batched_kernelI19rocblas_complex_numIdELi16ELi16ELi64ELi64ELi4ELi64ELi4ELi4ELi64ELc78ELc78EKS2_S3_S2_EEvlllT_PT11_llS6_llS4_PT12_llPT13_lli, .Lfunc_end118-_ZN12_GLOBAL__N_127rocblas_gemm_batched_kernelI19rocblas_complex_numIdELi16ELi16ELi64ELi64ELi4ELi64ELi4ELi4ELi64ELc78ELc78EKS2_S3_S2_EEvlllT_PT11_llS6_llS4_PT12_llPT13_lli
                                        ; -- End function
	.section	.AMDGPU.csdata,"",@progbits
; Kernel info:
; codeLenInByte = 6700
; NumSgprs: 56
; NumVgprs: 136
; NumAgprs: 0
; TotalNumVgprs: 136
; ScratchSize: 0
; MemoryBound: 0
; FloatMode: 240
; IeeeMode: 1
; LDSByteSize: 8192 bytes/workgroup (compile time only)
; SGPRBlocks: 6
; VGPRBlocks: 16
; NumSGPRsForWavesPerEU: 56
; NumVGPRsForWavesPerEU: 136
; AccumOffset: 136
; Occupancy: 3
; WaveLimiterHint : 1
; COMPUTE_PGM_RSRC2:SCRATCH_EN: 0
; COMPUTE_PGM_RSRC2:USER_SGPR: 6
; COMPUTE_PGM_RSRC2:TRAP_HANDLER: 0
; COMPUTE_PGM_RSRC2:TGID_X_EN: 1
; COMPUTE_PGM_RSRC2:TGID_Y_EN: 1
; COMPUTE_PGM_RSRC2:TGID_Z_EN: 1
; COMPUTE_PGM_RSRC2:TIDIG_COMP_CNT: 1
; COMPUTE_PGM_RSRC3_GFX90A:ACCUM_OFFSET: 33
; COMPUTE_PGM_RSRC3_GFX90A:TG_SPLIT: 0
	.section	.text._ZN12_GLOBAL__N_127rocblas_gemm_batched_kernelI19rocblas_complex_numIdELi16ELi16ELi64ELi64ELi4ELi64ELi4ELi4ELi64ELc84ELc78EKS2_S3_S2_EEvlllT_PT11_llS6_llS4_PT12_llPT13_lli,"axG",@progbits,_ZN12_GLOBAL__N_127rocblas_gemm_batched_kernelI19rocblas_complex_numIdELi16ELi16ELi64ELi64ELi4ELi64ELi4ELi4ELi64ELc84ELc78EKS2_S3_S2_EEvlllT_PT11_llS6_llS4_PT12_llPT13_lli,comdat
	.globl	_ZN12_GLOBAL__N_127rocblas_gemm_batched_kernelI19rocblas_complex_numIdELi16ELi16ELi64ELi64ELi4ELi64ELi4ELi4ELi64ELc84ELc78EKS2_S3_S2_EEvlllT_PT11_llS6_llS4_PT12_llPT13_lli ; -- Begin function _ZN12_GLOBAL__N_127rocblas_gemm_batched_kernelI19rocblas_complex_numIdELi16ELi16ELi64ELi64ELi4ELi64ELi4ELi4ELi64ELc84ELc78EKS2_S3_S2_EEvlllT_PT11_llS6_llS4_PT12_llPT13_lli
	.p2align	8
	.type	_ZN12_GLOBAL__N_127rocblas_gemm_batched_kernelI19rocblas_complex_numIdELi16ELi16ELi64ELi64ELi4ELi64ELi4ELi4ELi64ELc84ELc78EKS2_S3_S2_EEvlllT_PT11_llS6_llS4_PT12_llPT13_lli,@function
_ZN12_GLOBAL__N_127rocblas_gemm_batched_kernelI19rocblas_complex_numIdELi16ELi16ELi64ELi64ELi4ELi64ELi4ELi4ELi64ELc84ELc78EKS2_S3_S2_EEvlllT_PT11_llS6_llS4_PT12_llPT13_lli: ; @_ZN12_GLOBAL__N_127rocblas_gemm_batched_kernelI19rocblas_complex_numIdELi16ELi16ELi64ELi64ELi4ELi64ELi4ELi4ELi64ELc84ELc78EKS2_S3_S2_EEvlllT_PT11_llS6_llS4_PT12_llPT13_lli
; %bb.0:
	s_load_dwordx16 s[36:51], s[4:5], 0x10
	s_load_dwordx16 s[12:27], s[4:5], 0x50
	s_mov_b32 s2, s7
	s_ashr_i32 s7, s6, 31
	s_ashr_i32 s3, s2, 31
	s_waitcnt lgkmcnt(0)
	v_cmp_lt_i64_e64 s[10:11], s[36:37], 1
	v_bfe_u32 v101, v0, 10, 10
	v_and_b32_e32 v100, 0x3ff, v0
	s_lshl_b64 s[0:1], s[6:7], 6
	s_lshl_b64 s[2:3], s[2:3], 6
	s_mov_b64 s[6:7], 0
	s_and_b64 vcc, exec, s[10:11]
	s_cbranch_vccnz .LBB119_3
; %bb.1:
	v_lshl_add_u32 v0, v101, 4, v100
	v_and_b32_e32 v4, 3, v100
	v_and_b32_e32 v5, 63, v0
	v_lshrrev_b32_e32 v1, 2, v0
	v_lshrrev_b32_e32 v6, 6, v0
	v_lshlrev_b32_e32 v0, 4, v5
	v_lshlrev_b32_e32 v4, 4, v4
	v_mov_b32_e32 v2, s3
	v_add_co_u32_e32 v3, vcc, s2, v1
	v_lshl_or_b32 v102, v6, 10, v0
	v_lshl_or_b32 v0, v1, 6, v4
	v_addc_co_u32_e32 v2, vcc, 0, v2, vcc
	v_add_u32_e32 v103, 0x1000, v0
	v_mov_b32_e32 v0, 0x1000
	v_lshl_add_u32 v105, v101, 6, v0
	v_mov_b32_e32 v0, s1
	v_add_co_u32_e32 v1, vcc, s0, v5
	v_addc_co_u32_e32 v0, vcc, 0, v0, vcc
	v_mul_lo_u32 v5, s45, v1
	v_mul_lo_u32 v7, s44, v0
	v_mad_u64_u32 v[0:1], s[10:11], s44, v1, 0
	s_mul_i32 s9, s47, s8
	s_mul_hi_u32 s10, s46, s8
	v_add3_u32 v1, v1, v7, v5
	s_add_i32 s11, s10, s9
	s_mul_i32 s10, s46, s8
	v_lshlrev_b64 v[0:1], 4, v[0:1]
	s_lshl_b64 s[10:11], s[10:11], 4
	v_mov_b32_e32 v5, s11
	v_add_co_u32_e32 v0, vcc, s10, v0
	v_addc_co_u32_e32 v1, vcc, v1, v5, vcc
	v_lshlrev_b32_e32 v5, 4, v6
	v_add_co_u32_e32 v0, vcc, v0, v5
	v_addc_co_u32_e32 v1, vcc, 0, v1, vcc
	v_mov_b32_e32 v5, s43
	v_add_co_u32_e32 v24, vcc, s42, v0
	v_addc_co_u32_e32 v25, vcc, v5, v1, vcc
	v_mad_u64_u32 v[0:1], s[10:11], s50, v3, 0
	v_mul_lo_u32 v5, s51, v3
	v_mul_lo_u32 v2, s50, v2
	s_mul_i32 s9, s13, s8
	s_mul_hi_u32 s10, s12, s8
	v_add3_u32 v1, v1, v2, v5
	s_add_i32 s11, s10, s9
	s_mul_i32 s10, s12, s8
	v_lshlrev_b64 v[0:1], 4, v[0:1]
	s_lshl_b64 s[10:11], s[10:11], 4
	v_mov_b32_e32 v2, s11
	v_add_co_u32_e32 v0, vcc, s10, v0
	v_addc_co_u32_e32 v1, vcc, v1, v2, vcc
	v_add_co_u32_e32 v0, vcc, v0, v4
	v_addc_co_u32_e32 v1, vcc, 0, v1, vcc
	v_mov_b32_e32 v2, s49
	v_add_co_u32_e32 v26, vcc, s48, v0
	v_lshlrev_b32_e32 v104, 4, v100
	v_addc_co_u32_e32 v27, vcc, v2, v1, vcc
	v_pk_mov_b32 v[8:9], 0, 0
	v_pk_mov_b32 v[28:29], s[36:37], s[36:37] op_sel:[0,1]
	v_pk_mov_b32 v[10:11], 0, 0
	v_pk_mov_b32 v[14:15], 0, 0
	;; [unrolled: 1-line block ×31, first 2 shown]
.LBB119_2:                              ; =>This Inner Loop Header: Depth=1
	global_load_dwordx4 v[0:3], v[24:25], off
	v_add_co_u32_e32 v24, vcc, 64, v24
	v_addc_co_u32_e32 v25, vcc, 0, v25, vcc
	s_add_u32 s6, s6, 4
	s_addc_u32 s7, s7, 0
	s_waitcnt vmcnt(0)
	ds_write2_b64 v102, v[0:1], v[2:3] offset1:1
	global_load_dwordx4 v[0:3], v[26:27], off
	v_add_co_u32_e32 v26, vcc, 64, v26
	v_addc_co_u32_e32 v27, vcc, 0, v27, vcc
	v_cmp_lt_i64_e32 vcc, s[6:7], v[28:29]
	s_and_b64 vcc, exec, vcc
	s_waitcnt vmcnt(0)
	ds_write2_b64 v103, v[0:1], v[2:3] offset1:1
	s_waitcnt lgkmcnt(0)
	s_barrier
	ds_read_b128 v[78:81], v105
	ds_read_b128 v[106:109], v105 offset:16
	ds_read_b128 v[4:7], v105 offset:32
	;; [unrolled: 1-line block ×3, first 2 shown]
	ds_read_b128 v[110:113], v104
	ds_read_b128 v[114:117], v104 offset:256
	s_waitcnt lgkmcnt(1)
	v_mul_f64 v[82:83], v[80:81], v[112:113]
	v_mul_f64 v[84:85], v[78:79], v[112:113]
	v_fma_f64 v[82:83], v[78:79], v[110:111], -v[82:83]
	v_fmac_f64_e32 v[84:85], v[80:81], v[110:111]
	v_add_f64 v[118:119], v[60:61], v[82:83]
	v_add_f64 v[120:121], v[64:65], v[84:85]
	s_waitcnt lgkmcnt(0)
	v_mul_f64 v[60:61], v[80:81], v[116:117]
	v_mul_f64 v[64:65], v[78:79], v[116:117]
	v_fma_f64 v[60:61], v[78:79], v[114:115], -v[60:61]
	v_fmac_f64_e32 v[64:65], v[80:81], v[114:115]
	v_add_f64 v[122:123], v[38:39], v[60:61]
	v_add_f64 v[124:125], v[40:41], v[64:65]
	ds_read_b128 v[38:41], v104 offset:512
	s_waitcnt lgkmcnt(0)
	v_mul_f64 v[60:61], v[80:81], v[40:41]
	v_mul_f64 v[64:65], v[78:79], v[40:41]
	v_fma_f64 v[60:61], v[78:79], v[38:39], -v[60:61]
	v_fmac_f64_e32 v[64:65], v[80:81], v[38:39]
	v_add_f64 v[126:127], v[30:31], v[60:61]
	v_add_f64 v[128:129], v[32:33], v[64:65]
	ds_read_b128 v[30:33], v104 offset:768
	;; [unrolled: 8-line block ×3, first 2 shown]
	s_waitcnt lgkmcnt(0)
	v_mul_f64 v[60:61], v[22:23], v[112:113]
	v_fma_f64 v[60:61], v[20:21], v[110:111], -v[60:61]
	v_mul_f64 v[78:79], v[20:21], v[112:113]
	v_add_f64 v[64:65], v[70:71], v[60:61]
	v_mul_f64 v[60:61], v[22:23], v[116:117]
	v_fmac_f64_e32 v[78:79], v[22:23], v[110:111]
	v_fma_f64 v[60:61], v[20:21], v[114:115], -v[60:61]
	v_add_f64 v[70:71], v[72:73], v[78:79]
	v_mul_f64 v[72:73], v[20:21], v[116:117]
	v_add_f64 v[66:67], v[66:67], v[60:61]
	v_mul_f64 v[60:61], v[22:23], v[40:41]
	v_fmac_f64_e32 v[72:73], v[22:23], v[114:115]
	v_fma_f64 v[60:61], v[20:21], v[38:39], -v[60:61]
	v_add_f64 v[68:69], v[68:69], v[72:73]
	v_add_f64 v[72:73], v[54:55], v[60:61]
	v_mul_f64 v[54:55], v[22:23], v[32:33]
	v_mul_f64 v[78:79], v[20:21], v[40:41]
	v_fma_f64 v[54:55], v[20:21], v[30:31], -v[54:55]
	v_mul_f64 v[20:21], v[20:21], v[32:33]
	v_fmac_f64_e32 v[20:21], v[22:23], v[30:31]
	v_fmac_f64_e32 v[78:79], v[22:23], v[38:39]
	v_add_f64 v[98:99], v[48:49], v[20:21]
	ds_read_b128 v[20:23], v105 offset:2048
	v_add_f64 v[96:97], v[46:47], v[54:55]
	v_add_f64 v[94:95], v[56:57], v[78:79]
	s_waitcnt lgkmcnt(0)
	v_mul_f64 v[46:47], v[22:23], v[112:113]
	v_fma_f64 v[46:47], v[20:21], v[110:111], -v[46:47]
	v_add_f64 v[78:79], v[58:59], v[46:47]
	v_mul_f64 v[46:47], v[22:23], v[116:117]
	v_mul_f64 v[48:49], v[20:21], v[112:113]
	v_fma_f64 v[46:47], v[20:21], v[114:115], -v[46:47]
	v_fmac_f64_e32 v[48:49], v[22:23], v[110:111]
	v_add_f64 v[82:83], v[50:51], v[46:47]
	v_mul_f64 v[46:47], v[22:23], v[40:41]
	v_add_f64 v[80:81], v[62:63], v[48:49]
	v_mul_f64 v[48:49], v[20:21], v[116:117]
	v_fma_f64 v[46:47], v[20:21], v[38:39], -v[46:47]
	v_fmac_f64_e32 v[48:49], v[22:23], v[114:115]
	v_add_f64 v[86:87], v[42:43], v[46:47]
	v_mul_f64 v[42:43], v[22:23], v[32:33]
	v_add_f64 v[84:85], v[52:53], v[48:49]
	v_mul_f64 v[48:49], v[20:21], v[40:41]
	v_fma_f64 v[42:43], v[20:21], v[30:31], -v[42:43]
	v_mul_f64 v[20:21], v[20:21], v[32:33]
	v_fmac_f64_e32 v[20:21], v[22:23], v[30:31]
	v_fmac_f64_e32 v[48:49], v[22:23], v[38:39]
	v_add_f64 v[92:93], v[36:37], v[20:21]
	ds_read_b128 v[20:23], v105 offset:3072
	v_add_f64 v[90:91], v[34:35], v[42:43]
	v_add_f64 v[88:89], v[44:45], v[48:49]
	s_waitcnt lgkmcnt(0)
	v_mul_f64 v[34:35], v[22:23], v[112:113]
	v_mul_f64 v[36:37], v[20:21], v[112:113]
	v_fma_f64 v[34:35], v[20:21], v[110:111], -v[34:35]
	v_fmac_f64_e32 v[36:37], v[22:23], v[110:111]
	v_add_f64 v[58:59], v[74:75], v[34:35]
	v_add_f64 v[60:61], v[76:77], v[36:37]
	v_mul_f64 v[34:35], v[22:23], v[116:117]
	v_mul_f64 v[36:37], v[20:21], v[116:117]
	v_fma_f64 v[34:35], v[20:21], v[114:115], -v[34:35]
	v_fmac_f64_e32 v[36:37], v[22:23], v[114:115]
	v_add_f64 v[54:55], v[16:17], v[34:35]
	v_add_f64 v[56:57], v[18:19], v[36:37]
	;; [unrolled: 6-line block ×3, first 2 shown]
	v_mul_f64 v[12:13], v[22:23], v[32:33]
	v_mul_f64 v[14:15], v[20:21], v[32:33]
	v_fma_f64 v[12:13], v[20:21], v[30:31], -v[12:13]
	v_fmac_f64_e32 v[14:15], v[22:23], v[30:31]
	ds_read_b128 v[20:23], v104 offset:1024
	ds_read_b128 v[16:19], v104 offset:1280
	v_add_f64 v[46:47], v[10:11], v[12:13]
	v_add_f64 v[48:49], v[8:9], v[14:15]
	ds_read_b128 v[12:15], v104 offset:1536
	ds_read_b128 v[74:77], v105 offset:1040
	s_waitcnt lgkmcnt(3)
	v_mul_f64 v[8:9], v[108:109], v[22:23]
	v_mul_f64 v[10:11], v[106:107], v[22:23]
	v_fma_f64 v[8:9], v[106:107], v[20:21], -v[8:9]
	v_fmac_f64_e32 v[10:11], v[108:109], v[20:21]
	v_add_f64 v[42:43], v[118:119], v[8:9]
	v_add_f64 v[44:45], v[120:121], v[10:11]
	s_waitcnt lgkmcnt(2)
	v_mul_f64 v[8:9], v[108:109], v[18:19]
	v_mul_f64 v[10:11], v[106:107], v[18:19]
	v_fma_f64 v[8:9], v[106:107], v[16:17], -v[8:9]
	v_fmac_f64_e32 v[10:11], v[108:109], v[16:17]
	v_add_f64 v[38:39], v[122:123], v[8:9]
	v_add_f64 v[40:41], v[124:125], v[10:11]
	;; [unrolled: 7-line block ×3, first 2 shown]
	ds_read_b128 v[8:11], v104 offset:1792
	s_waitcnt lgkmcnt(1)
	v_mul_f64 v[62:63], v[76:77], v[22:23]
	v_fma_f64 v[62:63], v[74:75], v[20:21], -v[62:63]
	v_add_f64 v[62:63], v[64:65], v[62:63]
	s_waitcnt lgkmcnt(0)
	v_mul_f64 v[30:31], v[108:109], v[10:11]
	v_fma_f64 v[30:31], v[106:107], v[8:9], -v[30:31]
	v_mul_f64 v[32:33], v[106:107], v[10:11]
	v_mul_f64 v[106:107], v[74:75], v[22:23]
	v_fmac_f64_e32 v[106:107], v[76:77], v[20:21]
	v_add_f64 v[64:65], v[70:71], v[106:107]
	v_mul_f64 v[70:71], v[76:77], v[18:19]
	v_mul_f64 v[106:107], v[74:75], v[18:19]
	v_fma_f64 v[70:71], v[74:75], v[16:17], -v[70:71]
	v_fmac_f64_e32 v[106:107], v[76:77], v[16:17]
	v_add_f64 v[66:67], v[66:67], v[70:71]
	v_add_f64 v[68:69], v[68:69], v[106:107]
	v_mul_f64 v[70:71], v[76:77], v[14:15]
	v_mul_f64 v[106:107], v[74:75], v[14:15]
	v_fma_f64 v[70:71], v[74:75], v[12:13], -v[70:71]
	v_fmac_f64_e32 v[106:107], v[76:77], v[12:13]
	v_add_f64 v[70:71], v[72:73], v[70:71]
	v_add_f64 v[72:73], v[94:95], v[106:107]
	v_mul_f64 v[94:95], v[76:77], v[10:11]
	v_fma_f64 v[94:95], v[74:75], v[8:9], -v[94:95]
	v_mul_f64 v[106:107], v[74:75], v[10:11]
	v_add_f64 v[74:75], v[96:97], v[94:95]
	ds_read_b128 v[94:97], v105 offset:2064
	v_fmac_f64_e32 v[106:107], v[76:77], v[8:9]
	v_add_f64 v[76:77], v[98:99], v[106:107]
	v_fmac_f64_e32 v[32:33], v[108:109], v[8:9]
	v_add_f64 v[32:33], v[132:133], v[32:33]
	s_waitcnt lgkmcnt(0)
	v_mul_f64 v[98:99], v[96:97], v[22:23]
	v_mul_f64 v[106:107], v[94:95], v[22:23]
	v_fma_f64 v[98:99], v[94:95], v[20:21], -v[98:99]
	v_fmac_f64_e32 v[106:107], v[96:97], v[20:21]
	v_add_f64 v[78:79], v[78:79], v[98:99]
	v_add_f64 v[80:81], v[80:81], v[106:107]
	v_mul_f64 v[98:99], v[96:97], v[18:19]
	v_mul_f64 v[106:107], v[94:95], v[18:19]
	v_fma_f64 v[98:99], v[94:95], v[16:17], -v[98:99]
	v_fmac_f64_e32 v[106:107], v[96:97], v[16:17]
	v_add_f64 v[82:83], v[82:83], v[98:99]
	v_add_f64 v[84:85], v[84:85], v[106:107]
	v_mul_f64 v[98:99], v[96:97], v[14:15]
	v_mul_f64 v[106:107], v[94:95], v[14:15]
	v_fma_f64 v[98:99], v[94:95], v[12:13], -v[98:99]
	v_fmac_f64_e32 v[106:107], v[96:97], v[12:13]
	v_add_f64 v[86:87], v[86:87], v[98:99]
	v_add_f64 v[88:89], v[88:89], v[106:107]
	v_mul_f64 v[98:99], v[96:97], v[10:11]
	v_mul_f64 v[106:107], v[94:95], v[10:11]
	v_fma_f64 v[98:99], v[94:95], v[8:9], -v[98:99]
	v_fmac_f64_e32 v[106:107], v[96:97], v[8:9]
	v_add_f64 v[94:95], v[90:91], v[98:99]
	v_add_f64 v[96:97], v[92:93], v[106:107]
	ds_read_b128 v[90:93], v105 offset:3088
	v_add_f64 v[30:31], v[130:131], v[30:31]
	s_waitcnt lgkmcnt(0)
	v_mul_f64 v[98:99], v[92:93], v[22:23]
	v_mul_f64 v[22:23], v[90:91], v[22:23]
	v_fma_f64 v[98:99], v[90:91], v[20:21], -v[98:99]
	v_fmac_f64_e32 v[22:23], v[92:93], v[20:21]
	v_mul_f64 v[20:21], v[92:93], v[18:19]
	v_mul_f64 v[18:19], v[90:91], v[18:19]
	v_fma_f64 v[20:21], v[90:91], v[16:17], -v[20:21]
	v_fmac_f64_e32 v[18:19], v[92:93], v[16:17]
	;; [unrolled: 4-line block ×3, first 2 shown]
	v_mul_f64 v[12:13], v[92:93], v[10:11]
	v_mul_f64 v[10:11], v[90:91], v[10:11]
	v_fmac_f64_e32 v[10:11], v[92:93], v[8:9]
	v_fma_f64 v[12:13], v[90:91], v[8:9], -v[12:13]
	v_add_f64 v[116:117], v[48:49], v[10:11]
	ds_read_b128 v[8:11], v104 offset:2048
	v_add_f64 v[112:113], v[52:53], v[14:15]
	v_add_f64 v[114:115], v[46:47], v[12:13]
	;; [unrolled: 1-line block ×4, first 2 shown]
	s_waitcnt lgkmcnt(0)
	v_mul_f64 v[12:13], v[6:7], v[10:11]
	v_mul_f64 v[14:15], v[4:5], v[10:11]
	v_fma_f64 v[12:13], v[4:5], v[8:9], -v[12:13]
	v_fmac_f64_e32 v[14:15], v[6:7], v[8:9]
	v_add_f64 v[118:119], v[42:43], v[12:13]
	v_add_f64 v[120:121], v[44:45], v[14:15]
	ds_read_b128 v[12:15], v104 offset:2304
	v_add_f64 v[60:61], v[60:61], v[22:23]
	v_add_f64 v[106:107], v[54:55], v[20:21]
	;; [unrolled: 1-line block ×3, first 2 shown]
	s_waitcnt lgkmcnt(0)
	v_mul_f64 v[16:17], v[6:7], v[14:15]
	v_mul_f64 v[18:19], v[4:5], v[14:15]
	v_fma_f64 v[16:17], v[4:5], v[12:13], -v[16:17]
	v_fmac_f64_e32 v[18:19], v[6:7], v[12:13]
	v_add_f64 v[38:39], v[38:39], v[16:17]
	v_add_f64 v[40:41], v[40:41], v[18:19]
	ds_read_b128 v[16:19], v104 offset:2560
	s_waitcnt lgkmcnt(0)
	v_mul_f64 v[20:21], v[6:7], v[18:19]
	v_mul_f64 v[22:23], v[4:5], v[18:19]
	v_fma_f64 v[20:21], v[4:5], v[16:17], -v[20:21]
	v_fmac_f64_e32 v[22:23], v[6:7], v[16:17]
	v_add_f64 v[122:123], v[34:35], v[20:21]
	v_add_f64 v[124:125], v[36:37], v[22:23]
	ds_read_b128 v[20:23], v104 offset:2816
	s_waitcnt lgkmcnt(0)
	v_mul_f64 v[34:35], v[6:7], v[22:23]
	v_fma_f64 v[34:35], v[4:5], v[20:21], -v[34:35]
	v_mul_f64 v[4:5], v[4:5], v[22:23]
	v_fmac_f64_e32 v[4:5], v[6:7], v[20:21]
	v_add_f64 v[128:129], v[32:33], v[4:5]
	ds_read_b128 v[4:7], v105 offset:1056
	v_add_f64 v[126:127], v[30:31], v[34:35]
	s_waitcnt lgkmcnt(0)
	v_mul_f64 v[30:31], v[6:7], v[10:11]
	v_fma_f64 v[30:31], v[4:5], v[8:9], -v[30:31]
	v_add_f64 v[46:47], v[62:63], v[30:31]
	v_mul_f64 v[30:31], v[6:7], v[14:15]
	v_mul_f64 v[32:33], v[4:5], v[10:11]
	v_fma_f64 v[30:31], v[4:5], v[12:13], -v[30:31]
	v_fmac_f64_e32 v[32:33], v[6:7], v[8:9]
	v_add_f64 v[50:51], v[66:67], v[30:31]
	v_mul_f64 v[30:31], v[6:7], v[18:19]
	v_add_f64 v[48:49], v[64:65], v[32:33]
	v_mul_f64 v[32:33], v[4:5], v[14:15]
	v_fma_f64 v[30:31], v[4:5], v[16:17], -v[30:31]
	v_fmac_f64_e32 v[32:33], v[6:7], v[12:13]
	v_add_f64 v[54:55], v[70:71], v[30:31]
	v_mul_f64 v[30:31], v[6:7], v[22:23]
	v_add_f64 v[52:53], v[68:69], v[32:33]
	v_mul_f64 v[32:33], v[4:5], v[18:19]
	v_fma_f64 v[30:31], v[4:5], v[20:21], -v[30:31]
	v_mul_f64 v[4:5], v[4:5], v[22:23]
	v_fmac_f64_e32 v[4:5], v[6:7], v[20:21]
	v_fmac_f64_e32 v[32:33], v[6:7], v[16:17]
	v_add_f64 v[62:63], v[76:77], v[4:5]
	ds_read_b128 v[4:7], v105 offset:2080
	v_add_f64 v[58:59], v[74:75], v[30:31]
	v_add_f64 v[56:57], v[72:73], v[32:33]
	s_waitcnt lgkmcnt(0)
	v_mul_f64 v[30:31], v[6:7], v[10:11]
	v_fma_f64 v[30:31], v[4:5], v[8:9], -v[30:31]
	v_add_f64 v[34:35], v[78:79], v[30:31]
	v_mul_f64 v[30:31], v[6:7], v[14:15]
	v_mul_f64 v[32:33], v[4:5], v[10:11]
	v_fma_f64 v[30:31], v[4:5], v[12:13], -v[30:31]
	v_fmac_f64_e32 v[32:33], v[6:7], v[8:9]
	v_add_f64 v[42:43], v[82:83], v[30:31]
	v_mul_f64 v[30:31], v[6:7], v[18:19]
	v_add_f64 v[36:37], v[80:81], v[32:33]
	v_mul_f64 v[32:33], v[4:5], v[14:15]
	v_fma_f64 v[30:31], v[4:5], v[16:17], -v[30:31]
	v_fmac_f64_e32 v[32:33], v[6:7], v[12:13]
	v_add_f64 v[90:91], v[86:87], v[30:31]
	v_mul_f64 v[30:31], v[6:7], v[22:23]
	v_add_f64 v[44:45], v[84:85], v[32:33]
	v_mul_f64 v[32:33], v[4:5], v[18:19]
	v_fma_f64 v[30:31], v[4:5], v[20:21], -v[30:31]
	v_mul_f64 v[4:5], v[4:5], v[22:23]
	v_fmac_f64_e32 v[4:5], v[6:7], v[20:21]
	v_fmac_f64_e32 v[32:33], v[6:7], v[16:17]
	v_add_f64 v[96:97], v[96:97], v[4:5]
	ds_read_b128 v[4:7], v105 offset:3104
	v_add_f64 v[94:95], v[94:95], v[30:31]
	v_add_f64 v[92:93], v[88:89], v[32:33]
	s_waitcnt lgkmcnt(0)
	v_mul_f64 v[30:31], v[6:7], v[10:11]
	v_mul_f64 v[10:11], v[4:5], v[10:11]
	v_fmac_f64_e32 v[10:11], v[6:7], v[8:9]
	v_fma_f64 v[30:31], v[4:5], v[8:9], -v[30:31]
	v_add_f64 v[76:77], v[60:61], v[10:11]
	v_mul_f64 v[8:9], v[6:7], v[14:15]
	v_mul_f64 v[10:11], v[4:5], v[14:15]
	v_fma_f64 v[8:9], v[4:5], v[12:13], -v[8:9]
	v_fmac_f64_e32 v[10:11], v[6:7], v[12:13]
	v_add_f64 v[86:87], v[106:107], v[8:9]
	v_add_f64 v[88:89], v[108:109], v[10:11]
	v_mul_f64 v[8:9], v[6:7], v[18:19]
	v_mul_f64 v[10:11], v[4:5], v[18:19]
	v_fma_f64 v[8:9], v[4:5], v[16:17], -v[8:9]
	v_fmac_f64_e32 v[10:11], v[6:7], v[16:17]
	ds_read_b128 v[16:19], v104 offset:3072
	ds_read_b128 v[12:15], v104 offset:3328
	v_add_f64 v[82:83], v[110:111], v[8:9]
	v_mul_f64 v[8:9], v[6:7], v[22:23]
	v_fma_f64 v[8:9], v[4:5], v[20:21], -v[8:9]
	v_mul_f64 v[4:5], v[4:5], v[22:23]
	v_add_f64 v[84:85], v[112:113], v[10:11]
	v_fmac_f64_e32 v[4:5], v[6:7], v[20:21]
	v_add_f64 v[78:79], v[114:115], v[8:9]
	ds_read_b128 v[8:11], v104 offset:3584
	v_add_f64 v[80:81], v[116:117], v[4:5]
	s_waitcnt lgkmcnt(2)
	v_mul_f64 v[4:5], v[2:3], v[18:19]
	v_mul_f64 v[6:7], v[0:1], v[18:19]
	v_fma_f64 v[4:5], v[0:1], v[16:17], -v[4:5]
	v_fmac_f64_e32 v[6:7], v[2:3], v[16:17]
	v_add_f64 v[60:61], v[118:119], v[4:5]
	v_add_f64 v[64:65], v[120:121], v[6:7]
	s_waitcnt lgkmcnt(1)
	v_mul_f64 v[4:5], v[2:3], v[14:15]
	v_mul_f64 v[6:7], v[0:1], v[14:15]
	v_fma_f64 v[4:5], v[0:1], v[12:13], -v[4:5]
	v_fmac_f64_e32 v[6:7], v[2:3], v[12:13]
	v_add_f64 v[38:39], v[38:39], v[4:5]
	;; [unrolled: 7-line block ×3, first 2 shown]
	v_add_f64 v[30:31], v[122:123], v[4:5]
	v_add_f64 v[32:33], v[124:125], v[6:7]
	ds_read_b128 v[4:7], v104 offset:3840
	s_waitcnt lgkmcnt(0)
	v_mul_f64 v[20:21], v[2:3], v[6:7]
	v_fma_f64 v[20:21], v[0:1], v[4:5], -v[20:21]
	v_mul_f64 v[0:1], v[0:1], v[6:7]
	v_fmac_f64_e32 v[0:1], v[2:3], v[4:5]
	v_add_f64 v[22:23], v[128:129], v[0:1]
	ds_read_b128 v[0:3], v105 offset:1072
	v_add_f64 v[20:21], v[126:127], v[20:21]
	s_waitcnt lgkmcnt(0)
	v_mul_f64 v[66:67], v[2:3], v[18:19]
	v_fma_f64 v[66:67], v[0:1], v[16:17], -v[66:67]
	v_add_f64 v[70:71], v[46:47], v[66:67]
	v_mul_f64 v[46:47], v[2:3], v[14:15]
	v_mul_f64 v[68:69], v[0:1], v[18:19]
	v_fma_f64 v[46:47], v[0:1], v[12:13], -v[46:47]
	v_fmac_f64_e32 v[68:69], v[2:3], v[16:17]
	v_add_f64 v[66:67], v[50:51], v[46:47]
	v_mul_f64 v[46:47], v[2:3], v[10:11]
	v_add_f64 v[72:73], v[48:49], v[68:69]
	v_mul_f64 v[48:49], v[0:1], v[14:15]
	v_fma_f64 v[46:47], v[0:1], v[8:9], -v[46:47]
	v_fmac_f64_e32 v[48:49], v[2:3], v[12:13]
	v_add_f64 v[54:55], v[54:55], v[46:47]
	v_mul_f64 v[46:47], v[2:3], v[6:7]
	v_add_f64 v[68:69], v[52:53], v[48:49]
	v_mul_f64 v[48:49], v[0:1], v[10:11]
	v_fma_f64 v[46:47], v[0:1], v[4:5], -v[46:47]
	v_mul_f64 v[0:1], v[0:1], v[6:7]
	v_fmac_f64_e32 v[48:49], v[2:3], v[8:9]
	v_fmac_f64_e32 v[0:1], v[2:3], v[4:5]
	v_add_f64 v[56:57], v[56:57], v[48:49]
	v_add_f64 v[48:49], v[62:63], v[0:1]
	ds_read_b128 v[0:3], v105 offset:2096
	v_add_f64 v[46:47], v[58:59], v[46:47]
	s_waitcnt lgkmcnt(0)
	v_mul_f64 v[50:51], v[2:3], v[18:19]
	v_fma_f64 v[50:51], v[0:1], v[16:17], -v[50:51]
	v_add_f64 v[58:59], v[34:35], v[50:51]
	v_mul_f64 v[34:35], v[2:3], v[14:15]
	v_mul_f64 v[52:53], v[0:1], v[18:19]
	v_fma_f64 v[34:35], v[0:1], v[12:13], -v[34:35]
	v_fmac_f64_e32 v[52:53], v[2:3], v[16:17]
	v_add_f64 v[50:51], v[42:43], v[34:35]
	v_mul_f64 v[34:35], v[2:3], v[10:11]
	v_add_f64 v[62:63], v[36:37], v[52:53]
	v_mul_f64 v[36:37], v[0:1], v[14:15]
	v_fma_f64 v[34:35], v[0:1], v[8:9], -v[34:35]
	v_fmac_f64_e32 v[36:37], v[2:3], v[12:13]
	v_add_f64 v[42:43], v[90:91], v[34:35]
	v_mul_f64 v[34:35], v[2:3], v[6:7]
	v_add_f64 v[52:53], v[44:45], v[36:37]
	v_mul_f64 v[36:37], v[0:1], v[10:11]
	v_fma_f64 v[34:35], v[0:1], v[4:5], -v[34:35]
	v_mul_f64 v[0:1], v[0:1], v[6:7]
	v_fmac_f64_e32 v[36:37], v[2:3], v[8:9]
	v_fmac_f64_e32 v[0:1], v[2:3], v[4:5]
	v_add_f64 v[44:45], v[92:93], v[36:37]
	v_add_f64 v[36:37], v[96:97], v[0:1]
	ds_read_b128 v[0:3], v105 offset:3120
	v_add_f64 v[34:35], v[94:95], v[34:35]
	s_waitcnt lgkmcnt(0)
	s_barrier
	v_mul_f64 v[90:91], v[2:3], v[18:19]
	v_mul_f64 v[18:19], v[0:1], v[18:19]
	v_fma_f64 v[90:91], v[0:1], v[16:17], -v[90:91]
	v_fmac_f64_e32 v[18:19], v[2:3], v[16:17]
	v_mul_f64 v[16:17], v[2:3], v[14:15]
	v_mul_f64 v[14:15], v[0:1], v[14:15]
	v_fma_f64 v[16:17], v[0:1], v[12:13], -v[16:17]
	v_fmac_f64_e32 v[14:15], v[2:3], v[12:13]
	;; [unrolled: 4-line block ×3, first 2 shown]
	v_mul_f64 v[8:9], v[2:3], v[6:7]
	v_fma_f64 v[8:9], v[0:1], v[4:5], -v[8:9]
	v_mul_f64 v[0:1], v[0:1], v[6:7]
	v_fmac_f64_e32 v[0:1], v[2:3], v[4:5]
	v_add_f64 v[74:75], v[74:75], v[90:91]
	v_add_f64 v[76:77], v[76:77], v[18:19]
	;; [unrolled: 1-line block ×8, first 2 shown]
	s_cbranch_vccnz .LBB119_2
	s_branch .LBB119_4
.LBB119_3:
	v_pk_mov_b32 v[60:61], 0, 0
	v_pk_mov_b32 v[64:65], 0, 0
	;; [unrolled: 1-line block ×32, first 2 shown]
.LBB119_4:
	s_load_dwordx2 s[4:5], s[4:5], 0x90
	v_mov_b32_e32 v0, s3
	v_add_co_u32_e32 v6, vcc, s2, v101
	v_addc_co_u32_e32 v7, vcc, 0, v0, vcc
	s_waitcnt lgkmcnt(0)
	s_mul_i32 s3, s8, s5
	s_mul_hi_u32 s5, s8, s4
	s_mul_i32 s4, s8, s4
	s_add_i32 s5, s5, s3
	s_lshl_b64 s[4:5], s[4:5], 4
	s_add_u32 s4, s24, s4
	v_cmp_neq_f64_e64 s[6:7], s[14:15], 0
	v_cmp_neq_f64_e64 s[10:11], s[16:17], 0
	v_mov_b32_e32 v1, s1
	v_add_co_u32_e32 v0, vcc, s0, v100
	s_addc_u32 s5, s25, s5
	s_or_b64 s[6:7], s[6:7], s[10:11]
	v_addc_co_u32_e32 v1, vcc, 0, v1, vcc
	s_mov_b64 s[2:3], 0
	s_and_b64 vcc, exec, s[6:7]
	s_cbranch_vccnz .LBB119_6
; %bb.5:
	v_mul_lo_u32 v4, v7, s26
	v_mul_lo_u32 v5, v6, s27
	v_mad_u64_u32 v[2:3], s[0:1], v6, s26, 0
	v_add3_u32 v3, v3, v5, v4
	v_lshlrev_b64 v[2:3], 4, v[2:3]
	v_mov_b32_e32 v4, s5
	v_add_co_u32_e32 v26, vcc, s4, v2
	v_addc_co_u32_e32 v27, vcc, v4, v3, vcc
	v_lshlrev_b64 v[24:25], 4, v[0:1]
	v_mul_f64 v[2:3], s[40:41], v[64:65]
	v_mul_f64 v[4:5], s[38:39], v[64:65]
	v_add_co_u32_e32 v24, vcc, v26, v24
	v_fma_f64 v[2:3], s[38:39], v[60:61], -v[2:3]
	v_fmac_f64_e32 v[4:5], s[40:41], v[60:61]
	v_addc_co_u32_e32 v25, vcc, v27, v25, vcc
	global_store_dwordx4 v[24:25], v[2:5], off
	s_lshl_b64 s[0:1], s[26:27], 8
	v_mul_f64 v[2:3], s[40:41], v[40:41]
	v_mul_f64 v[4:5], s[38:39], v[40:41]
	v_fma_f64 v[2:3], s[38:39], v[38:39], -v[2:3]
	v_fmac_f64_e32 v[4:5], s[40:41], v[38:39]
	global_store_dwordx4 v[24:25], v[2:5], off offset:256
	v_mov_b32_e32 v26, s1
	v_mul_f64 v[2:3], s[40:41], v[32:33]
	v_mul_f64 v[4:5], s[38:39], v[32:33]
	v_fma_f64 v[2:3], s[38:39], v[30:31], -v[2:3]
	v_fmac_f64_e32 v[4:5], s[40:41], v[30:31]
	global_store_dwordx4 v[24:25], v[2:5], off offset:512
	s_nop 0
	v_mul_f64 v[2:3], s[40:41], v[22:23]
	v_mul_f64 v[4:5], s[38:39], v[22:23]
	v_fma_f64 v[2:3], s[38:39], v[20:21], -v[2:3]
	v_fmac_f64_e32 v[4:5], s[40:41], v[20:21]
	global_store_dwordx4 v[24:25], v[2:5], off offset:768
	v_add_co_u32_e32 v24, vcc, s0, v24
	v_mul_f64 v[2:3], s[40:41], v[72:73]
	v_mul_f64 v[4:5], s[38:39], v[72:73]
	v_fma_f64 v[2:3], s[38:39], v[70:71], -v[2:3]
	v_fmac_f64_e32 v[4:5], s[40:41], v[70:71]
	v_addc_co_u32_e32 v25, vcc, v25, v26, vcc
	global_store_dwordx4 v[24:25], v[2:5], off
	s_nop 0
	v_mul_f64 v[2:3], s[40:41], v[68:69]
	v_mul_f64 v[4:5], s[38:39], v[68:69]
	v_fma_f64 v[2:3], s[38:39], v[66:67], -v[2:3]
	v_fmac_f64_e32 v[4:5], s[40:41], v[66:67]
	global_store_dwordx4 v[24:25], v[2:5], off offset:256
	s_nop 0
	v_mul_f64 v[2:3], s[40:41], v[56:57]
	v_mul_f64 v[4:5], s[38:39], v[56:57]
	v_fma_f64 v[2:3], s[38:39], v[54:55], -v[2:3]
	v_fmac_f64_e32 v[4:5], s[40:41], v[54:55]
	global_store_dwordx4 v[24:25], v[2:5], off offset:512
	s_nop 0
	v_mul_f64 v[2:3], s[40:41], v[48:49]
	v_mul_f64 v[4:5], s[38:39], v[48:49]
	v_fma_f64 v[2:3], s[38:39], v[46:47], -v[2:3]
	v_fmac_f64_e32 v[4:5], s[40:41], v[46:47]
	global_store_dwordx4 v[24:25], v[2:5], off offset:768
	v_add_co_u32_e32 v24, vcc, s0, v24
	v_mul_f64 v[2:3], s[40:41], v[62:63]
	v_mul_f64 v[4:5], s[38:39], v[62:63]
	v_fma_f64 v[2:3], s[38:39], v[58:59], -v[2:3]
	v_fmac_f64_e32 v[4:5], s[40:41], v[58:59]
	v_addc_co_u32_e32 v25, vcc, v25, v26, vcc
	global_store_dwordx4 v[24:25], v[2:5], off
	s_nop 0
	v_mul_f64 v[2:3], s[40:41], v[52:53]
	v_mul_f64 v[4:5], s[38:39], v[52:53]
	v_fma_f64 v[2:3], s[38:39], v[50:51], -v[2:3]
	v_fmac_f64_e32 v[4:5], s[40:41], v[50:51]
	global_store_dwordx4 v[24:25], v[2:5], off offset:256
	s_nop 0
	;; [unrolled: 25-line block ×3, first 2 shown]
	v_mul_f64 v[2:3], s[40:41], v[14:15]
	v_mul_f64 v[4:5], s[38:39], v[14:15]
	v_fma_f64 v[2:3], s[38:39], v[12:13], -v[2:3]
	v_fmac_f64_e32 v[4:5], s[40:41], v[12:13]
	global_store_dwordx4 v[24:25], v[2:5], off offset:512
	s_nop 0
	v_mul_f64 v[2:3], s[40:41], v[8:9]
	v_fma_f64 v[26:27], s[38:39], v[10:11], -v[2:3]
	v_mul_f64 v[4:5], s[38:39], v[8:9]
	v_add_co_u32_e32 v2, vcc, 0x300, v24
	v_fmac_f64_e32 v[4:5], s[40:41], v[10:11]
	v_addc_co_u32_e32 v3, vcc, 0, v25, vcc
	global_store_dwordx2 v[24:25], v[26:27], off offset:768
	s_andn2_b64 vcc, exec, s[2:3]
	s_cbranch_vccz .LBB119_7
	s_branch .LBB119_8
.LBB119_6:
                                        ; implicit-def: $vgpr4_vgpr5
                                        ; implicit-def: $vgpr2_vgpr3
.LBB119_7:
	s_mul_i32 s0, s8, s23
	s_mul_hi_u32 s1, s8, s22
	s_add_i32 s1, s1, s0
	s_mul_i32 s0, s8, s22
	s_lshl_b64 s[0:1], s[0:1], 4
	s_add_u32 s2, s18, s0
	s_addc_u32 s3, s19, s1
	v_mul_lo_u32 v4, v7, s20
	v_mul_lo_u32 v5, v6, s21
	v_mad_u64_u32 v[2:3], s[0:1], v6, s20, 0
	v_add3_u32 v3, v3, v5, v4
	v_lshlrev_b64 v[2:3], 4, v[2:3]
	v_mov_b32_e32 v4, s3
	v_add_co_u32_e32 v2, vcc, s2, v2
	v_addc_co_u32_e32 v3, vcc, v4, v3, vcc
	v_lshlrev_b64 v[4:5], 4, v[0:1]
	v_add_co_u32_e32 v24, vcc, v2, v4
	v_addc_co_u32_e32 v25, vcc, v3, v5, vcc
	global_load_dwordx4 v[0:3], v[24:25], off
	v_mul_lo_u32 v78, v7, s26
	v_mul_lo_u32 v79, v6, s27
	v_mad_u64_u32 v[6:7], s[0:1], v6, s26, 0
	v_add3_u32 v7, v7, v79, v78
	v_lshlrev_b64 v[6:7], 4, v[6:7]
	v_mov_b32_e32 v80, s5
	v_add_co_u32_e32 v6, vcc, s4, v6
	v_addc_co_u32_e32 v7, vcc, v80, v7, vcc
	v_add_co_u32_e32 v4, vcc, v6, v4
	v_mul_f64 v[26:27], s[40:41], v[64:65]
	v_mul_f64 v[28:29], s[38:39], v[64:65]
	v_addc_co_u32_e32 v5, vcc, v7, v5, vcc
	v_fma_f64 v[26:27], s[38:39], v[60:61], -v[26:27]
	v_fmac_f64_e32 v[28:29], s[40:41], v[60:61]
	s_lshl_b64 s[0:1], s[20:21], 8
	s_lshl_b64 s[2:3], s[26:27], 8
	s_waitcnt vmcnt(0)
	v_mul_f64 v[6:7], s[16:17], v[2:3]
	v_mul_f64 v[2:3], s[14:15], v[2:3]
	v_fma_f64 v[6:7], s[14:15], v[0:1], -v[6:7]
	v_fmac_f64_e32 v[2:3], s[16:17], v[0:1]
	v_add_f64 v[0:1], v[26:27], v[6:7]
	v_add_f64 v[2:3], v[28:29], v[2:3]
	global_store_dwordx4 v[4:5], v[0:3], off
	global_load_dwordx4 v[0:3], v[24:25], off offset:256
	v_mul_f64 v[6:7], s[40:41], v[40:41]
	v_mul_f64 v[26:27], s[38:39], v[40:41]
	v_fma_f64 v[6:7], s[38:39], v[38:39], -v[6:7]
	v_fmac_f64_e32 v[26:27], s[40:41], v[38:39]
	s_waitcnt vmcnt(0)
	v_mul_f64 v[28:29], s[16:17], v[2:3]
	v_mul_f64 v[2:3], s[14:15], v[2:3]
	v_fma_f64 v[28:29], s[14:15], v[0:1], -v[28:29]
	v_fmac_f64_e32 v[2:3], s[16:17], v[0:1]
	v_add_f64 v[0:1], v[6:7], v[28:29]
	v_add_f64 v[2:3], v[26:27], v[2:3]
	global_store_dwordx4 v[4:5], v[0:3], off offset:256
	global_load_dwordx4 v[0:3], v[24:25], off offset:512
	v_mul_f64 v[6:7], s[40:41], v[32:33]
	v_mul_f64 v[26:27], s[38:39], v[32:33]
	v_fma_f64 v[6:7], s[38:39], v[30:31], -v[6:7]
	v_fmac_f64_e32 v[26:27], s[40:41], v[30:31]
	s_waitcnt vmcnt(0)
	v_mul_f64 v[28:29], s[16:17], v[2:3]
	v_mul_f64 v[2:3], s[14:15], v[2:3]
	v_fma_f64 v[28:29], s[14:15], v[0:1], -v[28:29]
	v_fmac_f64_e32 v[2:3], s[16:17], v[0:1]
	v_add_f64 v[0:1], v[6:7], v[28:29]
	v_add_f64 v[2:3], v[26:27], v[2:3]
	global_store_dwordx4 v[4:5], v[0:3], off offset:512
	global_load_dwordx4 v[0:3], v[24:25], off offset:768
	v_mul_f64 v[6:7], s[40:41], v[22:23]
	v_mul_f64 v[22:23], s[38:39], v[22:23]
	v_fma_f64 v[6:7], s[38:39], v[20:21], -v[6:7]
	v_fmac_f64_e32 v[22:23], s[40:41], v[20:21]
	v_mov_b32_e32 v26, s1
	v_add_co_u32_e32 v20, vcc, s0, v24
	v_addc_co_u32_e32 v21, vcc, v25, v26, vcc
	v_mov_b32_e32 v27, s3
	s_waitcnt vmcnt(0)
	v_mul_f64 v[24:25], s[16:17], v[2:3]
	v_mul_f64 v[2:3], s[14:15], v[2:3]
	v_fma_f64 v[24:25], s[14:15], v[0:1], -v[24:25]
	v_fmac_f64_e32 v[2:3], s[16:17], v[0:1]
	v_add_f64 v[0:1], v[6:7], v[24:25]
	v_add_f64 v[2:3], v[22:23], v[2:3]
	global_store_dwordx4 v[4:5], v[0:3], off offset:768
	global_load_dwordx4 v[0:3], v[20:21], off
	v_mul_f64 v[6:7], s[40:41], v[72:73]
	v_mul_f64 v[22:23], s[38:39], v[72:73]
	v_fma_f64 v[6:7], s[38:39], v[70:71], -v[6:7]
	v_fmac_f64_e32 v[22:23], s[40:41], v[70:71]
	v_add_co_u32_e32 v4, vcc, s2, v4
	v_addc_co_u32_e32 v5, vcc, v5, v27, vcc
	s_waitcnt vmcnt(0)
	v_mul_f64 v[24:25], s[16:17], v[2:3]
	v_mul_f64 v[2:3], s[14:15], v[2:3]
	v_fma_f64 v[24:25], s[14:15], v[0:1], -v[24:25]
	v_fmac_f64_e32 v[2:3], s[16:17], v[0:1]
	v_add_f64 v[0:1], v[6:7], v[24:25]
	v_add_f64 v[2:3], v[22:23], v[2:3]
	global_store_dwordx4 v[4:5], v[0:3], off
	global_load_dwordx4 v[0:3], v[20:21], off offset:256
	v_mul_f64 v[6:7], s[40:41], v[68:69]
	v_mul_f64 v[22:23], s[38:39], v[68:69]
	v_fma_f64 v[6:7], s[38:39], v[66:67], -v[6:7]
	v_fmac_f64_e32 v[22:23], s[40:41], v[66:67]
	s_waitcnt vmcnt(0)
	v_mul_f64 v[24:25], s[16:17], v[2:3]
	v_mul_f64 v[2:3], s[14:15], v[2:3]
	v_fma_f64 v[24:25], s[14:15], v[0:1], -v[24:25]
	v_fmac_f64_e32 v[2:3], s[16:17], v[0:1]
	v_add_f64 v[0:1], v[6:7], v[24:25]
	v_add_f64 v[2:3], v[22:23], v[2:3]
	global_store_dwordx4 v[4:5], v[0:3], off offset:256
	global_load_dwordx4 v[0:3], v[20:21], off offset:512
	v_mul_f64 v[6:7], s[40:41], v[56:57]
	v_mul_f64 v[22:23], s[38:39], v[56:57]
	v_fma_f64 v[6:7], s[38:39], v[54:55], -v[6:7]
	v_fmac_f64_e32 v[22:23], s[40:41], v[54:55]
	s_waitcnt vmcnt(0)
	v_mul_f64 v[24:25], s[16:17], v[2:3]
	v_mul_f64 v[2:3], s[14:15], v[2:3]
	v_fma_f64 v[24:25], s[14:15], v[0:1], -v[24:25]
	v_fmac_f64_e32 v[2:3], s[16:17], v[0:1]
	v_add_f64 v[0:1], v[6:7], v[24:25]
	v_add_f64 v[2:3], v[22:23], v[2:3]
	global_store_dwordx4 v[4:5], v[0:3], off offset:512
	global_load_dwordx4 v[0:3], v[20:21], off offset:768
	v_mul_f64 v[6:7], s[40:41], v[48:49]
	v_mul_f64 v[22:23], s[38:39], v[48:49]
	v_fma_f64 v[6:7], s[38:39], v[46:47], -v[6:7]
	v_fmac_f64_e32 v[22:23], s[40:41], v[46:47]
	v_add_co_u32_e32 v20, vcc, s0, v20
	v_addc_co_u32_e32 v21, vcc, v21, v26, vcc
	s_waitcnt vmcnt(0)
	v_mul_f64 v[24:25], s[16:17], v[2:3]
	v_mul_f64 v[2:3], s[14:15], v[2:3]
	v_fma_f64 v[24:25], s[14:15], v[0:1], -v[24:25]
	v_fmac_f64_e32 v[2:3], s[16:17], v[0:1]
	v_add_f64 v[0:1], v[6:7], v[24:25]
	v_add_f64 v[2:3], v[22:23], v[2:3]
	global_store_dwordx4 v[4:5], v[0:3], off offset:768
	global_load_dwordx4 v[0:3], v[20:21], off
	v_mul_f64 v[6:7], s[40:41], v[62:63]
	v_mul_f64 v[22:23], s[38:39], v[62:63]
	v_fma_f64 v[6:7], s[38:39], v[58:59], -v[6:7]
	v_fmac_f64_e32 v[22:23], s[40:41], v[58:59]
	v_add_co_u32_e32 v4, vcc, s2, v4
	v_addc_co_u32_e32 v5, vcc, v5, v27, vcc
	s_waitcnt vmcnt(0)
	v_mul_f64 v[24:25], s[16:17], v[2:3]
	v_mul_f64 v[2:3], s[14:15], v[2:3]
	v_fma_f64 v[24:25], s[14:15], v[0:1], -v[24:25]
	v_fmac_f64_e32 v[2:3], s[16:17], v[0:1]
	v_add_f64 v[0:1], v[6:7], v[24:25]
	v_add_f64 v[2:3], v[22:23], v[2:3]
	global_store_dwordx4 v[4:5], v[0:3], off
	global_load_dwordx4 v[0:3], v[20:21], off offset:256
	v_mul_f64 v[6:7], s[40:41], v[52:53]
	v_mul_f64 v[22:23], s[38:39], v[52:53]
	v_fma_f64 v[6:7], s[38:39], v[50:51], -v[6:7]
	v_fmac_f64_e32 v[22:23], s[40:41], v[50:51]
	s_waitcnt vmcnt(0)
	v_mul_f64 v[24:25], s[16:17], v[2:3]
	v_mul_f64 v[2:3], s[14:15], v[2:3]
	v_fma_f64 v[24:25], s[14:15], v[0:1], -v[24:25]
	v_fmac_f64_e32 v[2:3], s[16:17], v[0:1]
	v_add_f64 v[0:1], v[6:7], v[24:25]
	v_add_f64 v[2:3], v[22:23], v[2:3]
	global_store_dwordx4 v[4:5], v[0:3], off offset:256
	global_load_dwordx4 v[0:3], v[20:21], off offset:512
	v_mul_f64 v[6:7], s[40:41], v[44:45]
	v_mul_f64 v[22:23], s[38:39], v[44:45]
	v_fma_f64 v[6:7], s[38:39], v[42:43], -v[6:7]
	v_fmac_f64_e32 v[22:23], s[40:41], v[42:43]
	s_waitcnt vmcnt(0)
	v_mul_f64 v[24:25], s[16:17], v[2:3]
	v_mul_f64 v[2:3], s[14:15], v[2:3]
	v_fma_f64 v[24:25], s[14:15], v[0:1], -v[24:25]
	v_fmac_f64_e32 v[2:3], s[16:17], v[0:1]
	v_add_f64 v[0:1], v[6:7], v[24:25]
	v_add_f64 v[2:3], v[22:23], v[2:3]
	global_store_dwordx4 v[4:5], v[0:3], off offset:512
	global_load_dwordx4 v[0:3], v[20:21], off offset:768
	v_mul_f64 v[6:7], s[40:41], v[36:37]
	v_mul_f64 v[22:23], s[38:39], v[36:37]
	v_fma_f64 v[6:7], s[38:39], v[34:35], -v[6:7]
	v_fmac_f64_e32 v[22:23], s[40:41], v[34:35]
	v_add_co_u32_e32 v20, vcc, s0, v20
	v_addc_co_u32_e32 v21, vcc, v21, v26, vcc
	s_waitcnt vmcnt(0)
	v_mul_f64 v[24:25], s[16:17], v[2:3]
	v_mul_f64 v[2:3], s[14:15], v[2:3]
	v_fma_f64 v[24:25], s[14:15], v[0:1], -v[24:25]
	v_fmac_f64_e32 v[2:3], s[16:17], v[0:1]
	v_add_f64 v[0:1], v[6:7], v[24:25]
	v_add_f64 v[2:3], v[22:23], v[2:3]
	global_store_dwordx4 v[4:5], v[0:3], off offset:768
	global_load_dwordx4 v[0:3], v[20:21], off
	v_add_co_u32_e32 v24, vcc, s2, v4
	v_mul_f64 v[6:7], s[40:41], v[76:77]
	v_mul_f64 v[22:23], s[38:39], v[76:77]
	v_addc_co_u32_e32 v25, vcc, v5, v27, vcc
	v_fma_f64 v[6:7], s[38:39], v[74:75], -v[6:7]
	v_fmac_f64_e32 v[22:23], s[40:41], v[74:75]
	s_waitcnt vmcnt(0)
	v_mul_f64 v[4:5], s[16:17], v[2:3]
	v_mul_f64 v[2:3], s[14:15], v[2:3]
	v_fma_f64 v[4:5], s[14:15], v[0:1], -v[4:5]
	v_fmac_f64_e32 v[2:3], s[16:17], v[0:1]
	v_add_f64 v[0:1], v[6:7], v[4:5]
	v_add_f64 v[2:3], v[22:23], v[2:3]
	global_store_dwordx4 v[24:25], v[0:3], off
	global_load_dwordx4 v[0:3], v[20:21], off offset:256
	v_mul_f64 v[4:5], s[40:41], v[18:19]
	v_mul_f64 v[6:7], s[38:39], v[18:19]
	v_fma_f64 v[4:5], s[38:39], v[16:17], -v[4:5]
	v_fmac_f64_e32 v[6:7], s[40:41], v[16:17]
	s_waitcnt vmcnt(0)
	v_mul_f64 v[16:17], s[16:17], v[2:3]
	v_mul_f64 v[2:3], s[14:15], v[2:3]
	v_fma_f64 v[16:17], s[14:15], v[0:1], -v[16:17]
	v_fmac_f64_e32 v[2:3], s[16:17], v[0:1]
	v_add_f64 v[0:1], v[4:5], v[16:17]
	v_add_f64 v[2:3], v[6:7], v[2:3]
	global_store_dwordx4 v[24:25], v[0:3], off offset:256
	global_load_dwordx4 v[0:3], v[20:21], off offset:512
	v_mul_f64 v[4:5], s[40:41], v[14:15]
	v_mul_f64 v[6:7], s[38:39], v[14:15]
	v_fma_f64 v[4:5], s[38:39], v[12:13], -v[4:5]
	v_fmac_f64_e32 v[6:7], s[40:41], v[12:13]
	s_waitcnt vmcnt(0)
	v_mul_f64 v[12:13], s[16:17], v[2:3]
	v_mul_f64 v[2:3], s[14:15], v[2:3]
	v_fma_f64 v[12:13], s[14:15], v[0:1], -v[12:13]
	v_fmac_f64_e32 v[2:3], s[16:17], v[0:1]
	v_add_f64 v[0:1], v[4:5], v[12:13]
	v_add_f64 v[2:3], v[6:7], v[2:3]
	global_store_dwordx4 v[24:25], v[0:3], off offset:512
	global_load_dwordx4 v[4:7], v[20:21], off offset:768
	v_mul_f64 v[0:1], s[40:41], v[8:9]
	v_mul_f64 v[8:9], s[38:39], v[8:9]
	v_fma_f64 v[0:1], s[38:39], v[10:11], -v[0:1]
	v_fmac_f64_e32 v[8:9], s[40:41], v[10:11]
	v_add_co_u32_e32 v2, vcc, 0x300, v24
	v_addc_co_u32_e32 v3, vcc, 0, v25, vcc
	s_waitcnt vmcnt(0)
	v_mul_f64 v[10:11], s[16:17], v[6:7]
	v_mul_f64 v[6:7], s[14:15], v[6:7]
	v_fma_f64 v[10:11], s[14:15], v[4:5], -v[10:11]
	v_fmac_f64_e32 v[6:7], s[16:17], v[4:5]
	v_add_f64 v[0:1], v[0:1], v[10:11]
	v_add_f64 v[4:5], v[8:9], v[6:7]
	global_store_dwordx2 v[24:25], v[0:1], off offset:768
.LBB119_8:
	global_store_dwordx2 v[2:3], v[4:5], off offset:8
	s_endpgm
	.section	.rodata,"a",@progbits
	.p2align	6, 0x0
	.amdhsa_kernel _ZN12_GLOBAL__N_127rocblas_gemm_batched_kernelI19rocblas_complex_numIdELi16ELi16ELi64ELi64ELi4ELi64ELi4ELi4ELi64ELc84ELc78EKS2_S3_S2_EEvlllT_PT11_llS6_llS4_PT12_llPT13_lli
		.amdhsa_group_segment_fixed_size 8192
		.amdhsa_private_segment_fixed_size 0
		.amdhsa_kernarg_size 156
		.amdhsa_user_sgpr_count 6
		.amdhsa_user_sgpr_private_segment_buffer 1
		.amdhsa_user_sgpr_dispatch_ptr 0
		.amdhsa_user_sgpr_queue_ptr 0
		.amdhsa_user_sgpr_kernarg_segment_ptr 1
		.amdhsa_user_sgpr_dispatch_id 0
		.amdhsa_user_sgpr_flat_scratch_init 0
		.amdhsa_user_sgpr_kernarg_preload_length 0
		.amdhsa_user_sgpr_kernarg_preload_offset 0
		.amdhsa_user_sgpr_private_segment_size 0
		.amdhsa_uses_dynamic_stack 0
		.amdhsa_system_sgpr_private_segment_wavefront_offset 0
		.amdhsa_system_sgpr_workgroup_id_x 1
		.amdhsa_system_sgpr_workgroup_id_y 1
		.amdhsa_system_sgpr_workgroup_id_z 1
		.amdhsa_system_sgpr_workgroup_info 0
		.amdhsa_system_vgpr_workitem_id 1
		.amdhsa_next_free_vgpr 134
		.amdhsa_next_free_sgpr 52
		.amdhsa_accum_offset 136
		.amdhsa_reserve_vcc 1
		.amdhsa_reserve_flat_scratch 0
		.amdhsa_float_round_mode_32 0
		.amdhsa_float_round_mode_16_64 0
		.amdhsa_float_denorm_mode_32 3
		.amdhsa_float_denorm_mode_16_64 3
		.amdhsa_dx10_clamp 1
		.amdhsa_ieee_mode 1
		.amdhsa_fp16_overflow 0
		.amdhsa_tg_split 0
		.amdhsa_exception_fp_ieee_invalid_op 0
		.amdhsa_exception_fp_denorm_src 0
		.amdhsa_exception_fp_ieee_div_zero 0
		.amdhsa_exception_fp_ieee_overflow 0
		.amdhsa_exception_fp_ieee_underflow 0
		.amdhsa_exception_fp_ieee_inexact 0
		.amdhsa_exception_int_div_zero 0
	.end_amdhsa_kernel
	.section	.text._ZN12_GLOBAL__N_127rocblas_gemm_batched_kernelI19rocblas_complex_numIdELi16ELi16ELi64ELi64ELi4ELi64ELi4ELi4ELi64ELc84ELc78EKS2_S3_S2_EEvlllT_PT11_llS6_llS4_PT12_llPT13_lli,"axG",@progbits,_ZN12_GLOBAL__N_127rocblas_gemm_batched_kernelI19rocblas_complex_numIdELi16ELi16ELi64ELi64ELi4ELi64ELi4ELi4ELi64ELc84ELc78EKS2_S3_S2_EEvlllT_PT11_llS6_llS4_PT12_llPT13_lli,comdat
.Lfunc_end119:
	.size	_ZN12_GLOBAL__N_127rocblas_gemm_batched_kernelI19rocblas_complex_numIdELi16ELi16ELi64ELi64ELi4ELi64ELi4ELi4ELi64ELc84ELc78EKS2_S3_S2_EEvlllT_PT11_llS6_llS4_PT12_llPT13_lli, .Lfunc_end119-_ZN12_GLOBAL__N_127rocblas_gemm_batched_kernelI19rocblas_complex_numIdELi16ELi16ELi64ELi64ELi4ELi64ELi4ELi4ELi64ELc84ELc78EKS2_S3_S2_EEvlllT_PT11_llS6_llS4_PT12_llPT13_lli
                                        ; -- End function
	.section	.AMDGPU.csdata,"",@progbits
; Kernel info:
; codeLenInByte = 6712
; NumSgprs: 56
; NumVgprs: 134
; NumAgprs: 0
; TotalNumVgprs: 134
; ScratchSize: 0
; MemoryBound: 0
; FloatMode: 240
; IeeeMode: 1
; LDSByteSize: 8192 bytes/workgroup (compile time only)
; SGPRBlocks: 6
; VGPRBlocks: 16
; NumSGPRsForWavesPerEU: 56
; NumVGPRsForWavesPerEU: 134
; AccumOffset: 136
; Occupancy: 3
; WaveLimiterHint : 1
; COMPUTE_PGM_RSRC2:SCRATCH_EN: 0
; COMPUTE_PGM_RSRC2:USER_SGPR: 6
; COMPUTE_PGM_RSRC2:TRAP_HANDLER: 0
; COMPUTE_PGM_RSRC2:TGID_X_EN: 1
; COMPUTE_PGM_RSRC2:TGID_Y_EN: 1
; COMPUTE_PGM_RSRC2:TGID_Z_EN: 1
; COMPUTE_PGM_RSRC2:TIDIG_COMP_CNT: 1
; COMPUTE_PGM_RSRC3_GFX90A:ACCUM_OFFSET: 33
; COMPUTE_PGM_RSRC3_GFX90A:TG_SPLIT: 0
	.section	.text._ZN12_GLOBAL__N_127rocblas_gemm_batched_kernelI19rocblas_complex_numIdELi16ELi16ELi64ELi64ELi4ELi64ELi4ELi4ELi64ELc78ELc84EKS2_S3_S2_EEvlllT_PT11_llS6_llS4_PT12_llPT13_lli,"axG",@progbits,_ZN12_GLOBAL__N_127rocblas_gemm_batched_kernelI19rocblas_complex_numIdELi16ELi16ELi64ELi64ELi4ELi64ELi4ELi4ELi64ELc78ELc84EKS2_S3_S2_EEvlllT_PT11_llS6_llS4_PT12_llPT13_lli,comdat
	.globl	_ZN12_GLOBAL__N_127rocblas_gemm_batched_kernelI19rocblas_complex_numIdELi16ELi16ELi64ELi64ELi4ELi64ELi4ELi4ELi64ELc78ELc84EKS2_S3_S2_EEvlllT_PT11_llS6_llS4_PT12_llPT13_lli ; -- Begin function _ZN12_GLOBAL__N_127rocblas_gemm_batched_kernelI19rocblas_complex_numIdELi16ELi16ELi64ELi64ELi4ELi64ELi4ELi4ELi64ELc78ELc84EKS2_S3_S2_EEvlllT_PT11_llS6_llS4_PT12_llPT13_lli
	.p2align	8
	.type	_ZN12_GLOBAL__N_127rocblas_gemm_batched_kernelI19rocblas_complex_numIdELi16ELi16ELi64ELi64ELi4ELi64ELi4ELi4ELi64ELc78ELc84EKS2_S3_S2_EEvlllT_PT11_llS6_llS4_PT12_llPT13_lli,@function
_ZN12_GLOBAL__N_127rocblas_gemm_batched_kernelI19rocblas_complex_numIdELi16ELi16ELi64ELi64ELi4ELi64ELi4ELi4ELi64ELc78ELc84EKS2_S3_S2_EEvlllT_PT11_llS6_llS4_PT12_llPT13_lli: ; @_ZN12_GLOBAL__N_127rocblas_gemm_batched_kernelI19rocblas_complex_numIdELi16ELi16ELi64ELi64ELi4ELi64ELi4ELi4ELi64ELc78ELc84EKS2_S3_S2_EEvlllT_PT11_llS6_llS4_PT12_llPT13_lli
; %bb.0:
	s_load_dwordx16 s[36:51], s[4:5], 0x10
	s_load_dwordx16 s[12:27], s[4:5], 0x50
	s_mov_b32 s2, s7
	s_ashr_i32 s7, s6, 31
	s_ashr_i32 s3, s2, 31
	s_waitcnt lgkmcnt(0)
	v_cmp_lt_i64_e64 s[10:11], s[36:37], 1
	v_bfe_u32 v101, v0, 10, 10
	v_and_b32_e32 v100, 0x3ff, v0
	s_lshl_b64 s[0:1], s[6:7], 6
	s_lshl_b64 s[2:3], s[2:3], 6
	s_mov_b64 s[6:7], 0
	s_and_b64 vcc, exec, s[10:11]
	s_cbranch_vccnz .LBB120_3
; %bb.1:
	v_lshl_add_u32 v4, v101, 4, v100
	v_lshrrev_b32_e32 v5, 2, v4
	v_mov_b32_e32 v1, s3
	v_add_co_u32_e32 v0, vcc, s2, v5
	v_addc_co_u32_e32 v1, vcc, 0, v1, vcc
	v_and_b32_e32 v6, 3, v100
	v_mad_u64_u32 v[0:1], s[10:11], v6, s50, v[0:1]
	v_mov_b32_e32 v2, v1
	v_mad_u64_u32 v[2:3], s[10:11], v6, s51, v[2:3]
	v_and_b32_e32 v7, 63, v4
	v_mov_b32_e32 v1, v2
	v_lshrrev_b32_e32 v8, 6, v4
	v_lshlrev_b32_e32 v2, 4, v7
	v_lshl_or_b32 v102, v8, 10, v2
	v_lshlrev_b32_e32 v2, 4, v6
	v_lshl_or_b32 v2, v5, 6, v2
	v_add_u32_e32 v103, 0x1000, v2
	v_mov_b32_e32 v2, 0x1000
	v_lshl_add_u32 v105, v101, 6, v2
	v_pk_mov_b32 v[2:3], s[0:1], s[0:1] op_sel:[0,1]
	v_mad_u64_u32 v[2:3], s[28:29], v8, s44, v[2:3]
	v_mov_b32_e32 v4, v3
	s_mul_i32 s9, s47, s8
	s_mul_hi_u32 s10, s46, s8
	v_mad_u64_u32 v[4:5], s[28:29], v8, s45, v[4:5]
	s_add_i32 s11, s10, s9
	s_mul_i32 s10, s46, s8
	v_mov_b32_e32 v3, v4
	v_add_co_u32_e32 v2, vcc, v2, v7
	s_lshl_b64 s[10:11], s[10:11], 4
	v_addc_co_u32_e32 v3, vcc, 0, v3, vcc
	v_lshlrev_b64 v[2:3], 4, v[2:3]
	s_add_u32 s9, s42, s10
	v_add_co_u32_e32 v24, vcc, s9, v2
	s_mul_i32 s9, s13, s8
	s_mul_hi_u32 s13, s12, s8
	s_addc_u32 s10, s43, s11
	s_add_i32 s13, s13, s9
	s_mul_i32 s12, s12, s8
	v_mov_b32_e32 v4, s10
	s_lshl_b64 s[10:11], s[44:45], 6
	s_lshl_b64 s[12:13], s[12:13], 4
	s_add_u32 s9, s48, s12
	v_addc_co_u32_e32 v25, vcc, v4, v3, vcc
	v_lshlrev_b64 v[0:1], 4, v[0:1]
	s_addc_u32 s12, s49, s13
	v_mov_b32_e32 v2, s12
	v_add_co_u32_e32 v26, vcc, s9, v0
	s_lshl_b64 s[12:13], s[50:51], 6
	v_lshlrev_b32_e32 v104, 4, v100
	v_addc_co_u32_e32 v27, vcc, v2, v1, vcc
	v_pk_mov_b32 v[8:9], 0, 0
	v_mov_b32_e32 v106, s11
	v_mov_b32_e32 v107, s13
	v_pk_mov_b32 v[28:29], s[36:37], s[36:37] op_sel:[0,1]
	v_pk_mov_b32 v[10:11], 0, 0
	v_pk_mov_b32 v[14:15], 0, 0
	;; [unrolled: 1-line block ×31, first 2 shown]
.LBB120_2:                              ; =>This Inner Loop Header: Depth=1
	global_load_dwordx4 v[0:3], v[24:25], off
	v_add_co_u32_e32 v24, vcc, s10, v24
	v_addc_co_u32_e32 v25, vcc, v25, v106, vcc
	s_add_u32 s6, s6, 4
	s_addc_u32 s7, s7, 0
	s_waitcnt vmcnt(0)
	ds_write2_b64 v102, v[0:1], v[2:3] offset1:1
	global_load_dwordx4 v[0:3], v[26:27], off
	v_add_co_u32_e32 v26, vcc, s12, v26
	v_addc_co_u32_e32 v27, vcc, v27, v107, vcc
	v_cmp_lt_i64_e32 vcc, s[6:7], v[28:29]
	s_and_b64 vcc, exec, vcc
	s_waitcnt vmcnt(0)
	ds_write2_b64 v103, v[0:1], v[2:3] offset1:1
	s_waitcnt lgkmcnt(0)
	s_barrier
	ds_read_b128 v[78:81], v105
	ds_read_b128 v[108:111], v105 offset:16
	ds_read_b128 v[4:7], v105 offset:32
	;; [unrolled: 1-line block ×3, first 2 shown]
	ds_read_b128 v[112:115], v104
	ds_read_b128 v[116:119], v104 offset:256
	s_waitcnt lgkmcnt(1)
	v_mul_f64 v[82:83], v[80:81], v[114:115]
	v_mul_f64 v[84:85], v[78:79], v[114:115]
	v_fma_f64 v[82:83], v[78:79], v[112:113], -v[82:83]
	v_fmac_f64_e32 v[84:85], v[80:81], v[112:113]
	v_add_f64 v[120:121], v[60:61], v[82:83]
	v_add_f64 v[122:123], v[64:65], v[84:85]
	s_waitcnt lgkmcnt(0)
	v_mul_f64 v[60:61], v[80:81], v[118:119]
	v_mul_f64 v[64:65], v[78:79], v[118:119]
	v_fma_f64 v[60:61], v[78:79], v[116:117], -v[60:61]
	v_fmac_f64_e32 v[64:65], v[80:81], v[116:117]
	v_add_f64 v[124:125], v[38:39], v[60:61]
	v_add_f64 v[126:127], v[40:41], v[64:65]
	ds_read_b128 v[38:41], v104 offset:512
	s_waitcnt lgkmcnt(0)
	v_mul_f64 v[60:61], v[80:81], v[40:41]
	v_mul_f64 v[64:65], v[78:79], v[40:41]
	v_fma_f64 v[60:61], v[78:79], v[38:39], -v[60:61]
	v_fmac_f64_e32 v[64:65], v[80:81], v[38:39]
	v_add_f64 v[128:129], v[30:31], v[60:61]
	v_add_f64 v[130:131], v[32:33], v[64:65]
	ds_read_b128 v[30:33], v104 offset:768
	;; [unrolled: 8-line block ×3, first 2 shown]
	s_waitcnt lgkmcnt(0)
	v_mul_f64 v[60:61], v[22:23], v[114:115]
	v_fma_f64 v[60:61], v[20:21], v[112:113], -v[60:61]
	v_mul_f64 v[78:79], v[20:21], v[114:115]
	v_add_f64 v[64:65], v[70:71], v[60:61]
	v_mul_f64 v[60:61], v[22:23], v[118:119]
	v_fmac_f64_e32 v[78:79], v[22:23], v[112:113]
	v_fma_f64 v[60:61], v[20:21], v[116:117], -v[60:61]
	v_add_f64 v[70:71], v[72:73], v[78:79]
	v_mul_f64 v[72:73], v[20:21], v[118:119]
	v_add_f64 v[66:67], v[66:67], v[60:61]
	v_mul_f64 v[60:61], v[22:23], v[40:41]
	v_fmac_f64_e32 v[72:73], v[22:23], v[116:117]
	v_fma_f64 v[60:61], v[20:21], v[38:39], -v[60:61]
	v_add_f64 v[68:69], v[68:69], v[72:73]
	v_add_f64 v[72:73], v[54:55], v[60:61]
	v_mul_f64 v[54:55], v[22:23], v[32:33]
	v_mul_f64 v[78:79], v[20:21], v[40:41]
	v_fma_f64 v[54:55], v[20:21], v[30:31], -v[54:55]
	v_mul_f64 v[20:21], v[20:21], v[32:33]
	v_fmac_f64_e32 v[20:21], v[22:23], v[30:31]
	v_fmac_f64_e32 v[78:79], v[22:23], v[38:39]
	v_add_f64 v[98:99], v[48:49], v[20:21]
	ds_read_b128 v[20:23], v105 offset:2048
	v_add_f64 v[96:97], v[46:47], v[54:55]
	v_add_f64 v[94:95], v[56:57], v[78:79]
	s_waitcnt lgkmcnt(0)
	v_mul_f64 v[46:47], v[22:23], v[114:115]
	v_fma_f64 v[46:47], v[20:21], v[112:113], -v[46:47]
	v_add_f64 v[78:79], v[58:59], v[46:47]
	v_mul_f64 v[46:47], v[22:23], v[118:119]
	v_mul_f64 v[48:49], v[20:21], v[114:115]
	v_fma_f64 v[46:47], v[20:21], v[116:117], -v[46:47]
	v_fmac_f64_e32 v[48:49], v[22:23], v[112:113]
	v_add_f64 v[82:83], v[50:51], v[46:47]
	v_mul_f64 v[46:47], v[22:23], v[40:41]
	v_add_f64 v[80:81], v[62:63], v[48:49]
	v_mul_f64 v[48:49], v[20:21], v[118:119]
	v_fma_f64 v[46:47], v[20:21], v[38:39], -v[46:47]
	v_fmac_f64_e32 v[48:49], v[22:23], v[116:117]
	v_add_f64 v[86:87], v[42:43], v[46:47]
	v_mul_f64 v[42:43], v[22:23], v[32:33]
	v_add_f64 v[84:85], v[52:53], v[48:49]
	v_mul_f64 v[48:49], v[20:21], v[40:41]
	v_fma_f64 v[42:43], v[20:21], v[30:31], -v[42:43]
	v_mul_f64 v[20:21], v[20:21], v[32:33]
	v_fmac_f64_e32 v[20:21], v[22:23], v[30:31]
	v_fmac_f64_e32 v[48:49], v[22:23], v[38:39]
	v_add_f64 v[92:93], v[36:37], v[20:21]
	ds_read_b128 v[20:23], v105 offset:3072
	v_add_f64 v[90:91], v[34:35], v[42:43]
	v_add_f64 v[88:89], v[44:45], v[48:49]
	s_waitcnt lgkmcnt(0)
	v_mul_f64 v[34:35], v[22:23], v[114:115]
	v_mul_f64 v[36:37], v[20:21], v[114:115]
	v_fma_f64 v[34:35], v[20:21], v[112:113], -v[34:35]
	v_fmac_f64_e32 v[36:37], v[22:23], v[112:113]
	v_add_f64 v[58:59], v[74:75], v[34:35]
	v_add_f64 v[60:61], v[76:77], v[36:37]
	v_mul_f64 v[34:35], v[22:23], v[118:119]
	v_mul_f64 v[36:37], v[20:21], v[118:119]
	v_fma_f64 v[34:35], v[20:21], v[116:117], -v[34:35]
	v_fmac_f64_e32 v[36:37], v[22:23], v[116:117]
	v_add_f64 v[54:55], v[16:17], v[34:35]
	v_add_f64 v[56:57], v[18:19], v[36:37]
	;; [unrolled: 6-line block ×3, first 2 shown]
	v_mul_f64 v[12:13], v[22:23], v[32:33]
	v_mul_f64 v[14:15], v[20:21], v[32:33]
	v_fma_f64 v[12:13], v[20:21], v[30:31], -v[12:13]
	v_fmac_f64_e32 v[14:15], v[22:23], v[30:31]
	ds_read_b128 v[20:23], v104 offset:1024
	ds_read_b128 v[16:19], v104 offset:1280
	v_add_f64 v[46:47], v[10:11], v[12:13]
	v_add_f64 v[48:49], v[8:9], v[14:15]
	ds_read_b128 v[12:15], v104 offset:1536
	ds_read_b128 v[74:77], v105 offset:1040
	s_waitcnt lgkmcnt(3)
	v_mul_f64 v[8:9], v[110:111], v[22:23]
	v_mul_f64 v[10:11], v[108:109], v[22:23]
	v_fma_f64 v[8:9], v[108:109], v[20:21], -v[8:9]
	v_fmac_f64_e32 v[10:11], v[110:111], v[20:21]
	v_add_f64 v[42:43], v[120:121], v[8:9]
	v_add_f64 v[44:45], v[122:123], v[10:11]
	s_waitcnt lgkmcnt(2)
	v_mul_f64 v[8:9], v[110:111], v[18:19]
	v_mul_f64 v[10:11], v[108:109], v[18:19]
	v_fma_f64 v[8:9], v[108:109], v[16:17], -v[8:9]
	v_fmac_f64_e32 v[10:11], v[110:111], v[16:17]
	v_add_f64 v[38:39], v[124:125], v[8:9]
	v_add_f64 v[40:41], v[126:127], v[10:11]
	;; [unrolled: 7-line block ×3, first 2 shown]
	ds_read_b128 v[8:11], v104 offset:1792
	s_waitcnt lgkmcnt(1)
	v_mul_f64 v[62:63], v[76:77], v[22:23]
	v_fma_f64 v[62:63], v[74:75], v[20:21], -v[62:63]
	v_add_f64 v[62:63], v[64:65], v[62:63]
	s_waitcnt lgkmcnt(0)
	v_mul_f64 v[30:31], v[110:111], v[10:11]
	v_fma_f64 v[30:31], v[108:109], v[8:9], -v[30:31]
	v_mul_f64 v[32:33], v[108:109], v[10:11]
	v_mul_f64 v[108:109], v[74:75], v[22:23]
	v_fmac_f64_e32 v[108:109], v[76:77], v[20:21]
	v_add_f64 v[64:65], v[70:71], v[108:109]
	v_mul_f64 v[70:71], v[76:77], v[18:19]
	v_mul_f64 v[108:109], v[74:75], v[18:19]
	v_fma_f64 v[70:71], v[74:75], v[16:17], -v[70:71]
	v_fmac_f64_e32 v[108:109], v[76:77], v[16:17]
	v_add_f64 v[66:67], v[66:67], v[70:71]
	v_add_f64 v[68:69], v[68:69], v[108:109]
	v_mul_f64 v[70:71], v[76:77], v[14:15]
	v_mul_f64 v[108:109], v[74:75], v[14:15]
	v_fma_f64 v[70:71], v[74:75], v[12:13], -v[70:71]
	v_fmac_f64_e32 v[108:109], v[76:77], v[12:13]
	v_add_f64 v[70:71], v[72:73], v[70:71]
	v_add_f64 v[72:73], v[94:95], v[108:109]
	v_mul_f64 v[94:95], v[76:77], v[10:11]
	v_fma_f64 v[94:95], v[74:75], v[8:9], -v[94:95]
	v_mul_f64 v[108:109], v[74:75], v[10:11]
	v_add_f64 v[74:75], v[96:97], v[94:95]
	ds_read_b128 v[94:97], v105 offset:2064
	v_fmac_f64_e32 v[108:109], v[76:77], v[8:9]
	v_add_f64 v[76:77], v[98:99], v[108:109]
	v_fmac_f64_e32 v[32:33], v[110:111], v[8:9]
	v_add_f64 v[32:33], v[134:135], v[32:33]
	s_waitcnt lgkmcnt(0)
	v_mul_f64 v[98:99], v[96:97], v[22:23]
	v_mul_f64 v[108:109], v[94:95], v[22:23]
	v_fma_f64 v[98:99], v[94:95], v[20:21], -v[98:99]
	v_fmac_f64_e32 v[108:109], v[96:97], v[20:21]
	v_add_f64 v[78:79], v[78:79], v[98:99]
	v_add_f64 v[80:81], v[80:81], v[108:109]
	v_mul_f64 v[98:99], v[96:97], v[18:19]
	v_mul_f64 v[108:109], v[94:95], v[18:19]
	v_fma_f64 v[98:99], v[94:95], v[16:17], -v[98:99]
	v_fmac_f64_e32 v[108:109], v[96:97], v[16:17]
	v_add_f64 v[82:83], v[82:83], v[98:99]
	v_add_f64 v[84:85], v[84:85], v[108:109]
	;; [unrolled: 6-line block ×4, first 2 shown]
	ds_read_b128 v[90:93], v105 offset:3088
	v_add_f64 v[30:31], v[132:133], v[30:31]
	s_waitcnt lgkmcnt(0)
	v_mul_f64 v[98:99], v[92:93], v[22:23]
	v_mul_f64 v[22:23], v[90:91], v[22:23]
	v_fma_f64 v[98:99], v[90:91], v[20:21], -v[98:99]
	v_fmac_f64_e32 v[22:23], v[92:93], v[20:21]
	v_mul_f64 v[20:21], v[92:93], v[18:19]
	v_mul_f64 v[18:19], v[90:91], v[18:19]
	v_fma_f64 v[20:21], v[90:91], v[16:17], -v[20:21]
	v_fmac_f64_e32 v[18:19], v[92:93], v[16:17]
	;; [unrolled: 4-line block ×3, first 2 shown]
	v_mul_f64 v[12:13], v[92:93], v[10:11]
	v_mul_f64 v[10:11], v[90:91], v[10:11]
	v_fmac_f64_e32 v[10:11], v[92:93], v[8:9]
	v_fma_f64 v[12:13], v[90:91], v[8:9], -v[12:13]
	v_add_f64 v[118:119], v[48:49], v[10:11]
	ds_read_b128 v[8:11], v104 offset:2048
	v_add_f64 v[114:115], v[52:53], v[14:15]
	v_add_f64 v[116:117], v[46:47], v[12:13]
	;; [unrolled: 1-line block ×4, first 2 shown]
	s_waitcnt lgkmcnt(0)
	v_mul_f64 v[12:13], v[6:7], v[10:11]
	v_mul_f64 v[14:15], v[4:5], v[10:11]
	v_fma_f64 v[12:13], v[4:5], v[8:9], -v[12:13]
	v_fmac_f64_e32 v[14:15], v[6:7], v[8:9]
	v_add_f64 v[120:121], v[42:43], v[12:13]
	v_add_f64 v[122:123], v[44:45], v[14:15]
	ds_read_b128 v[12:15], v104 offset:2304
	v_add_f64 v[60:61], v[60:61], v[22:23]
	v_add_f64 v[108:109], v[54:55], v[20:21]
	;; [unrolled: 1-line block ×3, first 2 shown]
	s_waitcnt lgkmcnt(0)
	v_mul_f64 v[16:17], v[6:7], v[14:15]
	v_mul_f64 v[18:19], v[4:5], v[14:15]
	v_fma_f64 v[16:17], v[4:5], v[12:13], -v[16:17]
	v_fmac_f64_e32 v[18:19], v[6:7], v[12:13]
	v_add_f64 v[38:39], v[38:39], v[16:17]
	v_add_f64 v[40:41], v[40:41], v[18:19]
	ds_read_b128 v[16:19], v104 offset:2560
	s_waitcnt lgkmcnt(0)
	v_mul_f64 v[20:21], v[6:7], v[18:19]
	v_mul_f64 v[22:23], v[4:5], v[18:19]
	v_fma_f64 v[20:21], v[4:5], v[16:17], -v[20:21]
	v_fmac_f64_e32 v[22:23], v[6:7], v[16:17]
	v_add_f64 v[124:125], v[34:35], v[20:21]
	v_add_f64 v[126:127], v[36:37], v[22:23]
	ds_read_b128 v[20:23], v104 offset:2816
	s_waitcnt lgkmcnt(0)
	v_mul_f64 v[34:35], v[6:7], v[22:23]
	v_fma_f64 v[34:35], v[4:5], v[20:21], -v[34:35]
	v_mul_f64 v[4:5], v[4:5], v[22:23]
	v_fmac_f64_e32 v[4:5], v[6:7], v[20:21]
	v_add_f64 v[130:131], v[32:33], v[4:5]
	ds_read_b128 v[4:7], v105 offset:1056
	v_add_f64 v[128:129], v[30:31], v[34:35]
	s_waitcnt lgkmcnt(0)
	v_mul_f64 v[30:31], v[6:7], v[10:11]
	v_fma_f64 v[30:31], v[4:5], v[8:9], -v[30:31]
	v_add_f64 v[46:47], v[62:63], v[30:31]
	v_mul_f64 v[30:31], v[6:7], v[14:15]
	v_mul_f64 v[32:33], v[4:5], v[10:11]
	v_fma_f64 v[30:31], v[4:5], v[12:13], -v[30:31]
	v_fmac_f64_e32 v[32:33], v[6:7], v[8:9]
	v_add_f64 v[50:51], v[66:67], v[30:31]
	v_mul_f64 v[30:31], v[6:7], v[18:19]
	v_add_f64 v[48:49], v[64:65], v[32:33]
	v_mul_f64 v[32:33], v[4:5], v[14:15]
	v_fma_f64 v[30:31], v[4:5], v[16:17], -v[30:31]
	v_fmac_f64_e32 v[32:33], v[6:7], v[12:13]
	v_add_f64 v[54:55], v[70:71], v[30:31]
	v_mul_f64 v[30:31], v[6:7], v[22:23]
	v_add_f64 v[52:53], v[68:69], v[32:33]
	v_mul_f64 v[32:33], v[4:5], v[18:19]
	v_fma_f64 v[30:31], v[4:5], v[20:21], -v[30:31]
	v_mul_f64 v[4:5], v[4:5], v[22:23]
	v_fmac_f64_e32 v[4:5], v[6:7], v[20:21]
	v_fmac_f64_e32 v[32:33], v[6:7], v[16:17]
	v_add_f64 v[62:63], v[76:77], v[4:5]
	ds_read_b128 v[4:7], v105 offset:2080
	v_add_f64 v[58:59], v[74:75], v[30:31]
	v_add_f64 v[56:57], v[72:73], v[32:33]
	s_waitcnt lgkmcnt(0)
	v_mul_f64 v[30:31], v[6:7], v[10:11]
	v_fma_f64 v[30:31], v[4:5], v[8:9], -v[30:31]
	v_add_f64 v[34:35], v[78:79], v[30:31]
	v_mul_f64 v[30:31], v[6:7], v[14:15]
	v_mul_f64 v[32:33], v[4:5], v[10:11]
	v_fma_f64 v[30:31], v[4:5], v[12:13], -v[30:31]
	v_fmac_f64_e32 v[32:33], v[6:7], v[8:9]
	v_add_f64 v[42:43], v[82:83], v[30:31]
	v_mul_f64 v[30:31], v[6:7], v[18:19]
	v_add_f64 v[36:37], v[80:81], v[32:33]
	v_mul_f64 v[32:33], v[4:5], v[14:15]
	v_fma_f64 v[30:31], v[4:5], v[16:17], -v[30:31]
	v_fmac_f64_e32 v[32:33], v[6:7], v[12:13]
	v_add_f64 v[90:91], v[86:87], v[30:31]
	v_mul_f64 v[30:31], v[6:7], v[22:23]
	v_add_f64 v[44:45], v[84:85], v[32:33]
	v_mul_f64 v[32:33], v[4:5], v[18:19]
	v_fma_f64 v[30:31], v[4:5], v[20:21], -v[30:31]
	v_mul_f64 v[4:5], v[4:5], v[22:23]
	v_fmac_f64_e32 v[4:5], v[6:7], v[20:21]
	v_fmac_f64_e32 v[32:33], v[6:7], v[16:17]
	v_add_f64 v[96:97], v[96:97], v[4:5]
	ds_read_b128 v[4:7], v105 offset:3104
	v_add_f64 v[94:95], v[94:95], v[30:31]
	v_add_f64 v[92:93], v[88:89], v[32:33]
	s_waitcnt lgkmcnt(0)
	v_mul_f64 v[30:31], v[6:7], v[10:11]
	v_mul_f64 v[10:11], v[4:5], v[10:11]
	v_fmac_f64_e32 v[10:11], v[6:7], v[8:9]
	v_fma_f64 v[30:31], v[4:5], v[8:9], -v[30:31]
	v_add_f64 v[76:77], v[60:61], v[10:11]
	v_mul_f64 v[8:9], v[6:7], v[14:15]
	v_mul_f64 v[10:11], v[4:5], v[14:15]
	v_fma_f64 v[8:9], v[4:5], v[12:13], -v[8:9]
	v_fmac_f64_e32 v[10:11], v[6:7], v[12:13]
	v_add_f64 v[86:87], v[108:109], v[8:9]
	v_add_f64 v[88:89], v[110:111], v[10:11]
	v_mul_f64 v[8:9], v[6:7], v[18:19]
	v_mul_f64 v[10:11], v[4:5], v[18:19]
	v_fma_f64 v[8:9], v[4:5], v[16:17], -v[8:9]
	v_fmac_f64_e32 v[10:11], v[6:7], v[16:17]
	ds_read_b128 v[16:19], v104 offset:3072
	ds_read_b128 v[12:15], v104 offset:3328
	v_add_f64 v[82:83], v[112:113], v[8:9]
	v_mul_f64 v[8:9], v[6:7], v[22:23]
	v_fma_f64 v[8:9], v[4:5], v[20:21], -v[8:9]
	v_mul_f64 v[4:5], v[4:5], v[22:23]
	v_add_f64 v[84:85], v[114:115], v[10:11]
	v_fmac_f64_e32 v[4:5], v[6:7], v[20:21]
	v_add_f64 v[78:79], v[116:117], v[8:9]
	ds_read_b128 v[8:11], v104 offset:3584
	v_add_f64 v[80:81], v[118:119], v[4:5]
	s_waitcnt lgkmcnt(2)
	v_mul_f64 v[4:5], v[2:3], v[18:19]
	v_mul_f64 v[6:7], v[0:1], v[18:19]
	v_fma_f64 v[4:5], v[0:1], v[16:17], -v[4:5]
	v_fmac_f64_e32 v[6:7], v[2:3], v[16:17]
	v_add_f64 v[60:61], v[120:121], v[4:5]
	v_add_f64 v[64:65], v[122:123], v[6:7]
	s_waitcnt lgkmcnt(1)
	v_mul_f64 v[4:5], v[2:3], v[14:15]
	v_mul_f64 v[6:7], v[0:1], v[14:15]
	v_fma_f64 v[4:5], v[0:1], v[12:13], -v[4:5]
	v_fmac_f64_e32 v[6:7], v[2:3], v[12:13]
	v_add_f64 v[38:39], v[38:39], v[4:5]
	;; [unrolled: 7-line block ×3, first 2 shown]
	v_add_f64 v[30:31], v[124:125], v[4:5]
	v_add_f64 v[32:33], v[126:127], v[6:7]
	ds_read_b128 v[4:7], v104 offset:3840
	s_waitcnt lgkmcnt(0)
	v_mul_f64 v[20:21], v[2:3], v[6:7]
	v_fma_f64 v[20:21], v[0:1], v[4:5], -v[20:21]
	v_mul_f64 v[0:1], v[0:1], v[6:7]
	v_fmac_f64_e32 v[0:1], v[2:3], v[4:5]
	v_add_f64 v[22:23], v[130:131], v[0:1]
	ds_read_b128 v[0:3], v105 offset:1072
	v_add_f64 v[20:21], v[128:129], v[20:21]
	s_waitcnt lgkmcnt(0)
	v_mul_f64 v[66:67], v[2:3], v[18:19]
	v_fma_f64 v[66:67], v[0:1], v[16:17], -v[66:67]
	v_add_f64 v[70:71], v[46:47], v[66:67]
	v_mul_f64 v[46:47], v[2:3], v[14:15]
	v_mul_f64 v[68:69], v[0:1], v[18:19]
	v_fma_f64 v[46:47], v[0:1], v[12:13], -v[46:47]
	v_fmac_f64_e32 v[68:69], v[2:3], v[16:17]
	v_add_f64 v[66:67], v[50:51], v[46:47]
	v_mul_f64 v[46:47], v[2:3], v[10:11]
	v_add_f64 v[72:73], v[48:49], v[68:69]
	v_mul_f64 v[48:49], v[0:1], v[14:15]
	v_fma_f64 v[46:47], v[0:1], v[8:9], -v[46:47]
	v_fmac_f64_e32 v[48:49], v[2:3], v[12:13]
	v_add_f64 v[54:55], v[54:55], v[46:47]
	v_mul_f64 v[46:47], v[2:3], v[6:7]
	v_add_f64 v[68:69], v[52:53], v[48:49]
	v_mul_f64 v[48:49], v[0:1], v[10:11]
	v_fma_f64 v[46:47], v[0:1], v[4:5], -v[46:47]
	v_mul_f64 v[0:1], v[0:1], v[6:7]
	v_fmac_f64_e32 v[48:49], v[2:3], v[8:9]
	v_fmac_f64_e32 v[0:1], v[2:3], v[4:5]
	v_add_f64 v[56:57], v[56:57], v[48:49]
	v_add_f64 v[48:49], v[62:63], v[0:1]
	ds_read_b128 v[0:3], v105 offset:2096
	v_add_f64 v[46:47], v[58:59], v[46:47]
	s_waitcnt lgkmcnt(0)
	v_mul_f64 v[50:51], v[2:3], v[18:19]
	v_fma_f64 v[50:51], v[0:1], v[16:17], -v[50:51]
	v_add_f64 v[58:59], v[34:35], v[50:51]
	v_mul_f64 v[34:35], v[2:3], v[14:15]
	v_mul_f64 v[52:53], v[0:1], v[18:19]
	v_fma_f64 v[34:35], v[0:1], v[12:13], -v[34:35]
	v_fmac_f64_e32 v[52:53], v[2:3], v[16:17]
	v_add_f64 v[50:51], v[42:43], v[34:35]
	v_mul_f64 v[34:35], v[2:3], v[10:11]
	v_add_f64 v[62:63], v[36:37], v[52:53]
	v_mul_f64 v[36:37], v[0:1], v[14:15]
	v_fma_f64 v[34:35], v[0:1], v[8:9], -v[34:35]
	v_fmac_f64_e32 v[36:37], v[2:3], v[12:13]
	v_add_f64 v[42:43], v[90:91], v[34:35]
	v_mul_f64 v[34:35], v[2:3], v[6:7]
	v_add_f64 v[52:53], v[44:45], v[36:37]
	v_mul_f64 v[36:37], v[0:1], v[10:11]
	v_fma_f64 v[34:35], v[0:1], v[4:5], -v[34:35]
	v_mul_f64 v[0:1], v[0:1], v[6:7]
	v_fmac_f64_e32 v[36:37], v[2:3], v[8:9]
	v_fmac_f64_e32 v[0:1], v[2:3], v[4:5]
	v_add_f64 v[44:45], v[92:93], v[36:37]
	v_add_f64 v[36:37], v[96:97], v[0:1]
	ds_read_b128 v[0:3], v105 offset:3120
	v_add_f64 v[34:35], v[94:95], v[34:35]
	s_waitcnt lgkmcnt(0)
	s_barrier
	v_mul_f64 v[90:91], v[2:3], v[18:19]
	v_mul_f64 v[18:19], v[0:1], v[18:19]
	v_fma_f64 v[90:91], v[0:1], v[16:17], -v[90:91]
	v_fmac_f64_e32 v[18:19], v[2:3], v[16:17]
	v_mul_f64 v[16:17], v[2:3], v[14:15]
	v_mul_f64 v[14:15], v[0:1], v[14:15]
	v_fma_f64 v[16:17], v[0:1], v[12:13], -v[16:17]
	v_fmac_f64_e32 v[14:15], v[2:3], v[12:13]
	;; [unrolled: 4-line block ×3, first 2 shown]
	v_mul_f64 v[8:9], v[2:3], v[6:7]
	v_fma_f64 v[8:9], v[0:1], v[4:5], -v[8:9]
	v_mul_f64 v[0:1], v[0:1], v[6:7]
	v_fmac_f64_e32 v[0:1], v[2:3], v[4:5]
	v_add_f64 v[74:75], v[74:75], v[90:91]
	v_add_f64 v[76:77], v[76:77], v[18:19]
	;; [unrolled: 1-line block ×8, first 2 shown]
	s_cbranch_vccnz .LBB120_2
	s_branch .LBB120_4
.LBB120_3:
	v_pk_mov_b32 v[60:61], 0, 0
	v_pk_mov_b32 v[64:65], 0, 0
	;; [unrolled: 1-line block ×32, first 2 shown]
.LBB120_4:
	s_load_dwordx2 s[4:5], s[4:5], 0x90
	v_mov_b32_e32 v0, s3
	v_add_co_u32_e32 v6, vcc, s2, v101
	v_addc_co_u32_e32 v7, vcc, 0, v0, vcc
	s_waitcnt lgkmcnt(0)
	s_mul_i32 s3, s8, s5
	s_mul_hi_u32 s5, s8, s4
	s_mul_i32 s4, s8, s4
	s_add_i32 s5, s5, s3
	s_lshl_b64 s[4:5], s[4:5], 4
	s_add_u32 s4, s24, s4
	v_cmp_neq_f64_e64 s[6:7], s[14:15], 0
	v_cmp_neq_f64_e64 s[10:11], s[16:17], 0
	v_mov_b32_e32 v1, s1
	v_add_co_u32_e32 v0, vcc, s0, v100
	s_addc_u32 s5, s25, s5
	s_or_b64 s[6:7], s[6:7], s[10:11]
	v_addc_co_u32_e32 v1, vcc, 0, v1, vcc
	s_mov_b64 s[2:3], 0
	s_and_b64 vcc, exec, s[6:7]
	s_cbranch_vccnz .LBB120_6
; %bb.5:
	v_mul_lo_u32 v4, v7, s26
	v_mul_lo_u32 v5, v6, s27
	v_mad_u64_u32 v[2:3], s[0:1], v6, s26, 0
	v_add3_u32 v3, v3, v5, v4
	v_lshlrev_b64 v[2:3], 4, v[2:3]
	v_mov_b32_e32 v4, s5
	v_add_co_u32_e32 v26, vcc, s4, v2
	v_addc_co_u32_e32 v27, vcc, v4, v3, vcc
	v_lshlrev_b64 v[24:25], 4, v[0:1]
	v_mul_f64 v[2:3], s[40:41], v[64:65]
	v_mul_f64 v[4:5], s[38:39], v[64:65]
	v_add_co_u32_e32 v24, vcc, v26, v24
	v_fma_f64 v[2:3], s[38:39], v[60:61], -v[2:3]
	v_fmac_f64_e32 v[4:5], s[40:41], v[60:61]
	v_addc_co_u32_e32 v25, vcc, v27, v25, vcc
	global_store_dwordx4 v[24:25], v[2:5], off
	s_lshl_b64 s[0:1], s[26:27], 8
	v_mul_f64 v[2:3], s[40:41], v[40:41]
	v_mul_f64 v[4:5], s[38:39], v[40:41]
	v_fma_f64 v[2:3], s[38:39], v[38:39], -v[2:3]
	v_fmac_f64_e32 v[4:5], s[40:41], v[38:39]
	global_store_dwordx4 v[24:25], v[2:5], off offset:256
	v_mov_b32_e32 v26, s1
	v_mul_f64 v[2:3], s[40:41], v[32:33]
	v_mul_f64 v[4:5], s[38:39], v[32:33]
	v_fma_f64 v[2:3], s[38:39], v[30:31], -v[2:3]
	v_fmac_f64_e32 v[4:5], s[40:41], v[30:31]
	global_store_dwordx4 v[24:25], v[2:5], off offset:512
	s_nop 0
	v_mul_f64 v[2:3], s[40:41], v[22:23]
	v_mul_f64 v[4:5], s[38:39], v[22:23]
	v_fma_f64 v[2:3], s[38:39], v[20:21], -v[2:3]
	v_fmac_f64_e32 v[4:5], s[40:41], v[20:21]
	global_store_dwordx4 v[24:25], v[2:5], off offset:768
	v_add_co_u32_e32 v24, vcc, s0, v24
	v_mul_f64 v[2:3], s[40:41], v[72:73]
	v_mul_f64 v[4:5], s[38:39], v[72:73]
	v_fma_f64 v[2:3], s[38:39], v[70:71], -v[2:3]
	v_fmac_f64_e32 v[4:5], s[40:41], v[70:71]
	v_addc_co_u32_e32 v25, vcc, v25, v26, vcc
	global_store_dwordx4 v[24:25], v[2:5], off
	s_nop 0
	v_mul_f64 v[2:3], s[40:41], v[68:69]
	v_mul_f64 v[4:5], s[38:39], v[68:69]
	v_fma_f64 v[2:3], s[38:39], v[66:67], -v[2:3]
	v_fmac_f64_e32 v[4:5], s[40:41], v[66:67]
	global_store_dwordx4 v[24:25], v[2:5], off offset:256
	s_nop 0
	v_mul_f64 v[2:3], s[40:41], v[56:57]
	v_mul_f64 v[4:5], s[38:39], v[56:57]
	v_fma_f64 v[2:3], s[38:39], v[54:55], -v[2:3]
	v_fmac_f64_e32 v[4:5], s[40:41], v[54:55]
	global_store_dwordx4 v[24:25], v[2:5], off offset:512
	s_nop 0
	v_mul_f64 v[2:3], s[40:41], v[48:49]
	v_mul_f64 v[4:5], s[38:39], v[48:49]
	v_fma_f64 v[2:3], s[38:39], v[46:47], -v[2:3]
	v_fmac_f64_e32 v[4:5], s[40:41], v[46:47]
	global_store_dwordx4 v[24:25], v[2:5], off offset:768
	v_add_co_u32_e32 v24, vcc, s0, v24
	v_mul_f64 v[2:3], s[40:41], v[62:63]
	v_mul_f64 v[4:5], s[38:39], v[62:63]
	v_fma_f64 v[2:3], s[38:39], v[58:59], -v[2:3]
	v_fmac_f64_e32 v[4:5], s[40:41], v[58:59]
	v_addc_co_u32_e32 v25, vcc, v25, v26, vcc
	global_store_dwordx4 v[24:25], v[2:5], off
	s_nop 0
	v_mul_f64 v[2:3], s[40:41], v[52:53]
	v_mul_f64 v[4:5], s[38:39], v[52:53]
	v_fma_f64 v[2:3], s[38:39], v[50:51], -v[2:3]
	v_fmac_f64_e32 v[4:5], s[40:41], v[50:51]
	global_store_dwordx4 v[24:25], v[2:5], off offset:256
	s_nop 0
	;; [unrolled: 25-line block ×3, first 2 shown]
	v_mul_f64 v[2:3], s[40:41], v[14:15]
	v_mul_f64 v[4:5], s[38:39], v[14:15]
	v_fma_f64 v[2:3], s[38:39], v[12:13], -v[2:3]
	v_fmac_f64_e32 v[4:5], s[40:41], v[12:13]
	global_store_dwordx4 v[24:25], v[2:5], off offset:512
	s_nop 0
	v_mul_f64 v[2:3], s[40:41], v[8:9]
	v_fma_f64 v[26:27], s[38:39], v[10:11], -v[2:3]
	v_mul_f64 v[4:5], s[38:39], v[8:9]
	v_add_co_u32_e32 v2, vcc, 0x300, v24
	v_fmac_f64_e32 v[4:5], s[40:41], v[10:11]
	v_addc_co_u32_e32 v3, vcc, 0, v25, vcc
	global_store_dwordx2 v[24:25], v[26:27], off offset:768
	s_andn2_b64 vcc, exec, s[2:3]
	s_cbranch_vccz .LBB120_7
	s_branch .LBB120_8
.LBB120_6:
                                        ; implicit-def: $vgpr4_vgpr5
                                        ; implicit-def: $vgpr2_vgpr3
.LBB120_7:
	s_mul_i32 s0, s8, s23
	s_mul_hi_u32 s1, s8, s22
	s_add_i32 s1, s1, s0
	s_mul_i32 s0, s8, s22
	s_lshl_b64 s[0:1], s[0:1], 4
	s_add_u32 s2, s18, s0
	s_addc_u32 s3, s19, s1
	v_mul_lo_u32 v4, v7, s20
	v_mul_lo_u32 v5, v6, s21
	v_mad_u64_u32 v[2:3], s[0:1], v6, s20, 0
	v_add3_u32 v3, v3, v5, v4
	v_lshlrev_b64 v[2:3], 4, v[2:3]
	v_mov_b32_e32 v4, s3
	v_add_co_u32_e32 v2, vcc, s2, v2
	v_addc_co_u32_e32 v3, vcc, v4, v3, vcc
	v_lshlrev_b64 v[4:5], 4, v[0:1]
	v_add_co_u32_e32 v24, vcc, v2, v4
	v_addc_co_u32_e32 v25, vcc, v3, v5, vcc
	global_load_dwordx4 v[0:3], v[24:25], off
	v_mul_lo_u32 v78, v7, s26
	v_mul_lo_u32 v79, v6, s27
	v_mad_u64_u32 v[6:7], s[0:1], v6, s26, 0
	v_add3_u32 v7, v7, v79, v78
	v_lshlrev_b64 v[6:7], 4, v[6:7]
	v_mov_b32_e32 v80, s5
	v_add_co_u32_e32 v6, vcc, s4, v6
	v_addc_co_u32_e32 v7, vcc, v80, v7, vcc
	v_add_co_u32_e32 v4, vcc, v6, v4
	v_mul_f64 v[26:27], s[40:41], v[64:65]
	v_mul_f64 v[28:29], s[38:39], v[64:65]
	v_addc_co_u32_e32 v5, vcc, v7, v5, vcc
	v_fma_f64 v[26:27], s[38:39], v[60:61], -v[26:27]
	v_fmac_f64_e32 v[28:29], s[40:41], v[60:61]
	s_lshl_b64 s[0:1], s[20:21], 8
	s_lshl_b64 s[2:3], s[26:27], 8
	s_waitcnt vmcnt(0)
	v_mul_f64 v[6:7], s[16:17], v[2:3]
	v_mul_f64 v[2:3], s[14:15], v[2:3]
	v_fma_f64 v[6:7], s[14:15], v[0:1], -v[6:7]
	v_fmac_f64_e32 v[2:3], s[16:17], v[0:1]
	v_add_f64 v[0:1], v[26:27], v[6:7]
	v_add_f64 v[2:3], v[28:29], v[2:3]
	global_store_dwordx4 v[4:5], v[0:3], off
	global_load_dwordx4 v[0:3], v[24:25], off offset:256
	v_mul_f64 v[6:7], s[40:41], v[40:41]
	v_mul_f64 v[26:27], s[38:39], v[40:41]
	v_fma_f64 v[6:7], s[38:39], v[38:39], -v[6:7]
	v_fmac_f64_e32 v[26:27], s[40:41], v[38:39]
	s_waitcnt vmcnt(0)
	v_mul_f64 v[28:29], s[16:17], v[2:3]
	v_mul_f64 v[2:3], s[14:15], v[2:3]
	v_fma_f64 v[28:29], s[14:15], v[0:1], -v[28:29]
	v_fmac_f64_e32 v[2:3], s[16:17], v[0:1]
	v_add_f64 v[0:1], v[6:7], v[28:29]
	v_add_f64 v[2:3], v[26:27], v[2:3]
	global_store_dwordx4 v[4:5], v[0:3], off offset:256
	global_load_dwordx4 v[0:3], v[24:25], off offset:512
	v_mul_f64 v[6:7], s[40:41], v[32:33]
	v_mul_f64 v[26:27], s[38:39], v[32:33]
	v_fma_f64 v[6:7], s[38:39], v[30:31], -v[6:7]
	v_fmac_f64_e32 v[26:27], s[40:41], v[30:31]
	s_waitcnt vmcnt(0)
	v_mul_f64 v[28:29], s[16:17], v[2:3]
	v_mul_f64 v[2:3], s[14:15], v[2:3]
	v_fma_f64 v[28:29], s[14:15], v[0:1], -v[28:29]
	v_fmac_f64_e32 v[2:3], s[16:17], v[0:1]
	v_add_f64 v[0:1], v[6:7], v[28:29]
	v_add_f64 v[2:3], v[26:27], v[2:3]
	global_store_dwordx4 v[4:5], v[0:3], off offset:512
	global_load_dwordx4 v[0:3], v[24:25], off offset:768
	v_mul_f64 v[6:7], s[40:41], v[22:23]
	v_mul_f64 v[22:23], s[38:39], v[22:23]
	v_fma_f64 v[6:7], s[38:39], v[20:21], -v[6:7]
	v_fmac_f64_e32 v[22:23], s[40:41], v[20:21]
	v_mov_b32_e32 v26, s1
	v_add_co_u32_e32 v20, vcc, s0, v24
	v_addc_co_u32_e32 v21, vcc, v25, v26, vcc
	v_mov_b32_e32 v27, s3
	s_waitcnt vmcnt(0)
	v_mul_f64 v[24:25], s[16:17], v[2:3]
	v_mul_f64 v[2:3], s[14:15], v[2:3]
	v_fma_f64 v[24:25], s[14:15], v[0:1], -v[24:25]
	v_fmac_f64_e32 v[2:3], s[16:17], v[0:1]
	v_add_f64 v[0:1], v[6:7], v[24:25]
	v_add_f64 v[2:3], v[22:23], v[2:3]
	global_store_dwordx4 v[4:5], v[0:3], off offset:768
	global_load_dwordx4 v[0:3], v[20:21], off
	v_mul_f64 v[6:7], s[40:41], v[72:73]
	v_mul_f64 v[22:23], s[38:39], v[72:73]
	v_fma_f64 v[6:7], s[38:39], v[70:71], -v[6:7]
	v_fmac_f64_e32 v[22:23], s[40:41], v[70:71]
	v_add_co_u32_e32 v4, vcc, s2, v4
	v_addc_co_u32_e32 v5, vcc, v5, v27, vcc
	s_waitcnt vmcnt(0)
	v_mul_f64 v[24:25], s[16:17], v[2:3]
	v_mul_f64 v[2:3], s[14:15], v[2:3]
	v_fma_f64 v[24:25], s[14:15], v[0:1], -v[24:25]
	v_fmac_f64_e32 v[2:3], s[16:17], v[0:1]
	v_add_f64 v[0:1], v[6:7], v[24:25]
	v_add_f64 v[2:3], v[22:23], v[2:3]
	global_store_dwordx4 v[4:5], v[0:3], off
	global_load_dwordx4 v[0:3], v[20:21], off offset:256
	v_mul_f64 v[6:7], s[40:41], v[68:69]
	v_mul_f64 v[22:23], s[38:39], v[68:69]
	v_fma_f64 v[6:7], s[38:39], v[66:67], -v[6:7]
	v_fmac_f64_e32 v[22:23], s[40:41], v[66:67]
	s_waitcnt vmcnt(0)
	v_mul_f64 v[24:25], s[16:17], v[2:3]
	v_mul_f64 v[2:3], s[14:15], v[2:3]
	v_fma_f64 v[24:25], s[14:15], v[0:1], -v[24:25]
	v_fmac_f64_e32 v[2:3], s[16:17], v[0:1]
	v_add_f64 v[0:1], v[6:7], v[24:25]
	v_add_f64 v[2:3], v[22:23], v[2:3]
	global_store_dwordx4 v[4:5], v[0:3], off offset:256
	global_load_dwordx4 v[0:3], v[20:21], off offset:512
	v_mul_f64 v[6:7], s[40:41], v[56:57]
	v_mul_f64 v[22:23], s[38:39], v[56:57]
	v_fma_f64 v[6:7], s[38:39], v[54:55], -v[6:7]
	v_fmac_f64_e32 v[22:23], s[40:41], v[54:55]
	s_waitcnt vmcnt(0)
	v_mul_f64 v[24:25], s[16:17], v[2:3]
	v_mul_f64 v[2:3], s[14:15], v[2:3]
	v_fma_f64 v[24:25], s[14:15], v[0:1], -v[24:25]
	v_fmac_f64_e32 v[2:3], s[16:17], v[0:1]
	v_add_f64 v[0:1], v[6:7], v[24:25]
	v_add_f64 v[2:3], v[22:23], v[2:3]
	global_store_dwordx4 v[4:5], v[0:3], off offset:512
	global_load_dwordx4 v[0:3], v[20:21], off offset:768
	v_mul_f64 v[6:7], s[40:41], v[48:49]
	v_mul_f64 v[22:23], s[38:39], v[48:49]
	v_fma_f64 v[6:7], s[38:39], v[46:47], -v[6:7]
	v_fmac_f64_e32 v[22:23], s[40:41], v[46:47]
	v_add_co_u32_e32 v20, vcc, s0, v20
	v_addc_co_u32_e32 v21, vcc, v21, v26, vcc
	s_waitcnt vmcnt(0)
	v_mul_f64 v[24:25], s[16:17], v[2:3]
	v_mul_f64 v[2:3], s[14:15], v[2:3]
	v_fma_f64 v[24:25], s[14:15], v[0:1], -v[24:25]
	v_fmac_f64_e32 v[2:3], s[16:17], v[0:1]
	v_add_f64 v[0:1], v[6:7], v[24:25]
	v_add_f64 v[2:3], v[22:23], v[2:3]
	global_store_dwordx4 v[4:5], v[0:3], off offset:768
	global_load_dwordx4 v[0:3], v[20:21], off
	v_mul_f64 v[6:7], s[40:41], v[62:63]
	v_mul_f64 v[22:23], s[38:39], v[62:63]
	v_fma_f64 v[6:7], s[38:39], v[58:59], -v[6:7]
	v_fmac_f64_e32 v[22:23], s[40:41], v[58:59]
	v_add_co_u32_e32 v4, vcc, s2, v4
	v_addc_co_u32_e32 v5, vcc, v5, v27, vcc
	s_waitcnt vmcnt(0)
	v_mul_f64 v[24:25], s[16:17], v[2:3]
	v_mul_f64 v[2:3], s[14:15], v[2:3]
	v_fma_f64 v[24:25], s[14:15], v[0:1], -v[24:25]
	v_fmac_f64_e32 v[2:3], s[16:17], v[0:1]
	v_add_f64 v[0:1], v[6:7], v[24:25]
	v_add_f64 v[2:3], v[22:23], v[2:3]
	global_store_dwordx4 v[4:5], v[0:3], off
	global_load_dwordx4 v[0:3], v[20:21], off offset:256
	v_mul_f64 v[6:7], s[40:41], v[52:53]
	v_mul_f64 v[22:23], s[38:39], v[52:53]
	v_fma_f64 v[6:7], s[38:39], v[50:51], -v[6:7]
	v_fmac_f64_e32 v[22:23], s[40:41], v[50:51]
	s_waitcnt vmcnt(0)
	v_mul_f64 v[24:25], s[16:17], v[2:3]
	v_mul_f64 v[2:3], s[14:15], v[2:3]
	v_fma_f64 v[24:25], s[14:15], v[0:1], -v[24:25]
	v_fmac_f64_e32 v[2:3], s[16:17], v[0:1]
	v_add_f64 v[0:1], v[6:7], v[24:25]
	v_add_f64 v[2:3], v[22:23], v[2:3]
	global_store_dwordx4 v[4:5], v[0:3], off offset:256
	global_load_dwordx4 v[0:3], v[20:21], off offset:512
	v_mul_f64 v[6:7], s[40:41], v[44:45]
	v_mul_f64 v[22:23], s[38:39], v[44:45]
	v_fma_f64 v[6:7], s[38:39], v[42:43], -v[6:7]
	v_fmac_f64_e32 v[22:23], s[40:41], v[42:43]
	s_waitcnt vmcnt(0)
	v_mul_f64 v[24:25], s[16:17], v[2:3]
	v_mul_f64 v[2:3], s[14:15], v[2:3]
	v_fma_f64 v[24:25], s[14:15], v[0:1], -v[24:25]
	v_fmac_f64_e32 v[2:3], s[16:17], v[0:1]
	v_add_f64 v[0:1], v[6:7], v[24:25]
	v_add_f64 v[2:3], v[22:23], v[2:3]
	global_store_dwordx4 v[4:5], v[0:3], off offset:512
	global_load_dwordx4 v[0:3], v[20:21], off offset:768
	v_mul_f64 v[6:7], s[40:41], v[36:37]
	v_mul_f64 v[22:23], s[38:39], v[36:37]
	v_fma_f64 v[6:7], s[38:39], v[34:35], -v[6:7]
	v_fmac_f64_e32 v[22:23], s[40:41], v[34:35]
	v_add_co_u32_e32 v20, vcc, s0, v20
	v_addc_co_u32_e32 v21, vcc, v21, v26, vcc
	s_waitcnt vmcnt(0)
	v_mul_f64 v[24:25], s[16:17], v[2:3]
	v_mul_f64 v[2:3], s[14:15], v[2:3]
	v_fma_f64 v[24:25], s[14:15], v[0:1], -v[24:25]
	v_fmac_f64_e32 v[2:3], s[16:17], v[0:1]
	v_add_f64 v[0:1], v[6:7], v[24:25]
	v_add_f64 v[2:3], v[22:23], v[2:3]
	global_store_dwordx4 v[4:5], v[0:3], off offset:768
	global_load_dwordx4 v[0:3], v[20:21], off
	v_add_co_u32_e32 v24, vcc, s2, v4
	v_mul_f64 v[6:7], s[40:41], v[76:77]
	v_mul_f64 v[22:23], s[38:39], v[76:77]
	v_addc_co_u32_e32 v25, vcc, v5, v27, vcc
	v_fma_f64 v[6:7], s[38:39], v[74:75], -v[6:7]
	v_fmac_f64_e32 v[22:23], s[40:41], v[74:75]
	s_waitcnt vmcnt(0)
	v_mul_f64 v[4:5], s[16:17], v[2:3]
	v_mul_f64 v[2:3], s[14:15], v[2:3]
	v_fma_f64 v[4:5], s[14:15], v[0:1], -v[4:5]
	v_fmac_f64_e32 v[2:3], s[16:17], v[0:1]
	v_add_f64 v[0:1], v[6:7], v[4:5]
	v_add_f64 v[2:3], v[22:23], v[2:3]
	global_store_dwordx4 v[24:25], v[0:3], off
	global_load_dwordx4 v[0:3], v[20:21], off offset:256
	v_mul_f64 v[4:5], s[40:41], v[18:19]
	v_mul_f64 v[6:7], s[38:39], v[18:19]
	v_fma_f64 v[4:5], s[38:39], v[16:17], -v[4:5]
	v_fmac_f64_e32 v[6:7], s[40:41], v[16:17]
	s_waitcnt vmcnt(0)
	v_mul_f64 v[16:17], s[16:17], v[2:3]
	v_mul_f64 v[2:3], s[14:15], v[2:3]
	v_fma_f64 v[16:17], s[14:15], v[0:1], -v[16:17]
	v_fmac_f64_e32 v[2:3], s[16:17], v[0:1]
	v_add_f64 v[0:1], v[4:5], v[16:17]
	v_add_f64 v[2:3], v[6:7], v[2:3]
	global_store_dwordx4 v[24:25], v[0:3], off offset:256
	global_load_dwordx4 v[0:3], v[20:21], off offset:512
	v_mul_f64 v[4:5], s[40:41], v[14:15]
	v_mul_f64 v[6:7], s[38:39], v[14:15]
	v_fma_f64 v[4:5], s[38:39], v[12:13], -v[4:5]
	v_fmac_f64_e32 v[6:7], s[40:41], v[12:13]
	s_waitcnt vmcnt(0)
	v_mul_f64 v[12:13], s[16:17], v[2:3]
	v_mul_f64 v[2:3], s[14:15], v[2:3]
	v_fma_f64 v[12:13], s[14:15], v[0:1], -v[12:13]
	v_fmac_f64_e32 v[2:3], s[16:17], v[0:1]
	v_add_f64 v[0:1], v[4:5], v[12:13]
	v_add_f64 v[2:3], v[6:7], v[2:3]
	global_store_dwordx4 v[24:25], v[0:3], off offset:512
	global_load_dwordx4 v[4:7], v[20:21], off offset:768
	v_mul_f64 v[0:1], s[40:41], v[8:9]
	v_mul_f64 v[8:9], s[38:39], v[8:9]
	v_fma_f64 v[0:1], s[38:39], v[10:11], -v[0:1]
	v_fmac_f64_e32 v[8:9], s[40:41], v[10:11]
	v_add_co_u32_e32 v2, vcc, 0x300, v24
	v_addc_co_u32_e32 v3, vcc, 0, v25, vcc
	s_waitcnt vmcnt(0)
	v_mul_f64 v[10:11], s[16:17], v[6:7]
	v_mul_f64 v[6:7], s[14:15], v[6:7]
	v_fma_f64 v[10:11], s[14:15], v[4:5], -v[10:11]
	v_fmac_f64_e32 v[6:7], s[16:17], v[4:5]
	v_add_f64 v[0:1], v[0:1], v[10:11]
	v_add_f64 v[4:5], v[8:9], v[6:7]
	global_store_dwordx2 v[24:25], v[0:1], off offset:768
.LBB120_8:
	global_store_dwordx2 v[2:3], v[4:5], off offset:8
	s_endpgm
	.section	.rodata,"a",@progbits
	.p2align	6, 0x0
	.amdhsa_kernel _ZN12_GLOBAL__N_127rocblas_gemm_batched_kernelI19rocblas_complex_numIdELi16ELi16ELi64ELi64ELi4ELi64ELi4ELi4ELi64ELc78ELc84EKS2_S3_S2_EEvlllT_PT11_llS6_llS4_PT12_llPT13_lli
		.amdhsa_group_segment_fixed_size 8192
		.amdhsa_private_segment_fixed_size 0
		.amdhsa_kernarg_size 156
		.amdhsa_user_sgpr_count 6
		.amdhsa_user_sgpr_private_segment_buffer 1
		.amdhsa_user_sgpr_dispatch_ptr 0
		.amdhsa_user_sgpr_queue_ptr 0
		.amdhsa_user_sgpr_kernarg_segment_ptr 1
		.amdhsa_user_sgpr_dispatch_id 0
		.amdhsa_user_sgpr_flat_scratch_init 0
		.amdhsa_user_sgpr_kernarg_preload_length 0
		.amdhsa_user_sgpr_kernarg_preload_offset 0
		.amdhsa_user_sgpr_private_segment_size 0
		.amdhsa_uses_dynamic_stack 0
		.amdhsa_system_sgpr_private_segment_wavefront_offset 0
		.amdhsa_system_sgpr_workgroup_id_x 1
		.amdhsa_system_sgpr_workgroup_id_y 1
		.amdhsa_system_sgpr_workgroup_id_z 1
		.amdhsa_system_sgpr_workgroup_info 0
		.amdhsa_system_vgpr_workitem_id 1
		.amdhsa_next_free_vgpr 136
		.amdhsa_next_free_sgpr 52
		.amdhsa_accum_offset 136
		.amdhsa_reserve_vcc 1
		.amdhsa_reserve_flat_scratch 0
		.amdhsa_float_round_mode_32 0
		.amdhsa_float_round_mode_16_64 0
		.amdhsa_float_denorm_mode_32 3
		.amdhsa_float_denorm_mode_16_64 3
		.amdhsa_dx10_clamp 1
		.amdhsa_ieee_mode 1
		.amdhsa_fp16_overflow 0
		.amdhsa_tg_split 0
		.amdhsa_exception_fp_ieee_invalid_op 0
		.amdhsa_exception_fp_denorm_src 0
		.amdhsa_exception_fp_ieee_div_zero 0
		.amdhsa_exception_fp_ieee_overflow 0
		.amdhsa_exception_fp_ieee_underflow 0
		.amdhsa_exception_fp_ieee_inexact 0
		.amdhsa_exception_int_div_zero 0
	.end_amdhsa_kernel
	.section	.text._ZN12_GLOBAL__N_127rocblas_gemm_batched_kernelI19rocblas_complex_numIdELi16ELi16ELi64ELi64ELi4ELi64ELi4ELi4ELi64ELc78ELc84EKS2_S3_S2_EEvlllT_PT11_llS6_llS4_PT12_llPT13_lli,"axG",@progbits,_ZN12_GLOBAL__N_127rocblas_gemm_batched_kernelI19rocblas_complex_numIdELi16ELi16ELi64ELi64ELi4ELi64ELi4ELi4ELi64ELc78ELc84EKS2_S3_S2_EEvlllT_PT11_llS6_llS4_PT12_llPT13_lli,comdat
.Lfunc_end120:
	.size	_ZN12_GLOBAL__N_127rocblas_gemm_batched_kernelI19rocblas_complex_numIdELi16ELi16ELi64ELi64ELi4ELi64ELi4ELi4ELi64ELc78ELc84EKS2_S3_S2_EEvlllT_PT11_llS6_llS4_PT12_llPT13_lli, .Lfunc_end120-_ZN12_GLOBAL__N_127rocblas_gemm_batched_kernelI19rocblas_complex_numIdELi16ELi16ELi64ELi64ELi4ELi64ELi4ELi4ELi64ELc78ELc84EKS2_S3_S2_EEvlllT_PT11_llS6_llS4_PT12_llPT13_lli
                                        ; -- End function
	.section	.AMDGPU.csdata,"",@progbits
; Kernel info:
; codeLenInByte = 6688
; NumSgprs: 56
; NumVgprs: 136
; NumAgprs: 0
; TotalNumVgprs: 136
; ScratchSize: 0
; MemoryBound: 0
; FloatMode: 240
; IeeeMode: 1
; LDSByteSize: 8192 bytes/workgroup (compile time only)
; SGPRBlocks: 6
; VGPRBlocks: 16
; NumSGPRsForWavesPerEU: 56
; NumVGPRsForWavesPerEU: 136
; AccumOffset: 136
; Occupancy: 3
; WaveLimiterHint : 1
; COMPUTE_PGM_RSRC2:SCRATCH_EN: 0
; COMPUTE_PGM_RSRC2:USER_SGPR: 6
; COMPUTE_PGM_RSRC2:TRAP_HANDLER: 0
; COMPUTE_PGM_RSRC2:TGID_X_EN: 1
; COMPUTE_PGM_RSRC2:TGID_Y_EN: 1
; COMPUTE_PGM_RSRC2:TGID_Z_EN: 1
; COMPUTE_PGM_RSRC2:TIDIG_COMP_CNT: 1
; COMPUTE_PGM_RSRC3_GFX90A:ACCUM_OFFSET: 33
; COMPUTE_PGM_RSRC3_GFX90A:TG_SPLIT: 0
	.section	.text._ZN12_GLOBAL__N_127rocblas_gemm_batched_kernelI19rocblas_complex_numIdELi16ELi16ELi64ELi64ELi4ELi64ELi4ELi4ELi64ELc84ELc84EKS2_S3_S2_EEvlllT_PT11_llS6_llS4_PT12_llPT13_lli,"axG",@progbits,_ZN12_GLOBAL__N_127rocblas_gemm_batched_kernelI19rocblas_complex_numIdELi16ELi16ELi64ELi64ELi4ELi64ELi4ELi4ELi64ELc84ELc84EKS2_S3_S2_EEvlllT_PT11_llS6_llS4_PT12_llPT13_lli,comdat
	.globl	_ZN12_GLOBAL__N_127rocblas_gemm_batched_kernelI19rocblas_complex_numIdELi16ELi16ELi64ELi64ELi4ELi64ELi4ELi4ELi64ELc84ELc84EKS2_S3_S2_EEvlllT_PT11_llS6_llS4_PT12_llPT13_lli ; -- Begin function _ZN12_GLOBAL__N_127rocblas_gemm_batched_kernelI19rocblas_complex_numIdELi16ELi16ELi64ELi64ELi4ELi64ELi4ELi4ELi64ELc84ELc84EKS2_S3_S2_EEvlllT_PT11_llS6_llS4_PT12_llPT13_lli
	.p2align	8
	.type	_ZN12_GLOBAL__N_127rocblas_gemm_batched_kernelI19rocblas_complex_numIdELi16ELi16ELi64ELi64ELi4ELi64ELi4ELi4ELi64ELc84ELc84EKS2_S3_S2_EEvlllT_PT11_llS6_llS4_PT12_llPT13_lli,@function
_ZN12_GLOBAL__N_127rocblas_gemm_batched_kernelI19rocblas_complex_numIdELi16ELi16ELi64ELi64ELi4ELi64ELi4ELi4ELi64ELc84ELc84EKS2_S3_S2_EEvlllT_PT11_llS6_llS4_PT12_llPT13_lli: ; @_ZN12_GLOBAL__N_127rocblas_gemm_batched_kernelI19rocblas_complex_numIdELi16ELi16ELi64ELi64ELi4ELi64ELi4ELi4ELi64ELc84ELc84EKS2_S3_S2_EEvlllT_PT11_llS6_llS4_PT12_llPT13_lli
; %bb.0:
	s_load_dwordx16 s[36:51], s[4:5], 0x10
	s_load_dwordx16 s[12:27], s[4:5], 0x50
	s_mov_b32 s2, s7
	s_ashr_i32 s7, s6, 31
	s_ashr_i32 s3, s2, 31
	s_waitcnt lgkmcnt(0)
	v_cmp_lt_i64_e64 s[10:11], s[36:37], 1
	v_bfe_u32 v101, v0, 10, 10
	v_and_b32_e32 v100, 0x3ff, v0
	s_lshl_b64 s[0:1], s[6:7], 6
	s_lshl_b64 s[2:3], s[2:3], 6
	s_mov_b64 s[6:7], 0
	s_and_b64 vcc, exec, s[10:11]
	s_cbranch_vccnz .LBB121_3
; %bb.1:
	v_lshl_add_u32 v4, v101, 4, v100
	v_lshrrev_b32_e32 v5, 2, v4
	v_mov_b32_e32 v1, s3
	v_add_co_u32_e32 v0, vcc, s2, v5
	v_addc_co_u32_e32 v1, vcc, 0, v1, vcc
	v_and_b32_e32 v6, 3, v100
	v_mad_u64_u32 v[0:1], s[10:11], v6, s50, v[0:1]
	v_mov_b32_e32 v2, v1
	v_mad_u64_u32 v[2:3], s[10:11], v6, s51, v[2:3]
	v_mov_b32_e32 v1, v2
	v_and_b32_e32 v2, 63, v4
	v_lshrrev_b32_e32 v4, 6, v4
	v_lshlrev_b32_e32 v3, 4, v2
	v_lshl_or_b32 v102, v4, 10, v3
	v_lshlrev_b32_e32 v3, 4, v6
	v_lshl_or_b32 v3, v5, 6, v3
	v_add_u32_e32 v103, 0x1000, v3
	v_mov_b32_e32 v3, 0x1000
	v_lshl_add_u32 v105, v101, 6, v3
	v_mov_b32_e32 v3, s1
	v_add_co_u32_e32 v2, vcc, s0, v2
	v_addc_co_u32_e32 v3, vcc, 0, v3, vcc
	v_mul_lo_u32 v5, s45, v2
	v_mul_lo_u32 v6, s44, v3
	v_mad_u64_u32 v[2:3], s[10:11], s44, v2, 0
	s_mul_i32 s9, s47, s8
	s_mul_hi_u32 s10, s46, s8
	v_add3_u32 v3, v3, v6, v5
	s_add_i32 s11, s10, s9
	s_mul_i32 s10, s46, s8
	v_lshlrev_b64 v[2:3], 4, v[2:3]
	s_lshl_b64 s[10:11], s[10:11], 4
	v_mov_b32_e32 v5, s11
	v_add_co_u32_e32 v2, vcc, s10, v2
	v_addc_co_u32_e32 v3, vcc, v3, v5, vcc
	v_lshlrev_b32_e32 v4, 4, v4
	s_mul_i32 s9, s13, s8
	s_mul_hi_u32 s10, s12, s8
	v_add_co_u32_e32 v2, vcc, v2, v4
	s_add_i32 s11, s10, s9
	s_mul_i32 s10, s12, s8
	v_addc_co_u32_e32 v3, vcc, 0, v3, vcc
	s_lshl_b64 s[10:11], s[10:11], 4
	v_mov_b32_e32 v4, s43
	v_add_co_u32_e32 v24, vcc, s42, v2
	s_add_u32 s9, s48, s10
	v_addc_co_u32_e32 v25, vcc, v4, v3, vcc
	v_lshlrev_b64 v[0:1], 4, v[0:1]
	s_addc_u32 s10, s49, s11
	v_mov_b32_e32 v2, s10
	v_add_co_u32_e32 v26, vcc, s9, v0
	s_lshl_b64 s[10:11], s[50:51], 6
	v_lshlrev_b32_e32 v104, 4, v100
	v_addc_co_u32_e32 v27, vcc, v2, v1, vcc
	v_pk_mov_b32 v[8:9], 0, 0
	v_mov_b32_e32 v106, s11
	v_pk_mov_b32 v[28:29], s[36:37], s[36:37] op_sel:[0,1]
	v_pk_mov_b32 v[10:11], 0, 0
	v_pk_mov_b32 v[14:15], 0, 0
	;; [unrolled: 1-line block ×31, first 2 shown]
.LBB121_2:                              ; =>This Inner Loop Header: Depth=1
	global_load_dwordx4 v[0:3], v[24:25], off
	v_add_co_u32_e32 v24, vcc, 64, v24
	v_addc_co_u32_e32 v25, vcc, 0, v25, vcc
	s_add_u32 s6, s6, 4
	s_addc_u32 s7, s7, 0
	s_waitcnt vmcnt(0)
	ds_write2_b64 v102, v[0:1], v[2:3] offset1:1
	global_load_dwordx4 v[0:3], v[26:27], off
	v_add_co_u32_e32 v26, vcc, s10, v26
	v_addc_co_u32_e32 v27, vcc, v27, v106, vcc
	v_cmp_lt_i64_e32 vcc, s[6:7], v[28:29]
	s_and_b64 vcc, exec, vcc
	s_waitcnt vmcnt(0)
	ds_write2_b64 v103, v[0:1], v[2:3] offset1:1
	s_waitcnt lgkmcnt(0)
	s_barrier
	ds_read_b128 v[78:81], v105
	ds_read_b128 v[108:111], v105 offset:16
	ds_read_b128 v[4:7], v105 offset:32
	;; [unrolled: 1-line block ×3, first 2 shown]
	ds_read_b128 v[112:115], v104
	ds_read_b128 v[116:119], v104 offset:256
	s_waitcnt lgkmcnt(1)
	v_mul_f64 v[82:83], v[80:81], v[114:115]
	v_mul_f64 v[84:85], v[78:79], v[114:115]
	v_fma_f64 v[82:83], v[78:79], v[112:113], -v[82:83]
	v_fmac_f64_e32 v[84:85], v[80:81], v[112:113]
	v_add_f64 v[120:121], v[60:61], v[82:83]
	v_add_f64 v[122:123], v[64:65], v[84:85]
	s_waitcnt lgkmcnt(0)
	v_mul_f64 v[60:61], v[80:81], v[118:119]
	v_mul_f64 v[64:65], v[78:79], v[118:119]
	v_fma_f64 v[60:61], v[78:79], v[116:117], -v[60:61]
	v_fmac_f64_e32 v[64:65], v[80:81], v[116:117]
	v_add_f64 v[124:125], v[38:39], v[60:61]
	v_add_f64 v[126:127], v[40:41], v[64:65]
	ds_read_b128 v[38:41], v104 offset:512
	s_waitcnt lgkmcnt(0)
	v_mul_f64 v[60:61], v[80:81], v[40:41]
	v_mul_f64 v[64:65], v[78:79], v[40:41]
	v_fma_f64 v[60:61], v[78:79], v[38:39], -v[60:61]
	v_fmac_f64_e32 v[64:65], v[80:81], v[38:39]
	v_add_f64 v[128:129], v[30:31], v[60:61]
	v_add_f64 v[130:131], v[32:33], v[64:65]
	ds_read_b128 v[30:33], v104 offset:768
	;; [unrolled: 8-line block ×3, first 2 shown]
	s_waitcnt lgkmcnt(0)
	v_mul_f64 v[60:61], v[22:23], v[114:115]
	v_fma_f64 v[60:61], v[20:21], v[112:113], -v[60:61]
	v_mul_f64 v[78:79], v[20:21], v[114:115]
	v_add_f64 v[64:65], v[70:71], v[60:61]
	v_mul_f64 v[60:61], v[22:23], v[118:119]
	v_fmac_f64_e32 v[78:79], v[22:23], v[112:113]
	v_fma_f64 v[60:61], v[20:21], v[116:117], -v[60:61]
	v_add_f64 v[70:71], v[72:73], v[78:79]
	v_mul_f64 v[72:73], v[20:21], v[118:119]
	v_add_f64 v[66:67], v[66:67], v[60:61]
	v_mul_f64 v[60:61], v[22:23], v[40:41]
	v_fmac_f64_e32 v[72:73], v[22:23], v[116:117]
	v_fma_f64 v[60:61], v[20:21], v[38:39], -v[60:61]
	v_add_f64 v[68:69], v[68:69], v[72:73]
	v_add_f64 v[72:73], v[54:55], v[60:61]
	v_mul_f64 v[54:55], v[22:23], v[32:33]
	v_mul_f64 v[78:79], v[20:21], v[40:41]
	v_fma_f64 v[54:55], v[20:21], v[30:31], -v[54:55]
	v_mul_f64 v[20:21], v[20:21], v[32:33]
	v_fmac_f64_e32 v[20:21], v[22:23], v[30:31]
	v_fmac_f64_e32 v[78:79], v[22:23], v[38:39]
	v_add_f64 v[98:99], v[48:49], v[20:21]
	ds_read_b128 v[20:23], v105 offset:2048
	v_add_f64 v[96:97], v[46:47], v[54:55]
	v_add_f64 v[94:95], v[56:57], v[78:79]
	s_waitcnt lgkmcnt(0)
	v_mul_f64 v[46:47], v[22:23], v[114:115]
	v_fma_f64 v[46:47], v[20:21], v[112:113], -v[46:47]
	v_add_f64 v[78:79], v[58:59], v[46:47]
	v_mul_f64 v[46:47], v[22:23], v[118:119]
	v_mul_f64 v[48:49], v[20:21], v[114:115]
	v_fma_f64 v[46:47], v[20:21], v[116:117], -v[46:47]
	v_fmac_f64_e32 v[48:49], v[22:23], v[112:113]
	v_add_f64 v[82:83], v[50:51], v[46:47]
	v_mul_f64 v[46:47], v[22:23], v[40:41]
	v_add_f64 v[80:81], v[62:63], v[48:49]
	v_mul_f64 v[48:49], v[20:21], v[118:119]
	v_fma_f64 v[46:47], v[20:21], v[38:39], -v[46:47]
	v_fmac_f64_e32 v[48:49], v[22:23], v[116:117]
	v_add_f64 v[86:87], v[42:43], v[46:47]
	v_mul_f64 v[42:43], v[22:23], v[32:33]
	v_add_f64 v[84:85], v[52:53], v[48:49]
	v_mul_f64 v[48:49], v[20:21], v[40:41]
	v_fma_f64 v[42:43], v[20:21], v[30:31], -v[42:43]
	v_mul_f64 v[20:21], v[20:21], v[32:33]
	v_fmac_f64_e32 v[20:21], v[22:23], v[30:31]
	v_fmac_f64_e32 v[48:49], v[22:23], v[38:39]
	v_add_f64 v[92:93], v[36:37], v[20:21]
	ds_read_b128 v[20:23], v105 offset:3072
	v_add_f64 v[90:91], v[34:35], v[42:43]
	v_add_f64 v[88:89], v[44:45], v[48:49]
	s_waitcnt lgkmcnt(0)
	v_mul_f64 v[34:35], v[22:23], v[114:115]
	v_mul_f64 v[36:37], v[20:21], v[114:115]
	v_fma_f64 v[34:35], v[20:21], v[112:113], -v[34:35]
	v_fmac_f64_e32 v[36:37], v[22:23], v[112:113]
	v_add_f64 v[58:59], v[74:75], v[34:35]
	v_add_f64 v[60:61], v[76:77], v[36:37]
	v_mul_f64 v[34:35], v[22:23], v[118:119]
	v_mul_f64 v[36:37], v[20:21], v[118:119]
	v_fma_f64 v[34:35], v[20:21], v[116:117], -v[34:35]
	v_fmac_f64_e32 v[36:37], v[22:23], v[116:117]
	v_add_f64 v[54:55], v[16:17], v[34:35]
	v_add_f64 v[56:57], v[18:19], v[36:37]
	v_mul_f64 v[16:17], v[22:23], v[40:41]
	v_mul_f64 v[18:19], v[20:21], v[40:41]
	v_fma_f64 v[16:17], v[20:21], v[38:39], -v[16:17]
	v_fmac_f64_e32 v[18:19], v[22:23], v[38:39]
	v_add_f64 v[50:51], v[12:13], v[16:17]
	v_add_f64 v[52:53], v[14:15], v[18:19]
	v_mul_f64 v[12:13], v[22:23], v[32:33]
	v_mul_f64 v[14:15], v[20:21], v[32:33]
	v_fma_f64 v[12:13], v[20:21], v[30:31], -v[12:13]
	v_fmac_f64_e32 v[14:15], v[22:23], v[30:31]
	ds_read_b128 v[20:23], v104 offset:1024
	ds_read_b128 v[16:19], v104 offset:1280
	v_add_f64 v[46:47], v[10:11], v[12:13]
	v_add_f64 v[48:49], v[8:9], v[14:15]
	ds_read_b128 v[12:15], v104 offset:1536
	ds_read_b128 v[74:77], v105 offset:1040
	s_waitcnt lgkmcnt(3)
	v_mul_f64 v[8:9], v[110:111], v[22:23]
	v_mul_f64 v[10:11], v[108:109], v[22:23]
	v_fma_f64 v[8:9], v[108:109], v[20:21], -v[8:9]
	v_fmac_f64_e32 v[10:11], v[110:111], v[20:21]
	v_add_f64 v[42:43], v[120:121], v[8:9]
	v_add_f64 v[44:45], v[122:123], v[10:11]
	s_waitcnt lgkmcnt(2)
	v_mul_f64 v[8:9], v[110:111], v[18:19]
	v_mul_f64 v[10:11], v[108:109], v[18:19]
	v_fma_f64 v[8:9], v[108:109], v[16:17], -v[8:9]
	v_fmac_f64_e32 v[10:11], v[110:111], v[16:17]
	v_add_f64 v[38:39], v[124:125], v[8:9]
	v_add_f64 v[40:41], v[126:127], v[10:11]
	;; [unrolled: 7-line block ×3, first 2 shown]
	ds_read_b128 v[8:11], v104 offset:1792
	s_waitcnt lgkmcnt(1)
	v_mul_f64 v[62:63], v[76:77], v[22:23]
	v_fma_f64 v[62:63], v[74:75], v[20:21], -v[62:63]
	v_add_f64 v[62:63], v[64:65], v[62:63]
	s_waitcnt lgkmcnt(0)
	v_mul_f64 v[30:31], v[110:111], v[10:11]
	v_fma_f64 v[30:31], v[108:109], v[8:9], -v[30:31]
	v_mul_f64 v[32:33], v[108:109], v[10:11]
	v_mul_f64 v[108:109], v[74:75], v[22:23]
	v_fmac_f64_e32 v[108:109], v[76:77], v[20:21]
	v_add_f64 v[64:65], v[70:71], v[108:109]
	v_mul_f64 v[70:71], v[76:77], v[18:19]
	v_mul_f64 v[108:109], v[74:75], v[18:19]
	v_fma_f64 v[70:71], v[74:75], v[16:17], -v[70:71]
	v_fmac_f64_e32 v[108:109], v[76:77], v[16:17]
	v_add_f64 v[66:67], v[66:67], v[70:71]
	v_add_f64 v[68:69], v[68:69], v[108:109]
	v_mul_f64 v[70:71], v[76:77], v[14:15]
	v_mul_f64 v[108:109], v[74:75], v[14:15]
	v_fma_f64 v[70:71], v[74:75], v[12:13], -v[70:71]
	v_fmac_f64_e32 v[108:109], v[76:77], v[12:13]
	v_add_f64 v[70:71], v[72:73], v[70:71]
	v_add_f64 v[72:73], v[94:95], v[108:109]
	v_mul_f64 v[94:95], v[76:77], v[10:11]
	v_fma_f64 v[94:95], v[74:75], v[8:9], -v[94:95]
	v_mul_f64 v[108:109], v[74:75], v[10:11]
	v_add_f64 v[74:75], v[96:97], v[94:95]
	ds_read_b128 v[94:97], v105 offset:2064
	v_fmac_f64_e32 v[108:109], v[76:77], v[8:9]
	v_add_f64 v[76:77], v[98:99], v[108:109]
	v_fmac_f64_e32 v[32:33], v[110:111], v[8:9]
	v_add_f64 v[32:33], v[134:135], v[32:33]
	s_waitcnt lgkmcnt(0)
	v_mul_f64 v[98:99], v[96:97], v[22:23]
	v_mul_f64 v[108:109], v[94:95], v[22:23]
	v_fma_f64 v[98:99], v[94:95], v[20:21], -v[98:99]
	v_fmac_f64_e32 v[108:109], v[96:97], v[20:21]
	v_add_f64 v[78:79], v[78:79], v[98:99]
	v_add_f64 v[80:81], v[80:81], v[108:109]
	v_mul_f64 v[98:99], v[96:97], v[18:19]
	v_mul_f64 v[108:109], v[94:95], v[18:19]
	v_fma_f64 v[98:99], v[94:95], v[16:17], -v[98:99]
	v_fmac_f64_e32 v[108:109], v[96:97], v[16:17]
	v_add_f64 v[82:83], v[82:83], v[98:99]
	v_add_f64 v[84:85], v[84:85], v[108:109]
	;; [unrolled: 6-line block ×4, first 2 shown]
	ds_read_b128 v[90:93], v105 offset:3088
	v_add_f64 v[30:31], v[132:133], v[30:31]
	s_waitcnt lgkmcnt(0)
	v_mul_f64 v[98:99], v[92:93], v[22:23]
	v_mul_f64 v[22:23], v[90:91], v[22:23]
	v_fma_f64 v[98:99], v[90:91], v[20:21], -v[98:99]
	v_fmac_f64_e32 v[22:23], v[92:93], v[20:21]
	v_mul_f64 v[20:21], v[92:93], v[18:19]
	v_mul_f64 v[18:19], v[90:91], v[18:19]
	v_fma_f64 v[20:21], v[90:91], v[16:17], -v[20:21]
	v_fmac_f64_e32 v[18:19], v[92:93], v[16:17]
	;; [unrolled: 4-line block ×3, first 2 shown]
	v_mul_f64 v[12:13], v[92:93], v[10:11]
	v_mul_f64 v[10:11], v[90:91], v[10:11]
	v_fmac_f64_e32 v[10:11], v[92:93], v[8:9]
	v_fma_f64 v[12:13], v[90:91], v[8:9], -v[12:13]
	v_add_f64 v[118:119], v[48:49], v[10:11]
	ds_read_b128 v[8:11], v104 offset:2048
	v_add_f64 v[114:115], v[52:53], v[14:15]
	v_add_f64 v[116:117], v[46:47], v[12:13]
	;; [unrolled: 1-line block ×4, first 2 shown]
	s_waitcnt lgkmcnt(0)
	v_mul_f64 v[12:13], v[6:7], v[10:11]
	v_mul_f64 v[14:15], v[4:5], v[10:11]
	v_fma_f64 v[12:13], v[4:5], v[8:9], -v[12:13]
	v_fmac_f64_e32 v[14:15], v[6:7], v[8:9]
	v_add_f64 v[120:121], v[42:43], v[12:13]
	v_add_f64 v[122:123], v[44:45], v[14:15]
	ds_read_b128 v[12:15], v104 offset:2304
	v_add_f64 v[60:61], v[60:61], v[22:23]
	v_add_f64 v[108:109], v[54:55], v[20:21]
	;; [unrolled: 1-line block ×3, first 2 shown]
	s_waitcnt lgkmcnt(0)
	v_mul_f64 v[16:17], v[6:7], v[14:15]
	v_mul_f64 v[18:19], v[4:5], v[14:15]
	v_fma_f64 v[16:17], v[4:5], v[12:13], -v[16:17]
	v_fmac_f64_e32 v[18:19], v[6:7], v[12:13]
	v_add_f64 v[38:39], v[38:39], v[16:17]
	v_add_f64 v[40:41], v[40:41], v[18:19]
	ds_read_b128 v[16:19], v104 offset:2560
	s_waitcnt lgkmcnt(0)
	v_mul_f64 v[20:21], v[6:7], v[18:19]
	v_mul_f64 v[22:23], v[4:5], v[18:19]
	v_fma_f64 v[20:21], v[4:5], v[16:17], -v[20:21]
	v_fmac_f64_e32 v[22:23], v[6:7], v[16:17]
	v_add_f64 v[124:125], v[34:35], v[20:21]
	v_add_f64 v[126:127], v[36:37], v[22:23]
	ds_read_b128 v[20:23], v104 offset:2816
	s_waitcnt lgkmcnt(0)
	v_mul_f64 v[34:35], v[6:7], v[22:23]
	v_fma_f64 v[34:35], v[4:5], v[20:21], -v[34:35]
	v_mul_f64 v[4:5], v[4:5], v[22:23]
	v_fmac_f64_e32 v[4:5], v[6:7], v[20:21]
	v_add_f64 v[130:131], v[32:33], v[4:5]
	ds_read_b128 v[4:7], v105 offset:1056
	v_add_f64 v[128:129], v[30:31], v[34:35]
	s_waitcnt lgkmcnt(0)
	v_mul_f64 v[30:31], v[6:7], v[10:11]
	v_fma_f64 v[30:31], v[4:5], v[8:9], -v[30:31]
	v_add_f64 v[46:47], v[62:63], v[30:31]
	v_mul_f64 v[30:31], v[6:7], v[14:15]
	v_mul_f64 v[32:33], v[4:5], v[10:11]
	v_fma_f64 v[30:31], v[4:5], v[12:13], -v[30:31]
	v_fmac_f64_e32 v[32:33], v[6:7], v[8:9]
	v_add_f64 v[50:51], v[66:67], v[30:31]
	v_mul_f64 v[30:31], v[6:7], v[18:19]
	v_add_f64 v[48:49], v[64:65], v[32:33]
	v_mul_f64 v[32:33], v[4:5], v[14:15]
	v_fma_f64 v[30:31], v[4:5], v[16:17], -v[30:31]
	v_fmac_f64_e32 v[32:33], v[6:7], v[12:13]
	v_add_f64 v[54:55], v[70:71], v[30:31]
	v_mul_f64 v[30:31], v[6:7], v[22:23]
	v_add_f64 v[52:53], v[68:69], v[32:33]
	v_mul_f64 v[32:33], v[4:5], v[18:19]
	v_fma_f64 v[30:31], v[4:5], v[20:21], -v[30:31]
	v_mul_f64 v[4:5], v[4:5], v[22:23]
	v_fmac_f64_e32 v[4:5], v[6:7], v[20:21]
	v_fmac_f64_e32 v[32:33], v[6:7], v[16:17]
	v_add_f64 v[62:63], v[76:77], v[4:5]
	ds_read_b128 v[4:7], v105 offset:2080
	v_add_f64 v[58:59], v[74:75], v[30:31]
	v_add_f64 v[56:57], v[72:73], v[32:33]
	s_waitcnt lgkmcnt(0)
	v_mul_f64 v[30:31], v[6:7], v[10:11]
	v_fma_f64 v[30:31], v[4:5], v[8:9], -v[30:31]
	v_add_f64 v[34:35], v[78:79], v[30:31]
	v_mul_f64 v[30:31], v[6:7], v[14:15]
	v_mul_f64 v[32:33], v[4:5], v[10:11]
	v_fma_f64 v[30:31], v[4:5], v[12:13], -v[30:31]
	v_fmac_f64_e32 v[32:33], v[6:7], v[8:9]
	v_add_f64 v[42:43], v[82:83], v[30:31]
	v_mul_f64 v[30:31], v[6:7], v[18:19]
	v_add_f64 v[36:37], v[80:81], v[32:33]
	v_mul_f64 v[32:33], v[4:5], v[14:15]
	v_fma_f64 v[30:31], v[4:5], v[16:17], -v[30:31]
	v_fmac_f64_e32 v[32:33], v[6:7], v[12:13]
	v_add_f64 v[90:91], v[86:87], v[30:31]
	v_mul_f64 v[30:31], v[6:7], v[22:23]
	v_add_f64 v[44:45], v[84:85], v[32:33]
	v_mul_f64 v[32:33], v[4:5], v[18:19]
	v_fma_f64 v[30:31], v[4:5], v[20:21], -v[30:31]
	v_mul_f64 v[4:5], v[4:5], v[22:23]
	v_fmac_f64_e32 v[4:5], v[6:7], v[20:21]
	v_fmac_f64_e32 v[32:33], v[6:7], v[16:17]
	v_add_f64 v[96:97], v[96:97], v[4:5]
	ds_read_b128 v[4:7], v105 offset:3104
	v_add_f64 v[94:95], v[94:95], v[30:31]
	v_add_f64 v[92:93], v[88:89], v[32:33]
	s_waitcnt lgkmcnt(0)
	v_mul_f64 v[30:31], v[6:7], v[10:11]
	v_mul_f64 v[10:11], v[4:5], v[10:11]
	v_fmac_f64_e32 v[10:11], v[6:7], v[8:9]
	v_fma_f64 v[30:31], v[4:5], v[8:9], -v[30:31]
	v_add_f64 v[76:77], v[60:61], v[10:11]
	v_mul_f64 v[8:9], v[6:7], v[14:15]
	v_mul_f64 v[10:11], v[4:5], v[14:15]
	v_fma_f64 v[8:9], v[4:5], v[12:13], -v[8:9]
	v_fmac_f64_e32 v[10:11], v[6:7], v[12:13]
	v_add_f64 v[86:87], v[108:109], v[8:9]
	v_add_f64 v[88:89], v[110:111], v[10:11]
	v_mul_f64 v[8:9], v[6:7], v[18:19]
	v_mul_f64 v[10:11], v[4:5], v[18:19]
	v_fma_f64 v[8:9], v[4:5], v[16:17], -v[8:9]
	v_fmac_f64_e32 v[10:11], v[6:7], v[16:17]
	ds_read_b128 v[16:19], v104 offset:3072
	ds_read_b128 v[12:15], v104 offset:3328
	v_add_f64 v[82:83], v[112:113], v[8:9]
	v_mul_f64 v[8:9], v[6:7], v[22:23]
	v_fma_f64 v[8:9], v[4:5], v[20:21], -v[8:9]
	v_mul_f64 v[4:5], v[4:5], v[22:23]
	v_add_f64 v[84:85], v[114:115], v[10:11]
	v_fmac_f64_e32 v[4:5], v[6:7], v[20:21]
	v_add_f64 v[78:79], v[116:117], v[8:9]
	ds_read_b128 v[8:11], v104 offset:3584
	v_add_f64 v[80:81], v[118:119], v[4:5]
	s_waitcnt lgkmcnt(2)
	v_mul_f64 v[4:5], v[2:3], v[18:19]
	v_mul_f64 v[6:7], v[0:1], v[18:19]
	v_fma_f64 v[4:5], v[0:1], v[16:17], -v[4:5]
	v_fmac_f64_e32 v[6:7], v[2:3], v[16:17]
	v_add_f64 v[60:61], v[120:121], v[4:5]
	v_add_f64 v[64:65], v[122:123], v[6:7]
	s_waitcnt lgkmcnt(1)
	v_mul_f64 v[4:5], v[2:3], v[14:15]
	v_mul_f64 v[6:7], v[0:1], v[14:15]
	v_fma_f64 v[4:5], v[0:1], v[12:13], -v[4:5]
	v_fmac_f64_e32 v[6:7], v[2:3], v[12:13]
	v_add_f64 v[38:39], v[38:39], v[4:5]
	;; [unrolled: 7-line block ×3, first 2 shown]
	v_add_f64 v[30:31], v[124:125], v[4:5]
	v_add_f64 v[32:33], v[126:127], v[6:7]
	ds_read_b128 v[4:7], v104 offset:3840
	s_waitcnt lgkmcnt(0)
	v_mul_f64 v[20:21], v[2:3], v[6:7]
	v_fma_f64 v[20:21], v[0:1], v[4:5], -v[20:21]
	v_mul_f64 v[0:1], v[0:1], v[6:7]
	v_fmac_f64_e32 v[0:1], v[2:3], v[4:5]
	v_add_f64 v[22:23], v[130:131], v[0:1]
	ds_read_b128 v[0:3], v105 offset:1072
	v_add_f64 v[20:21], v[128:129], v[20:21]
	s_waitcnt lgkmcnt(0)
	v_mul_f64 v[66:67], v[2:3], v[18:19]
	v_fma_f64 v[66:67], v[0:1], v[16:17], -v[66:67]
	v_add_f64 v[70:71], v[46:47], v[66:67]
	v_mul_f64 v[46:47], v[2:3], v[14:15]
	v_mul_f64 v[68:69], v[0:1], v[18:19]
	v_fma_f64 v[46:47], v[0:1], v[12:13], -v[46:47]
	v_fmac_f64_e32 v[68:69], v[2:3], v[16:17]
	v_add_f64 v[66:67], v[50:51], v[46:47]
	v_mul_f64 v[46:47], v[2:3], v[10:11]
	v_add_f64 v[72:73], v[48:49], v[68:69]
	v_mul_f64 v[48:49], v[0:1], v[14:15]
	v_fma_f64 v[46:47], v[0:1], v[8:9], -v[46:47]
	v_fmac_f64_e32 v[48:49], v[2:3], v[12:13]
	v_add_f64 v[54:55], v[54:55], v[46:47]
	v_mul_f64 v[46:47], v[2:3], v[6:7]
	v_add_f64 v[68:69], v[52:53], v[48:49]
	v_mul_f64 v[48:49], v[0:1], v[10:11]
	v_fma_f64 v[46:47], v[0:1], v[4:5], -v[46:47]
	v_mul_f64 v[0:1], v[0:1], v[6:7]
	v_fmac_f64_e32 v[48:49], v[2:3], v[8:9]
	v_fmac_f64_e32 v[0:1], v[2:3], v[4:5]
	v_add_f64 v[56:57], v[56:57], v[48:49]
	v_add_f64 v[48:49], v[62:63], v[0:1]
	ds_read_b128 v[0:3], v105 offset:2096
	v_add_f64 v[46:47], v[58:59], v[46:47]
	s_waitcnt lgkmcnt(0)
	v_mul_f64 v[50:51], v[2:3], v[18:19]
	v_fma_f64 v[50:51], v[0:1], v[16:17], -v[50:51]
	v_add_f64 v[58:59], v[34:35], v[50:51]
	v_mul_f64 v[34:35], v[2:3], v[14:15]
	v_mul_f64 v[52:53], v[0:1], v[18:19]
	v_fma_f64 v[34:35], v[0:1], v[12:13], -v[34:35]
	v_fmac_f64_e32 v[52:53], v[2:3], v[16:17]
	v_add_f64 v[50:51], v[42:43], v[34:35]
	v_mul_f64 v[34:35], v[2:3], v[10:11]
	v_add_f64 v[62:63], v[36:37], v[52:53]
	v_mul_f64 v[36:37], v[0:1], v[14:15]
	v_fma_f64 v[34:35], v[0:1], v[8:9], -v[34:35]
	v_fmac_f64_e32 v[36:37], v[2:3], v[12:13]
	v_add_f64 v[42:43], v[90:91], v[34:35]
	v_mul_f64 v[34:35], v[2:3], v[6:7]
	v_add_f64 v[52:53], v[44:45], v[36:37]
	v_mul_f64 v[36:37], v[0:1], v[10:11]
	v_fma_f64 v[34:35], v[0:1], v[4:5], -v[34:35]
	v_mul_f64 v[0:1], v[0:1], v[6:7]
	v_fmac_f64_e32 v[36:37], v[2:3], v[8:9]
	v_fmac_f64_e32 v[0:1], v[2:3], v[4:5]
	v_add_f64 v[44:45], v[92:93], v[36:37]
	v_add_f64 v[36:37], v[96:97], v[0:1]
	ds_read_b128 v[0:3], v105 offset:3120
	v_add_f64 v[34:35], v[94:95], v[34:35]
	s_waitcnt lgkmcnt(0)
	s_barrier
	v_mul_f64 v[90:91], v[2:3], v[18:19]
	v_mul_f64 v[18:19], v[0:1], v[18:19]
	v_fma_f64 v[90:91], v[0:1], v[16:17], -v[90:91]
	v_fmac_f64_e32 v[18:19], v[2:3], v[16:17]
	v_mul_f64 v[16:17], v[2:3], v[14:15]
	v_mul_f64 v[14:15], v[0:1], v[14:15]
	v_fma_f64 v[16:17], v[0:1], v[12:13], -v[16:17]
	v_fmac_f64_e32 v[14:15], v[2:3], v[12:13]
	;; [unrolled: 4-line block ×3, first 2 shown]
	v_mul_f64 v[8:9], v[2:3], v[6:7]
	v_fma_f64 v[8:9], v[0:1], v[4:5], -v[8:9]
	v_mul_f64 v[0:1], v[0:1], v[6:7]
	v_fmac_f64_e32 v[0:1], v[2:3], v[4:5]
	v_add_f64 v[74:75], v[74:75], v[90:91]
	v_add_f64 v[76:77], v[76:77], v[18:19]
	;; [unrolled: 1-line block ×8, first 2 shown]
	s_cbranch_vccnz .LBB121_2
	s_branch .LBB121_4
.LBB121_3:
	v_pk_mov_b32 v[60:61], 0, 0
	v_pk_mov_b32 v[64:65], 0, 0
	;; [unrolled: 1-line block ×32, first 2 shown]
.LBB121_4:
	s_load_dwordx2 s[4:5], s[4:5], 0x90
	v_mov_b32_e32 v0, s3
	v_add_co_u32_e32 v6, vcc, s2, v101
	v_addc_co_u32_e32 v7, vcc, 0, v0, vcc
	s_waitcnt lgkmcnt(0)
	s_mul_i32 s3, s8, s5
	s_mul_hi_u32 s5, s8, s4
	s_mul_i32 s4, s8, s4
	s_add_i32 s5, s5, s3
	s_lshl_b64 s[4:5], s[4:5], 4
	s_add_u32 s4, s24, s4
	v_cmp_neq_f64_e64 s[6:7], s[14:15], 0
	v_cmp_neq_f64_e64 s[10:11], s[16:17], 0
	v_mov_b32_e32 v1, s1
	v_add_co_u32_e32 v0, vcc, s0, v100
	s_addc_u32 s5, s25, s5
	s_or_b64 s[6:7], s[6:7], s[10:11]
	v_addc_co_u32_e32 v1, vcc, 0, v1, vcc
	s_mov_b64 s[2:3], 0
	s_and_b64 vcc, exec, s[6:7]
	s_cbranch_vccnz .LBB121_6
; %bb.5:
	v_mul_lo_u32 v4, v7, s26
	v_mul_lo_u32 v5, v6, s27
	v_mad_u64_u32 v[2:3], s[0:1], v6, s26, 0
	v_add3_u32 v3, v3, v5, v4
	v_lshlrev_b64 v[2:3], 4, v[2:3]
	v_mov_b32_e32 v4, s5
	v_add_co_u32_e32 v26, vcc, s4, v2
	v_addc_co_u32_e32 v27, vcc, v4, v3, vcc
	v_lshlrev_b64 v[24:25], 4, v[0:1]
	v_mul_f64 v[2:3], s[40:41], v[64:65]
	v_mul_f64 v[4:5], s[38:39], v[64:65]
	v_add_co_u32_e32 v24, vcc, v26, v24
	v_fma_f64 v[2:3], s[38:39], v[60:61], -v[2:3]
	v_fmac_f64_e32 v[4:5], s[40:41], v[60:61]
	v_addc_co_u32_e32 v25, vcc, v27, v25, vcc
	global_store_dwordx4 v[24:25], v[2:5], off
	s_lshl_b64 s[0:1], s[26:27], 8
	v_mul_f64 v[2:3], s[40:41], v[40:41]
	v_mul_f64 v[4:5], s[38:39], v[40:41]
	v_fma_f64 v[2:3], s[38:39], v[38:39], -v[2:3]
	v_fmac_f64_e32 v[4:5], s[40:41], v[38:39]
	global_store_dwordx4 v[24:25], v[2:5], off offset:256
	v_mov_b32_e32 v26, s1
	v_mul_f64 v[2:3], s[40:41], v[32:33]
	v_mul_f64 v[4:5], s[38:39], v[32:33]
	v_fma_f64 v[2:3], s[38:39], v[30:31], -v[2:3]
	v_fmac_f64_e32 v[4:5], s[40:41], v[30:31]
	global_store_dwordx4 v[24:25], v[2:5], off offset:512
	s_nop 0
	v_mul_f64 v[2:3], s[40:41], v[22:23]
	v_mul_f64 v[4:5], s[38:39], v[22:23]
	v_fma_f64 v[2:3], s[38:39], v[20:21], -v[2:3]
	v_fmac_f64_e32 v[4:5], s[40:41], v[20:21]
	global_store_dwordx4 v[24:25], v[2:5], off offset:768
	v_add_co_u32_e32 v24, vcc, s0, v24
	v_mul_f64 v[2:3], s[40:41], v[72:73]
	v_mul_f64 v[4:5], s[38:39], v[72:73]
	v_fma_f64 v[2:3], s[38:39], v[70:71], -v[2:3]
	v_fmac_f64_e32 v[4:5], s[40:41], v[70:71]
	v_addc_co_u32_e32 v25, vcc, v25, v26, vcc
	global_store_dwordx4 v[24:25], v[2:5], off
	s_nop 0
	v_mul_f64 v[2:3], s[40:41], v[68:69]
	v_mul_f64 v[4:5], s[38:39], v[68:69]
	v_fma_f64 v[2:3], s[38:39], v[66:67], -v[2:3]
	v_fmac_f64_e32 v[4:5], s[40:41], v[66:67]
	global_store_dwordx4 v[24:25], v[2:5], off offset:256
	s_nop 0
	v_mul_f64 v[2:3], s[40:41], v[56:57]
	v_mul_f64 v[4:5], s[38:39], v[56:57]
	v_fma_f64 v[2:3], s[38:39], v[54:55], -v[2:3]
	v_fmac_f64_e32 v[4:5], s[40:41], v[54:55]
	global_store_dwordx4 v[24:25], v[2:5], off offset:512
	s_nop 0
	v_mul_f64 v[2:3], s[40:41], v[48:49]
	v_mul_f64 v[4:5], s[38:39], v[48:49]
	v_fma_f64 v[2:3], s[38:39], v[46:47], -v[2:3]
	v_fmac_f64_e32 v[4:5], s[40:41], v[46:47]
	global_store_dwordx4 v[24:25], v[2:5], off offset:768
	v_add_co_u32_e32 v24, vcc, s0, v24
	v_mul_f64 v[2:3], s[40:41], v[62:63]
	v_mul_f64 v[4:5], s[38:39], v[62:63]
	v_fma_f64 v[2:3], s[38:39], v[58:59], -v[2:3]
	v_fmac_f64_e32 v[4:5], s[40:41], v[58:59]
	v_addc_co_u32_e32 v25, vcc, v25, v26, vcc
	global_store_dwordx4 v[24:25], v[2:5], off
	s_nop 0
	v_mul_f64 v[2:3], s[40:41], v[52:53]
	v_mul_f64 v[4:5], s[38:39], v[52:53]
	v_fma_f64 v[2:3], s[38:39], v[50:51], -v[2:3]
	v_fmac_f64_e32 v[4:5], s[40:41], v[50:51]
	global_store_dwordx4 v[24:25], v[2:5], off offset:256
	s_nop 0
	;; [unrolled: 25-line block ×3, first 2 shown]
	v_mul_f64 v[2:3], s[40:41], v[14:15]
	v_mul_f64 v[4:5], s[38:39], v[14:15]
	v_fma_f64 v[2:3], s[38:39], v[12:13], -v[2:3]
	v_fmac_f64_e32 v[4:5], s[40:41], v[12:13]
	global_store_dwordx4 v[24:25], v[2:5], off offset:512
	s_nop 0
	v_mul_f64 v[2:3], s[40:41], v[8:9]
	v_fma_f64 v[26:27], s[38:39], v[10:11], -v[2:3]
	v_mul_f64 v[4:5], s[38:39], v[8:9]
	v_add_co_u32_e32 v2, vcc, 0x300, v24
	v_fmac_f64_e32 v[4:5], s[40:41], v[10:11]
	v_addc_co_u32_e32 v3, vcc, 0, v25, vcc
	global_store_dwordx2 v[24:25], v[26:27], off offset:768
	s_andn2_b64 vcc, exec, s[2:3]
	s_cbranch_vccz .LBB121_7
	s_branch .LBB121_8
.LBB121_6:
                                        ; implicit-def: $vgpr4_vgpr5
                                        ; implicit-def: $vgpr2_vgpr3
.LBB121_7:
	s_mul_i32 s0, s8, s23
	s_mul_hi_u32 s1, s8, s22
	s_add_i32 s1, s1, s0
	s_mul_i32 s0, s8, s22
	s_lshl_b64 s[0:1], s[0:1], 4
	s_add_u32 s2, s18, s0
	s_addc_u32 s3, s19, s1
	v_mul_lo_u32 v4, v7, s20
	v_mul_lo_u32 v5, v6, s21
	v_mad_u64_u32 v[2:3], s[0:1], v6, s20, 0
	v_add3_u32 v3, v3, v5, v4
	v_lshlrev_b64 v[2:3], 4, v[2:3]
	v_mov_b32_e32 v4, s3
	v_add_co_u32_e32 v2, vcc, s2, v2
	v_addc_co_u32_e32 v3, vcc, v4, v3, vcc
	v_lshlrev_b64 v[4:5], 4, v[0:1]
	v_add_co_u32_e32 v24, vcc, v2, v4
	v_addc_co_u32_e32 v25, vcc, v3, v5, vcc
	global_load_dwordx4 v[0:3], v[24:25], off
	v_mul_lo_u32 v78, v7, s26
	v_mul_lo_u32 v79, v6, s27
	v_mad_u64_u32 v[6:7], s[0:1], v6, s26, 0
	v_add3_u32 v7, v7, v79, v78
	v_lshlrev_b64 v[6:7], 4, v[6:7]
	v_mov_b32_e32 v80, s5
	v_add_co_u32_e32 v6, vcc, s4, v6
	v_addc_co_u32_e32 v7, vcc, v80, v7, vcc
	v_add_co_u32_e32 v4, vcc, v6, v4
	v_mul_f64 v[26:27], s[40:41], v[64:65]
	v_mul_f64 v[28:29], s[38:39], v[64:65]
	v_addc_co_u32_e32 v5, vcc, v7, v5, vcc
	v_fma_f64 v[26:27], s[38:39], v[60:61], -v[26:27]
	v_fmac_f64_e32 v[28:29], s[40:41], v[60:61]
	s_lshl_b64 s[0:1], s[20:21], 8
	s_lshl_b64 s[2:3], s[26:27], 8
	s_waitcnt vmcnt(0)
	v_mul_f64 v[6:7], s[16:17], v[2:3]
	v_mul_f64 v[2:3], s[14:15], v[2:3]
	v_fma_f64 v[6:7], s[14:15], v[0:1], -v[6:7]
	v_fmac_f64_e32 v[2:3], s[16:17], v[0:1]
	v_add_f64 v[0:1], v[26:27], v[6:7]
	v_add_f64 v[2:3], v[28:29], v[2:3]
	global_store_dwordx4 v[4:5], v[0:3], off
	global_load_dwordx4 v[0:3], v[24:25], off offset:256
	v_mul_f64 v[6:7], s[40:41], v[40:41]
	v_mul_f64 v[26:27], s[38:39], v[40:41]
	v_fma_f64 v[6:7], s[38:39], v[38:39], -v[6:7]
	v_fmac_f64_e32 v[26:27], s[40:41], v[38:39]
	s_waitcnt vmcnt(0)
	v_mul_f64 v[28:29], s[16:17], v[2:3]
	v_mul_f64 v[2:3], s[14:15], v[2:3]
	v_fma_f64 v[28:29], s[14:15], v[0:1], -v[28:29]
	v_fmac_f64_e32 v[2:3], s[16:17], v[0:1]
	v_add_f64 v[0:1], v[6:7], v[28:29]
	v_add_f64 v[2:3], v[26:27], v[2:3]
	global_store_dwordx4 v[4:5], v[0:3], off offset:256
	global_load_dwordx4 v[0:3], v[24:25], off offset:512
	v_mul_f64 v[6:7], s[40:41], v[32:33]
	v_mul_f64 v[26:27], s[38:39], v[32:33]
	v_fma_f64 v[6:7], s[38:39], v[30:31], -v[6:7]
	v_fmac_f64_e32 v[26:27], s[40:41], v[30:31]
	s_waitcnt vmcnt(0)
	v_mul_f64 v[28:29], s[16:17], v[2:3]
	v_mul_f64 v[2:3], s[14:15], v[2:3]
	v_fma_f64 v[28:29], s[14:15], v[0:1], -v[28:29]
	v_fmac_f64_e32 v[2:3], s[16:17], v[0:1]
	v_add_f64 v[0:1], v[6:7], v[28:29]
	v_add_f64 v[2:3], v[26:27], v[2:3]
	global_store_dwordx4 v[4:5], v[0:3], off offset:512
	global_load_dwordx4 v[0:3], v[24:25], off offset:768
	v_mul_f64 v[6:7], s[40:41], v[22:23]
	v_mul_f64 v[22:23], s[38:39], v[22:23]
	v_fma_f64 v[6:7], s[38:39], v[20:21], -v[6:7]
	v_fmac_f64_e32 v[22:23], s[40:41], v[20:21]
	v_mov_b32_e32 v26, s1
	v_add_co_u32_e32 v20, vcc, s0, v24
	v_addc_co_u32_e32 v21, vcc, v25, v26, vcc
	v_mov_b32_e32 v27, s3
	s_waitcnt vmcnt(0)
	v_mul_f64 v[24:25], s[16:17], v[2:3]
	v_mul_f64 v[2:3], s[14:15], v[2:3]
	v_fma_f64 v[24:25], s[14:15], v[0:1], -v[24:25]
	v_fmac_f64_e32 v[2:3], s[16:17], v[0:1]
	v_add_f64 v[0:1], v[6:7], v[24:25]
	v_add_f64 v[2:3], v[22:23], v[2:3]
	global_store_dwordx4 v[4:5], v[0:3], off offset:768
	global_load_dwordx4 v[0:3], v[20:21], off
	v_mul_f64 v[6:7], s[40:41], v[72:73]
	v_mul_f64 v[22:23], s[38:39], v[72:73]
	v_fma_f64 v[6:7], s[38:39], v[70:71], -v[6:7]
	v_fmac_f64_e32 v[22:23], s[40:41], v[70:71]
	v_add_co_u32_e32 v4, vcc, s2, v4
	v_addc_co_u32_e32 v5, vcc, v5, v27, vcc
	s_waitcnt vmcnt(0)
	v_mul_f64 v[24:25], s[16:17], v[2:3]
	v_mul_f64 v[2:3], s[14:15], v[2:3]
	v_fma_f64 v[24:25], s[14:15], v[0:1], -v[24:25]
	v_fmac_f64_e32 v[2:3], s[16:17], v[0:1]
	v_add_f64 v[0:1], v[6:7], v[24:25]
	v_add_f64 v[2:3], v[22:23], v[2:3]
	global_store_dwordx4 v[4:5], v[0:3], off
	global_load_dwordx4 v[0:3], v[20:21], off offset:256
	v_mul_f64 v[6:7], s[40:41], v[68:69]
	v_mul_f64 v[22:23], s[38:39], v[68:69]
	v_fma_f64 v[6:7], s[38:39], v[66:67], -v[6:7]
	v_fmac_f64_e32 v[22:23], s[40:41], v[66:67]
	s_waitcnt vmcnt(0)
	v_mul_f64 v[24:25], s[16:17], v[2:3]
	v_mul_f64 v[2:3], s[14:15], v[2:3]
	v_fma_f64 v[24:25], s[14:15], v[0:1], -v[24:25]
	v_fmac_f64_e32 v[2:3], s[16:17], v[0:1]
	v_add_f64 v[0:1], v[6:7], v[24:25]
	v_add_f64 v[2:3], v[22:23], v[2:3]
	global_store_dwordx4 v[4:5], v[0:3], off offset:256
	global_load_dwordx4 v[0:3], v[20:21], off offset:512
	v_mul_f64 v[6:7], s[40:41], v[56:57]
	v_mul_f64 v[22:23], s[38:39], v[56:57]
	v_fma_f64 v[6:7], s[38:39], v[54:55], -v[6:7]
	v_fmac_f64_e32 v[22:23], s[40:41], v[54:55]
	s_waitcnt vmcnt(0)
	v_mul_f64 v[24:25], s[16:17], v[2:3]
	v_mul_f64 v[2:3], s[14:15], v[2:3]
	v_fma_f64 v[24:25], s[14:15], v[0:1], -v[24:25]
	v_fmac_f64_e32 v[2:3], s[16:17], v[0:1]
	v_add_f64 v[0:1], v[6:7], v[24:25]
	v_add_f64 v[2:3], v[22:23], v[2:3]
	global_store_dwordx4 v[4:5], v[0:3], off offset:512
	global_load_dwordx4 v[0:3], v[20:21], off offset:768
	v_mul_f64 v[6:7], s[40:41], v[48:49]
	v_mul_f64 v[22:23], s[38:39], v[48:49]
	v_fma_f64 v[6:7], s[38:39], v[46:47], -v[6:7]
	v_fmac_f64_e32 v[22:23], s[40:41], v[46:47]
	v_add_co_u32_e32 v20, vcc, s0, v20
	v_addc_co_u32_e32 v21, vcc, v21, v26, vcc
	s_waitcnt vmcnt(0)
	v_mul_f64 v[24:25], s[16:17], v[2:3]
	v_mul_f64 v[2:3], s[14:15], v[2:3]
	v_fma_f64 v[24:25], s[14:15], v[0:1], -v[24:25]
	v_fmac_f64_e32 v[2:3], s[16:17], v[0:1]
	v_add_f64 v[0:1], v[6:7], v[24:25]
	v_add_f64 v[2:3], v[22:23], v[2:3]
	global_store_dwordx4 v[4:5], v[0:3], off offset:768
	global_load_dwordx4 v[0:3], v[20:21], off
	v_mul_f64 v[6:7], s[40:41], v[62:63]
	v_mul_f64 v[22:23], s[38:39], v[62:63]
	v_fma_f64 v[6:7], s[38:39], v[58:59], -v[6:7]
	v_fmac_f64_e32 v[22:23], s[40:41], v[58:59]
	v_add_co_u32_e32 v4, vcc, s2, v4
	v_addc_co_u32_e32 v5, vcc, v5, v27, vcc
	s_waitcnt vmcnt(0)
	v_mul_f64 v[24:25], s[16:17], v[2:3]
	v_mul_f64 v[2:3], s[14:15], v[2:3]
	v_fma_f64 v[24:25], s[14:15], v[0:1], -v[24:25]
	v_fmac_f64_e32 v[2:3], s[16:17], v[0:1]
	v_add_f64 v[0:1], v[6:7], v[24:25]
	v_add_f64 v[2:3], v[22:23], v[2:3]
	global_store_dwordx4 v[4:5], v[0:3], off
	global_load_dwordx4 v[0:3], v[20:21], off offset:256
	v_mul_f64 v[6:7], s[40:41], v[52:53]
	v_mul_f64 v[22:23], s[38:39], v[52:53]
	v_fma_f64 v[6:7], s[38:39], v[50:51], -v[6:7]
	v_fmac_f64_e32 v[22:23], s[40:41], v[50:51]
	s_waitcnt vmcnt(0)
	v_mul_f64 v[24:25], s[16:17], v[2:3]
	v_mul_f64 v[2:3], s[14:15], v[2:3]
	v_fma_f64 v[24:25], s[14:15], v[0:1], -v[24:25]
	v_fmac_f64_e32 v[2:3], s[16:17], v[0:1]
	v_add_f64 v[0:1], v[6:7], v[24:25]
	v_add_f64 v[2:3], v[22:23], v[2:3]
	global_store_dwordx4 v[4:5], v[0:3], off offset:256
	global_load_dwordx4 v[0:3], v[20:21], off offset:512
	v_mul_f64 v[6:7], s[40:41], v[44:45]
	v_mul_f64 v[22:23], s[38:39], v[44:45]
	v_fma_f64 v[6:7], s[38:39], v[42:43], -v[6:7]
	v_fmac_f64_e32 v[22:23], s[40:41], v[42:43]
	s_waitcnt vmcnt(0)
	v_mul_f64 v[24:25], s[16:17], v[2:3]
	v_mul_f64 v[2:3], s[14:15], v[2:3]
	v_fma_f64 v[24:25], s[14:15], v[0:1], -v[24:25]
	v_fmac_f64_e32 v[2:3], s[16:17], v[0:1]
	v_add_f64 v[0:1], v[6:7], v[24:25]
	v_add_f64 v[2:3], v[22:23], v[2:3]
	global_store_dwordx4 v[4:5], v[0:3], off offset:512
	global_load_dwordx4 v[0:3], v[20:21], off offset:768
	v_mul_f64 v[6:7], s[40:41], v[36:37]
	v_mul_f64 v[22:23], s[38:39], v[36:37]
	v_fma_f64 v[6:7], s[38:39], v[34:35], -v[6:7]
	v_fmac_f64_e32 v[22:23], s[40:41], v[34:35]
	v_add_co_u32_e32 v20, vcc, s0, v20
	v_addc_co_u32_e32 v21, vcc, v21, v26, vcc
	s_waitcnt vmcnt(0)
	v_mul_f64 v[24:25], s[16:17], v[2:3]
	v_mul_f64 v[2:3], s[14:15], v[2:3]
	v_fma_f64 v[24:25], s[14:15], v[0:1], -v[24:25]
	v_fmac_f64_e32 v[2:3], s[16:17], v[0:1]
	v_add_f64 v[0:1], v[6:7], v[24:25]
	v_add_f64 v[2:3], v[22:23], v[2:3]
	global_store_dwordx4 v[4:5], v[0:3], off offset:768
	global_load_dwordx4 v[0:3], v[20:21], off
	v_add_co_u32_e32 v24, vcc, s2, v4
	v_mul_f64 v[6:7], s[40:41], v[76:77]
	v_mul_f64 v[22:23], s[38:39], v[76:77]
	v_addc_co_u32_e32 v25, vcc, v5, v27, vcc
	v_fma_f64 v[6:7], s[38:39], v[74:75], -v[6:7]
	v_fmac_f64_e32 v[22:23], s[40:41], v[74:75]
	s_waitcnt vmcnt(0)
	v_mul_f64 v[4:5], s[16:17], v[2:3]
	v_mul_f64 v[2:3], s[14:15], v[2:3]
	v_fma_f64 v[4:5], s[14:15], v[0:1], -v[4:5]
	v_fmac_f64_e32 v[2:3], s[16:17], v[0:1]
	v_add_f64 v[0:1], v[6:7], v[4:5]
	v_add_f64 v[2:3], v[22:23], v[2:3]
	global_store_dwordx4 v[24:25], v[0:3], off
	global_load_dwordx4 v[0:3], v[20:21], off offset:256
	v_mul_f64 v[4:5], s[40:41], v[18:19]
	v_mul_f64 v[6:7], s[38:39], v[18:19]
	v_fma_f64 v[4:5], s[38:39], v[16:17], -v[4:5]
	v_fmac_f64_e32 v[6:7], s[40:41], v[16:17]
	s_waitcnt vmcnt(0)
	v_mul_f64 v[16:17], s[16:17], v[2:3]
	v_mul_f64 v[2:3], s[14:15], v[2:3]
	v_fma_f64 v[16:17], s[14:15], v[0:1], -v[16:17]
	v_fmac_f64_e32 v[2:3], s[16:17], v[0:1]
	v_add_f64 v[0:1], v[4:5], v[16:17]
	v_add_f64 v[2:3], v[6:7], v[2:3]
	global_store_dwordx4 v[24:25], v[0:3], off offset:256
	global_load_dwordx4 v[0:3], v[20:21], off offset:512
	v_mul_f64 v[4:5], s[40:41], v[14:15]
	v_mul_f64 v[6:7], s[38:39], v[14:15]
	v_fma_f64 v[4:5], s[38:39], v[12:13], -v[4:5]
	v_fmac_f64_e32 v[6:7], s[40:41], v[12:13]
	s_waitcnt vmcnt(0)
	v_mul_f64 v[12:13], s[16:17], v[2:3]
	v_mul_f64 v[2:3], s[14:15], v[2:3]
	v_fma_f64 v[12:13], s[14:15], v[0:1], -v[12:13]
	v_fmac_f64_e32 v[2:3], s[16:17], v[0:1]
	v_add_f64 v[0:1], v[4:5], v[12:13]
	v_add_f64 v[2:3], v[6:7], v[2:3]
	global_store_dwordx4 v[24:25], v[0:3], off offset:512
	global_load_dwordx4 v[4:7], v[20:21], off offset:768
	v_mul_f64 v[0:1], s[40:41], v[8:9]
	v_mul_f64 v[8:9], s[38:39], v[8:9]
	v_fma_f64 v[0:1], s[38:39], v[10:11], -v[0:1]
	v_fmac_f64_e32 v[8:9], s[40:41], v[10:11]
	v_add_co_u32_e32 v2, vcc, 0x300, v24
	v_addc_co_u32_e32 v3, vcc, 0, v25, vcc
	s_waitcnt vmcnt(0)
	v_mul_f64 v[10:11], s[16:17], v[6:7]
	v_mul_f64 v[6:7], s[14:15], v[6:7]
	v_fma_f64 v[10:11], s[14:15], v[4:5], -v[10:11]
	v_fmac_f64_e32 v[6:7], s[16:17], v[4:5]
	v_add_f64 v[0:1], v[0:1], v[10:11]
	v_add_f64 v[4:5], v[8:9], v[6:7]
	global_store_dwordx2 v[24:25], v[0:1], off offset:768
.LBB121_8:
	global_store_dwordx2 v[2:3], v[4:5], off offset:8
	s_endpgm
	.section	.rodata,"a",@progbits
	.p2align	6, 0x0
	.amdhsa_kernel _ZN12_GLOBAL__N_127rocblas_gemm_batched_kernelI19rocblas_complex_numIdELi16ELi16ELi64ELi64ELi4ELi64ELi4ELi4ELi64ELc84ELc84EKS2_S3_S2_EEvlllT_PT11_llS6_llS4_PT12_llPT13_lli
		.amdhsa_group_segment_fixed_size 8192
		.amdhsa_private_segment_fixed_size 0
		.amdhsa_kernarg_size 156
		.amdhsa_user_sgpr_count 6
		.amdhsa_user_sgpr_private_segment_buffer 1
		.amdhsa_user_sgpr_dispatch_ptr 0
		.amdhsa_user_sgpr_queue_ptr 0
		.amdhsa_user_sgpr_kernarg_segment_ptr 1
		.amdhsa_user_sgpr_dispatch_id 0
		.amdhsa_user_sgpr_flat_scratch_init 0
		.amdhsa_user_sgpr_kernarg_preload_length 0
		.amdhsa_user_sgpr_kernarg_preload_offset 0
		.amdhsa_user_sgpr_private_segment_size 0
		.amdhsa_uses_dynamic_stack 0
		.amdhsa_system_sgpr_private_segment_wavefront_offset 0
		.amdhsa_system_sgpr_workgroup_id_x 1
		.amdhsa_system_sgpr_workgroup_id_y 1
		.amdhsa_system_sgpr_workgroup_id_z 1
		.amdhsa_system_sgpr_workgroup_info 0
		.amdhsa_system_vgpr_workitem_id 1
		.amdhsa_next_free_vgpr 136
		.amdhsa_next_free_sgpr 52
		.amdhsa_accum_offset 136
		.amdhsa_reserve_vcc 1
		.amdhsa_reserve_flat_scratch 0
		.amdhsa_float_round_mode_32 0
		.amdhsa_float_round_mode_16_64 0
		.amdhsa_float_denorm_mode_32 3
		.amdhsa_float_denorm_mode_16_64 3
		.amdhsa_dx10_clamp 1
		.amdhsa_ieee_mode 1
		.amdhsa_fp16_overflow 0
		.amdhsa_tg_split 0
		.amdhsa_exception_fp_ieee_invalid_op 0
		.amdhsa_exception_fp_denorm_src 0
		.amdhsa_exception_fp_ieee_div_zero 0
		.amdhsa_exception_fp_ieee_overflow 0
		.amdhsa_exception_fp_ieee_underflow 0
		.amdhsa_exception_fp_ieee_inexact 0
		.amdhsa_exception_int_div_zero 0
	.end_amdhsa_kernel
	.section	.text._ZN12_GLOBAL__N_127rocblas_gemm_batched_kernelI19rocblas_complex_numIdELi16ELi16ELi64ELi64ELi4ELi64ELi4ELi4ELi64ELc84ELc84EKS2_S3_S2_EEvlllT_PT11_llS6_llS4_PT12_llPT13_lli,"axG",@progbits,_ZN12_GLOBAL__N_127rocblas_gemm_batched_kernelI19rocblas_complex_numIdELi16ELi16ELi64ELi64ELi4ELi64ELi4ELi4ELi64ELc84ELc84EKS2_S3_S2_EEvlllT_PT11_llS6_llS4_PT12_llPT13_lli,comdat
.Lfunc_end121:
	.size	_ZN12_GLOBAL__N_127rocblas_gemm_batched_kernelI19rocblas_complex_numIdELi16ELi16ELi64ELi64ELi4ELi64ELi4ELi4ELi64ELc84ELc84EKS2_S3_S2_EEvlllT_PT11_llS6_llS4_PT12_llPT13_lli, .Lfunc_end121-_ZN12_GLOBAL__N_127rocblas_gemm_batched_kernelI19rocblas_complex_numIdELi16ELi16ELi64ELi64ELi4ELi64ELi4ELi4ELi64ELc84ELc84EKS2_S3_S2_EEvlllT_PT11_llS6_llS4_PT12_llPT13_lli
                                        ; -- End function
	.section	.AMDGPU.csdata,"",@progbits
; Kernel info:
; codeLenInByte = 6700
; NumSgprs: 56
; NumVgprs: 136
; NumAgprs: 0
; TotalNumVgprs: 136
; ScratchSize: 0
; MemoryBound: 0
; FloatMode: 240
; IeeeMode: 1
; LDSByteSize: 8192 bytes/workgroup (compile time only)
; SGPRBlocks: 6
; VGPRBlocks: 16
; NumSGPRsForWavesPerEU: 56
; NumVGPRsForWavesPerEU: 136
; AccumOffset: 136
; Occupancy: 3
; WaveLimiterHint : 1
; COMPUTE_PGM_RSRC2:SCRATCH_EN: 0
; COMPUTE_PGM_RSRC2:USER_SGPR: 6
; COMPUTE_PGM_RSRC2:TRAP_HANDLER: 0
; COMPUTE_PGM_RSRC2:TGID_X_EN: 1
; COMPUTE_PGM_RSRC2:TGID_Y_EN: 1
; COMPUTE_PGM_RSRC2:TGID_Z_EN: 1
; COMPUTE_PGM_RSRC2:TIDIG_COMP_CNT: 1
; COMPUTE_PGM_RSRC3_GFX90A:ACCUM_OFFSET: 33
; COMPUTE_PGM_RSRC3_GFX90A:TG_SPLIT: 0
	.section	.text._ZN12_GLOBAL__N_127rocblas_gemm_batched_kernelI19rocblas_complex_numIdELi16ELi16ELi64ELi64ELi4ELi64ELi4ELi4ELi64ELc67ELc67EKS2_S3_S2_EEvlllT_PT11_llS6_llS4_PT12_llPT13_lli,"axG",@progbits,_ZN12_GLOBAL__N_127rocblas_gemm_batched_kernelI19rocblas_complex_numIdELi16ELi16ELi64ELi64ELi4ELi64ELi4ELi4ELi64ELc67ELc67EKS2_S3_S2_EEvlllT_PT11_llS6_llS4_PT12_llPT13_lli,comdat
	.globl	_ZN12_GLOBAL__N_127rocblas_gemm_batched_kernelI19rocblas_complex_numIdELi16ELi16ELi64ELi64ELi4ELi64ELi4ELi4ELi64ELc67ELc67EKS2_S3_S2_EEvlllT_PT11_llS6_llS4_PT12_llPT13_lli ; -- Begin function _ZN12_GLOBAL__N_127rocblas_gemm_batched_kernelI19rocblas_complex_numIdELi16ELi16ELi64ELi64ELi4ELi64ELi4ELi4ELi64ELc67ELc67EKS2_S3_S2_EEvlllT_PT11_llS6_llS4_PT12_llPT13_lli
	.p2align	8
	.type	_ZN12_GLOBAL__N_127rocblas_gemm_batched_kernelI19rocblas_complex_numIdELi16ELi16ELi64ELi64ELi4ELi64ELi4ELi4ELi64ELc67ELc67EKS2_S3_S2_EEvlllT_PT11_llS6_llS4_PT12_llPT13_lli,@function
_ZN12_GLOBAL__N_127rocblas_gemm_batched_kernelI19rocblas_complex_numIdELi16ELi16ELi64ELi64ELi4ELi64ELi4ELi4ELi64ELc67ELc67EKS2_S3_S2_EEvlllT_PT11_llS6_llS4_PT12_llPT13_lli: ; @_ZN12_GLOBAL__N_127rocblas_gemm_batched_kernelI19rocblas_complex_numIdELi16ELi16ELi64ELi64ELi4ELi64ELi4ELi4ELi64ELc67ELc67EKS2_S3_S2_EEvlllT_PT11_llS6_llS4_PT12_llPT13_lli
; %bb.0:
	s_load_dwordx16 s[36:51], s[4:5], 0x10
	s_load_dwordx16 s[12:27], s[4:5], 0x50
	s_mov_b32 s2, s7
	s_ashr_i32 s7, s6, 31
	s_ashr_i32 s3, s2, 31
	s_waitcnt lgkmcnt(0)
	v_cmp_lt_i64_e64 s[10:11], s[36:37], 1
	v_bfe_u32 v101, v0, 10, 10
	v_and_b32_e32 v100, 0x3ff, v0
	s_lshl_b64 s[0:1], s[6:7], 6
	s_lshl_b64 s[2:3], s[2:3], 6
	s_mov_b64 s[6:7], 0
	s_and_b64 vcc, exec, s[10:11]
	s_cbranch_vccnz .LBB122_3
; %bb.1:
	v_lshl_add_u32 v4, v101, 4, v100
	v_lshrrev_b32_e32 v5, 2, v4
	v_mov_b32_e32 v1, s3
	v_add_co_u32_e32 v0, vcc, s2, v5
	v_addc_co_u32_e32 v1, vcc, 0, v1, vcc
	v_and_b32_e32 v6, 3, v100
	v_mad_u64_u32 v[0:1], s[10:11], v6, s50, v[0:1]
	v_mov_b32_e32 v2, v1
	v_mad_u64_u32 v[2:3], s[10:11], v6, s51, v[2:3]
	v_mov_b32_e32 v1, v2
	v_and_b32_e32 v2, 63, v4
	v_lshrrev_b32_e32 v4, 6, v4
	v_lshlrev_b32_e32 v3, 4, v2
	v_lshl_or_b32 v102, v4, 10, v3
	v_lshlrev_b32_e32 v3, 4, v6
	v_lshl_or_b32 v3, v5, 6, v3
	v_add_u32_e32 v103, 0x1000, v3
	v_mov_b32_e32 v3, 0x1000
	v_lshl_add_u32 v105, v101, 6, v3
	v_mov_b32_e32 v3, s1
	v_add_co_u32_e32 v2, vcc, s0, v2
	v_addc_co_u32_e32 v3, vcc, 0, v3, vcc
	v_mul_lo_u32 v5, s45, v2
	v_mul_lo_u32 v6, s44, v3
	v_mad_u64_u32 v[2:3], s[10:11], s44, v2, 0
	s_mul_i32 s9, s47, s8
	s_mul_hi_u32 s10, s46, s8
	v_add3_u32 v3, v3, v6, v5
	s_add_i32 s11, s10, s9
	s_mul_i32 s10, s46, s8
	v_lshlrev_b64 v[2:3], 4, v[2:3]
	s_lshl_b64 s[10:11], s[10:11], 4
	v_mov_b32_e32 v5, s11
	v_add_co_u32_e32 v2, vcc, s10, v2
	v_addc_co_u32_e32 v3, vcc, v3, v5, vcc
	v_lshlrev_b32_e32 v4, 4, v4
	v_add_co_u32_e32 v2, vcc, v2, v4
	v_addc_co_u32_e32 v3, vcc, 0, v3, vcc
	s_mul_i32 s9, s13, s8
	s_mul_hi_u32 s10, s12, s8
	v_mov_b32_e32 v4, s43
	v_add_co_u32_e32 v2, vcc, s42, v2
	s_add_i32 s11, s10, s9
	s_mul_i32 s10, s12, s8
	v_addc_co_u32_e32 v3, vcc, v3, v4, vcc
	s_lshl_b64 s[10:11], s[10:11], 4
	v_add_co_u32_e32 v24, vcc, 8, v2
	s_add_u32 s9, s48, s10
	v_addc_co_u32_e32 v25, vcc, 0, v3, vcc
	v_lshlrev_b64 v[0:1], 4, v[0:1]
	s_addc_u32 s10, s49, s11
	v_mov_b32_e32 v2, s10
	v_add_co_u32_e32 v0, vcc, s9, v0
	v_addc_co_u32_e32 v1, vcc, v2, v1, vcc
	v_add_co_u32_e32 v26, vcc, 8, v0
	s_lshl_b64 s[10:11], s[50:51], 6
	v_lshlrev_b32_e32 v104, 4, v100
	v_addc_co_u32_e32 v27, vcc, 0, v1, vcc
	v_pk_mov_b32 v[8:9], 0, 0
	v_mov_b32_e32 v106, s11
	v_pk_mov_b32 v[28:29], s[36:37], s[36:37] op_sel:[0,1]
	v_pk_mov_b32 v[10:11], 0, 0
	v_pk_mov_b32 v[14:15], 0, 0
	;; [unrolled: 1-line block ×31, first 2 shown]
.LBB122_2:                              ; =>This Inner Loop Header: Depth=1
	global_load_dwordx4 v[0:3], v[24:25], off offset:-8
	v_add_co_u32_e32 v24, vcc, 64, v24
	v_addc_co_u32_e32 v25, vcc, 0, v25, vcc
	s_add_u32 s6, s6, 4
	s_addc_u32 s7, s7, 0
	s_waitcnt vmcnt(0)
	v_xor_b32_e32 v3, 0x80000000, v3
	ds_write_b128 v102, v[0:3]
	global_load_dwordx4 v[0:3], v[26:27], off offset:-8
	v_add_co_u32_e32 v26, vcc, s10, v26
	v_addc_co_u32_e32 v27, vcc, v27, v106, vcc
	v_cmp_lt_i64_e32 vcc, s[6:7], v[28:29]
	s_and_b64 vcc, exec, vcc
	s_waitcnt vmcnt(0)
	v_xor_b32_e32 v3, 0x80000000, v3
	ds_write_b128 v103, v[0:3]
	s_waitcnt lgkmcnt(0)
	s_barrier
	ds_read_b128 v[78:81], v105
	ds_read_b128 v[108:111], v105 offset:16
	ds_read_b128 v[4:7], v105 offset:32
	;; [unrolled: 1-line block ×3, first 2 shown]
	ds_read_b128 v[112:115], v104
	ds_read_b128 v[116:119], v104 offset:256
	s_waitcnt lgkmcnt(1)
	v_mul_f64 v[82:83], v[80:81], v[114:115]
	v_mul_f64 v[84:85], v[78:79], v[114:115]
	v_fma_f64 v[82:83], v[78:79], v[112:113], -v[82:83]
	v_fmac_f64_e32 v[84:85], v[80:81], v[112:113]
	v_add_f64 v[120:121], v[60:61], v[82:83]
	v_add_f64 v[122:123], v[64:65], v[84:85]
	s_waitcnt lgkmcnt(0)
	v_mul_f64 v[60:61], v[80:81], v[118:119]
	v_mul_f64 v[64:65], v[78:79], v[118:119]
	v_fma_f64 v[60:61], v[78:79], v[116:117], -v[60:61]
	v_fmac_f64_e32 v[64:65], v[80:81], v[116:117]
	v_add_f64 v[124:125], v[38:39], v[60:61]
	v_add_f64 v[126:127], v[40:41], v[64:65]
	ds_read_b128 v[38:41], v104 offset:512
	s_waitcnt lgkmcnt(0)
	v_mul_f64 v[60:61], v[80:81], v[40:41]
	v_mul_f64 v[64:65], v[78:79], v[40:41]
	v_fma_f64 v[60:61], v[78:79], v[38:39], -v[60:61]
	v_fmac_f64_e32 v[64:65], v[80:81], v[38:39]
	v_add_f64 v[128:129], v[30:31], v[60:61]
	v_add_f64 v[130:131], v[32:33], v[64:65]
	ds_read_b128 v[30:33], v104 offset:768
	;; [unrolled: 8-line block ×3, first 2 shown]
	s_waitcnt lgkmcnt(0)
	v_mul_f64 v[60:61], v[22:23], v[114:115]
	v_fma_f64 v[60:61], v[20:21], v[112:113], -v[60:61]
	v_mul_f64 v[78:79], v[20:21], v[114:115]
	v_add_f64 v[64:65], v[70:71], v[60:61]
	v_mul_f64 v[60:61], v[22:23], v[118:119]
	v_fmac_f64_e32 v[78:79], v[22:23], v[112:113]
	v_fma_f64 v[60:61], v[20:21], v[116:117], -v[60:61]
	v_add_f64 v[70:71], v[72:73], v[78:79]
	v_mul_f64 v[72:73], v[20:21], v[118:119]
	v_add_f64 v[66:67], v[66:67], v[60:61]
	v_mul_f64 v[60:61], v[22:23], v[40:41]
	v_fmac_f64_e32 v[72:73], v[22:23], v[116:117]
	v_fma_f64 v[60:61], v[20:21], v[38:39], -v[60:61]
	v_add_f64 v[68:69], v[68:69], v[72:73]
	v_add_f64 v[72:73], v[54:55], v[60:61]
	v_mul_f64 v[54:55], v[22:23], v[32:33]
	v_mul_f64 v[78:79], v[20:21], v[40:41]
	v_fma_f64 v[54:55], v[20:21], v[30:31], -v[54:55]
	v_mul_f64 v[20:21], v[20:21], v[32:33]
	v_fmac_f64_e32 v[20:21], v[22:23], v[30:31]
	v_fmac_f64_e32 v[78:79], v[22:23], v[38:39]
	v_add_f64 v[98:99], v[48:49], v[20:21]
	ds_read_b128 v[20:23], v105 offset:2048
	v_add_f64 v[96:97], v[46:47], v[54:55]
	v_add_f64 v[94:95], v[56:57], v[78:79]
	s_waitcnt lgkmcnt(0)
	v_mul_f64 v[46:47], v[22:23], v[114:115]
	v_fma_f64 v[46:47], v[20:21], v[112:113], -v[46:47]
	v_add_f64 v[78:79], v[58:59], v[46:47]
	v_mul_f64 v[46:47], v[22:23], v[118:119]
	v_mul_f64 v[48:49], v[20:21], v[114:115]
	v_fma_f64 v[46:47], v[20:21], v[116:117], -v[46:47]
	v_fmac_f64_e32 v[48:49], v[22:23], v[112:113]
	v_add_f64 v[82:83], v[50:51], v[46:47]
	v_mul_f64 v[46:47], v[22:23], v[40:41]
	v_add_f64 v[80:81], v[62:63], v[48:49]
	v_mul_f64 v[48:49], v[20:21], v[118:119]
	v_fma_f64 v[46:47], v[20:21], v[38:39], -v[46:47]
	v_fmac_f64_e32 v[48:49], v[22:23], v[116:117]
	v_add_f64 v[86:87], v[42:43], v[46:47]
	v_mul_f64 v[42:43], v[22:23], v[32:33]
	v_add_f64 v[84:85], v[52:53], v[48:49]
	v_mul_f64 v[48:49], v[20:21], v[40:41]
	v_fma_f64 v[42:43], v[20:21], v[30:31], -v[42:43]
	v_mul_f64 v[20:21], v[20:21], v[32:33]
	v_fmac_f64_e32 v[20:21], v[22:23], v[30:31]
	v_fmac_f64_e32 v[48:49], v[22:23], v[38:39]
	v_add_f64 v[92:93], v[36:37], v[20:21]
	ds_read_b128 v[20:23], v105 offset:3072
	v_add_f64 v[90:91], v[34:35], v[42:43]
	v_add_f64 v[88:89], v[44:45], v[48:49]
	s_waitcnt lgkmcnt(0)
	v_mul_f64 v[34:35], v[22:23], v[114:115]
	v_mul_f64 v[36:37], v[20:21], v[114:115]
	v_fma_f64 v[34:35], v[20:21], v[112:113], -v[34:35]
	v_fmac_f64_e32 v[36:37], v[22:23], v[112:113]
	v_add_f64 v[58:59], v[74:75], v[34:35]
	v_add_f64 v[60:61], v[76:77], v[36:37]
	v_mul_f64 v[34:35], v[22:23], v[118:119]
	v_mul_f64 v[36:37], v[20:21], v[118:119]
	v_fma_f64 v[34:35], v[20:21], v[116:117], -v[34:35]
	v_fmac_f64_e32 v[36:37], v[22:23], v[116:117]
	v_add_f64 v[54:55], v[16:17], v[34:35]
	v_add_f64 v[56:57], v[18:19], v[36:37]
	;; [unrolled: 6-line block ×3, first 2 shown]
	v_mul_f64 v[12:13], v[22:23], v[32:33]
	v_mul_f64 v[14:15], v[20:21], v[32:33]
	v_fma_f64 v[12:13], v[20:21], v[30:31], -v[12:13]
	v_fmac_f64_e32 v[14:15], v[22:23], v[30:31]
	ds_read_b128 v[20:23], v104 offset:1024
	ds_read_b128 v[16:19], v104 offset:1280
	v_add_f64 v[46:47], v[10:11], v[12:13]
	v_add_f64 v[48:49], v[8:9], v[14:15]
	ds_read_b128 v[12:15], v104 offset:1536
	ds_read_b128 v[74:77], v105 offset:1040
	s_waitcnt lgkmcnt(3)
	v_mul_f64 v[8:9], v[110:111], v[22:23]
	v_mul_f64 v[10:11], v[108:109], v[22:23]
	v_fma_f64 v[8:9], v[108:109], v[20:21], -v[8:9]
	v_fmac_f64_e32 v[10:11], v[110:111], v[20:21]
	v_add_f64 v[42:43], v[120:121], v[8:9]
	v_add_f64 v[44:45], v[122:123], v[10:11]
	s_waitcnt lgkmcnt(2)
	v_mul_f64 v[8:9], v[110:111], v[18:19]
	v_mul_f64 v[10:11], v[108:109], v[18:19]
	v_fma_f64 v[8:9], v[108:109], v[16:17], -v[8:9]
	v_fmac_f64_e32 v[10:11], v[110:111], v[16:17]
	v_add_f64 v[38:39], v[124:125], v[8:9]
	v_add_f64 v[40:41], v[126:127], v[10:11]
	;; [unrolled: 7-line block ×3, first 2 shown]
	ds_read_b128 v[8:11], v104 offset:1792
	s_waitcnt lgkmcnt(1)
	v_mul_f64 v[62:63], v[76:77], v[22:23]
	v_fma_f64 v[62:63], v[74:75], v[20:21], -v[62:63]
	v_add_f64 v[62:63], v[64:65], v[62:63]
	s_waitcnt lgkmcnt(0)
	v_mul_f64 v[30:31], v[110:111], v[10:11]
	v_fma_f64 v[30:31], v[108:109], v[8:9], -v[30:31]
	v_mul_f64 v[32:33], v[108:109], v[10:11]
	v_mul_f64 v[108:109], v[74:75], v[22:23]
	v_fmac_f64_e32 v[108:109], v[76:77], v[20:21]
	v_add_f64 v[64:65], v[70:71], v[108:109]
	v_mul_f64 v[70:71], v[76:77], v[18:19]
	v_mul_f64 v[108:109], v[74:75], v[18:19]
	v_fma_f64 v[70:71], v[74:75], v[16:17], -v[70:71]
	v_fmac_f64_e32 v[108:109], v[76:77], v[16:17]
	v_add_f64 v[66:67], v[66:67], v[70:71]
	v_add_f64 v[68:69], v[68:69], v[108:109]
	v_mul_f64 v[70:71], v[76:77], v[14:15]
	v_mul_f64 v[108:109], v[74:75], v[14:15]
	v_fma_f64 v[70:71], v[74:75], v[12:13], -v[70:71]
	v_fmac_f64_e32 v[108:109], v[76:77], v[12:13]
	v_add_f64 v[70:71], v[72:73], v[70:71]
	v_add_f64 v[72:73], v[94:95], v[108:109]
	v_mul_f64 v[94:95], v[76:77], v[10:11]
	v_fma_f64 v[94:95], v[74:75], v[8:9], -v[94:95]
	v_mul_f64 v[108:109], v[74:75], v[10:11]
	v_add_f64 v[74:75], v[96:97], v[94:95]
	ds_read_b128 v[94:97], v105 offset:2064
	v_fmac_f64_e32 v[108:109], v[76:77], v[8:9]
	v_add_f64 v[76:77], v[98:99], v[108:109]
	v_fmac_f64_e32 v[32:33], v[110:111], v[8:9]
	v_add_f64 v[32:33], v[134:135], v[32:33]
	s_waitcnt lgkmcnt(0)
	v_mul_f64 v[98:99], v[96:97], v[22:23]
	v_mul_f64 v[108:109], v[94:95], v[22:23]
	v_fma_f64 v[98:99], v[94:95], v[20:21], -v[98:99]
	v_fmac_f64_e32 v[108:109], v[96:97], v[20:21]
	v_add_f64 v[78:79], v[78:79], v[98:99]
	v_add_f64 v[80:81], v[80:81], v[108:109]
	v_mul_f64 v[98:99], v[96:97], v[18:19]
	v_mul_f64 v[108:109], v[94:95], v[18:19]
	v_fma_f64 v[98:99], v[94:95], v[16:17], -v[98:99]
	v_fmac_f64_e32 v[108:109], v[96:97], v[16:17]
	v_add_f64 v[82:83], v[82:83], v[98:99]
	v_add_f64 v[84:85], v[84:85], v[108:109]
	;; [unrolled: 6-line block ×4, first 2 shown]
	ds_read_b128 v[90:93], v105 offset:3088
	v_add_f64 v[30:31], v[132:133], v[30:31]
	s_waitcnt lgkmcnt(0)
	v_mul_f64 v[98:99], v[92:93], v[22:23]
	v_mul_f64 v[22:23], v[90:91], v[22:23]
	v_fma_f64 v[98:99], v[90:91], v[20:21], -v[98:99]
	v_fmac_f64_e32 v[22:23], v[92:93], v[20:21]
	v_mul_f64 v[20:21], v[92:93], v[18:19]
	v_mul_f64 v[18:19], v[90:91], v[18:19]
	v_fma_f64 v[20:21], v[90:91], v[16:17], -v[20:21]
	v_fmac_f64_e32 v[18:19], v[92:93], v[16:17]
	;; [unrolled: 4-line block ×3, first 2 shown]
	v_mul_f64 v[12:13], v[92:93], v[10:11]
	v_mul_f64 v[10:11], v[90:91], v[10:11]
	v_fmac_f64_e32 v[10:11], v[92:93], v[8:9]
	v_fma_f64 v[12:13], v[90:91], v[8:9], -v[12:13]
	v_add_f64 v[118:119], v[48:49], v[10:11]
	ds_read_b128 v[8:11], v104 offset:2048
	v_add_f64 v[114:115], v[52:53], v[14:15]
	v_add_f64 v[116:117], v[46:47], v[12:13]
	;; [unrolled: 1-line block ×4, first 2 shown]
	s_waitcnt lgkmcnt(0)
	v_mul_f64 v[12:13], v[6:7], v[10:11]
	v_mul_f64 v[14:15], v[4:5], v[10:11]
	v_fma_f64 v[12:13], v[4:5], v[8:9], -v[12:13]
	v_fmac_f64_e32 v[14:15], v[6:7], v[8:9]
	v_add_f64 v[120:121], v[42:43], v[12:13]
	v_add_f64 v[122:123], v[44:45], v[14:15]
	ds_read_b128 v[12:15], v104 offset:2304
	v_add_f64 v[60:61], v[60:61], v[22:23]
	v_add_f64 v[108:109], v[54:55], v[20:21]
	;; [unrolled: 1-line block ×3, first 2 shown]
	s_waitcnt lgkmcnt(0)
	v_mul_f64 v[16:17], v[6:7], v[14:15]
	v_mul_f64 v[18:19], v[4:5], v[14:15]
	v_fma_f64 v[16:17], v[4:5], v[12:13], -v[16:17]
	v_fmac_f64_e32 v[18:19], v[6:7], v[12:13]
	v_add_f64 v[38:39], v[38:39], v[16:17]
	v_add_f64 v[40:41], v[40:41], v[18:19]
	ds_read_b128 v[16:19], v104 offset:2560
	s_waitcnt lgkmcnt(0)
	v_mul_f64 v[20:21], v[6:7], v[18:19]
	v_mul_f64 v[22:23], v[4:5], v[18:19]
	v_fma_f64 v[20:21], v[4:5], v[16:17], -v[20:21]
	v_fmac_f64_e32 v[22:23], v[6:7], v[16:17]
	v_add_f64 v[124:125], v[34:35], v[20:21]
	v_add_f64 v[126:127], v[36:37], v[22:23]
	ds_read_b128 v[20:23], v104 offset:2816
	s_waitcnt lgkmcnt(0)
	v_mul_f64 v[34:35], v[6:7], v[22:23]
	v_fma_f64 v[34:35], v[4:5], v[20:21], -v[34:35]
	v_mul_f64 v[4:5], v[4:5], v[22:23]
	v_fmac_f64_e32 v[4:5], v[6:7], v[20:21]
	v_add_f64 v[130:131], v[32:33], v[4:5]
	ds_read_b128 v[4:7], v105 offset:1056
	v_add_f64 v[128:129], v[30:31], v[34:35]
	s_waitcnt lgkmcnt(0)
	v_mul_f64 v[30:31], v[6:7], v[10:11]
	v_fma_f64 v[30:31], v[4:5], v[8:9], -v[30:31]
	v_add_f64 v[46:47], v[62:63], v[30:31]
	v_mul_f64 v[30:31], v[6:7], v[14:15]
	v_mul_f64 v[32:33], v[4:5], v[10:11]
	v_fma_f64 v[30:31], v[4:5], v[12:13], -v[30:31]
	v_fmac_f64_e32 v[32:33], v[6:7], v[8:9]
	v_add_f64 v[50:51], v[66:67], v[30:31]
	v_mul_f64 v[30:31], v[6:7], v[18:19]
	v_add_f64 v[48:49], v[64:65], v[32:33]
	v_mul_f64 v[32:33], v[4:5], v[14:15]
	v_fma_f64 v[30:31], v[4:5], v[16:17], -v[30:31]
	v_fmac_f64_e32 v[32:33], v[6:7], v[12:13]
	v_add_f64 v[54:55], v[70:71], v[30:31]
	v_mul_f64 v[30:31], v[6:7], v[22:23]
	v_add_f64 v[52:53], v[68:69], v[32:33]
	v_mul_f64 v[32:33], v[4:5], v[18:19]
	v_fma_f64 v[30:31], v[4:5], v[20:21], -v[30:31]
	v_mul_f64 v[4:5], v[4:5], v[22:23]
	v_fmac_f64_e32 v[4:5], v[6:7], v[20:21]
	v_fmac_f64_e32 v[32:33], v[6:7], v[16:17]
	v_add_f64 v[62:63], v[76:77], v[4:5]
	ds_read_b128 v[4:7], v105 offset:2080
	v_add_f64 v[58:59], v[74:75], v[30:31]
	v_add_f64 v[56:57], v[72:73], v[32:33]
	s_waitcnt lgkmcnt(0)
	v_mul_f64 v[30:31], v[6:7], v[10:11]
	v_fma_f64 v[30:31], v[4:5], v[8:9], -v[30:31]
	v_add_f64 v[34:35], v[78:79], v[30:31]
	v_mul_f64 v[30:31], v[6:7], v[14:15]
	v_mul_f64 v[32:33], v[4:5], v[10:11]
	v_fma_f64 v[30:31], v[4:5], v[12:13], -v[30:31]
	v_fmac_f64_e32 v[32:33], v[6:7], v[8:9]
	v_add_f64 v[42:43], v[82:83], v[30:31]
	v_mul_f64 v[30:31], v[6:7], v[18:19]
	v_add_f64 v[36:37], v[80:81], v[32:33]
	v_mul_f64 v[32:33], v[4:5], v[14:15]
	v_fma_f64 v[30:31], v[4:5], v[16:17], -v[30:31]
	v_fmac_f64_e32 v[32:33], v[6:7], v[12:13]
	v_add_f64 v[90:91], v[86:87], v[30:31]
	v_mul_f64 v[30:31], v[6:7], v[22:23]
	v_add_f64 v[44:45], v[84:85], v[32:33]
	v_mul_f64 v[32:33], v[4:5], v[18:19]
	v_fma_f64 v[30:31], v[4:5], v[20:21], -v[30:31]
	v_mul_f64 v[4:5], v[4:5], v[22:23]
	v_fmac_f64_e32 v[4:5], v[6:7], v[20:21]
	v_fmac_f64_e32 v[32:33], v[6:7], v[16:17]
	v_add_f64 v[96:97], v[96:97], v[4:5]
	ds_read_b128 v[4:7], v105 offset:3104
	v_add_f64 v[94:95], v[94:95], v[30:31]
	v_add_f64 v[92:93], v[88:89], v[32:33]
	s_waitcnt lgkmcnt(0)
	v_mul_f64 v[30:31], v[6:7], v[10:11]
	v_mul_f64 v[10:11], v[4:5], v[10:11]
	v_fmac_f64_e32 v[10:11], v[6:7], v[8:9]
	v_fma_f64 v[30:31], v[4:5], v[8:9], -v[30:31]
	v_add_f64 v[76:77], v[60:61], v[10:11]
	v_mul_f64 v[8:9], v[6:7], v[14:15]
	v_mul_f64 v[10:11], v[4:5], v[14:15]
	v_fma_f64 v[8:9], v[4:5], v[12:13], -v[8:9]
	v_fmac_f64_e32 v[10:11], v[6:7], v[12:13]
	v_add_f64 v[86:87], v[108:109], v[8:9]
	v_add_f64 v[88:89], v[110:111], v[10:11]
	v_mul_f64 v[8:9], v[6:7], v[18:19]
	v_mul_f64 v[10:11], v[4:5], v[18:19]
	v_fma_f64 v[8:9], v[4:5], v[16:17], -v[8:9]
	v_fmac_f64_e32 v[10:11], v[6:7], v[16:17]
	ds_read_b128 v[16:19], v104 offset:3072
	ds_read_b128 v[12:15], v104 offset:3328
	v_add_f64 v[82:83], v[112:113], v[8:9]
	v_mul_f64 v[8:9], v[6:7], v[22:23]
	v_fma_f64 v[8:9], v[4:5], v[20:21], -v[8:9]
	v_mul_f64 v[4:5], v[4:5], v[22:23]
	v_add_f64 v[84:85], v[114:115], v[10:11]
	v_fmac_f64_e32 v[4:5], v[6:7], v[20:21]
	v_add_f64 v[78:79], v[116:117], v[8:9]
	ds_read_b128 v[8:11], v104 offset:3584
	v_add_f64 v[80:81], v[118:119], v[4:5]
	s_waitcnt lgkmcnt(2)
	v_mul_f64 v[4:5], v[2:3], v[18:19]
	v_mul_f64 v[6:7], v[0:1], v[18:19]
	v_fma_f64 v[4:5], v[0:1], v[16:17], -v[4:5]
	v_fmac_f64_e32 v[6:7], v[2:3], v[16:17]
	v_add_f64 v[60:61], v[120:121], v[4:5]
	v_add_f64 v[64:65], v[122:123], v[6:7]
	s_waitcnt lgkmcnt(1)
	v_mul_f64 v[4:5], v[2:3], v[14:15]
	v_mul_f64 v[6:7], v[0:1], v[14:15]
	v_fma_f64 v[4:5], v[0:1], v[12:13], -v[4:5]
	v_fmac_f64_e32 v[6:7], v[2:3], v[12:13]
	v_add_f64 v[38:39], v[38:39], v[4:5]
	;; [unrolled: 7-line block ×3, first 2 shown]
	v_add_f64 v[30:31], v[124:125], v[4:5]
	v_add_f64 v[32:33], v[126:127], v[6:7]
	ds_read_b128 v[4:7], v104 offset:3840
	s_waitcnt lgkmcnt(0)
	v_mul_f64 v[20:21], v[2:3], v[6:7]
	v_fma_f64 v[20:21], v[0:1], v[4:5], -v[20:21]
	v_mul_f64 v[0:1], v[0:1], v[6:7]
	v_fmac_f64_e32 v[0:1], v[2:3], v[4:5]
	v_add_f64 v[22:23], v[130:131], v[0:1]
	ds_read_b128 v[0:3], v105 offset:1072
	v_add_f64 v[20:21], v[128:129], v[20:21]
	s_waitcnt lgkmcnt(0)
	v_mul_f64 v[66:67], v[2:3], v[18:19]
	v_fma_f64 v[66:67], v[0:1], v[16:17], -v[66:67]
	v_add_f64 v[70:71], v[46:47], v[66:67]
	v_mul_f64 v[46:47], v[2:3], v[14:15]
	v_mul_f64 v[68:69], v[0:1], v[18:19]
	v_fma_f64 v[46:47], v[0:1], v[12:13], -v[46:47]
	v_fmac_f64_e32 v[68:69], v[2:3], v[16:17]
	v_add_f64 v[66:67], v[50:51], v[46:47]
	v_mul_f64 v[46:47], v[2:3], v[10:11]
	v_add_f64 v[72:73], v[48:49], v[68:69]
	v_mul_f64 v[48:49], v[0:1], v[14:15]
	v_fma_f64 v[46:47], v[0:1], v[8:9], -v[46:47]
	v_fmac_f64_e32 v[48:49], v[2:3], v[12:13]
	v_add_f64 v[54:55], v[54:55], v[46:47]
	v_mul_f64 v[46:47], v[2:3], v[6:7]
	v_add_f64 v[68:69], v[52:53], v[48:49]
	v_mul_f64 v[48:49], v[0:1], v[10:11]
	v_fma_f64 v[46:47], v[0:1], v[4:5], -v[46:47]
	v_mul_f64 v[0:1], v[0:1], v[6:7]
	v_fmac_f64_e32 v[48:49], v[2:3], v[8:9]
	v_fmac_f64_e32 v[0:1], v[2:3], v[4:5]
	v_add_f64 v[56:57], v[56:57], v[48:49]
	v_add_f64 v[48:49], v[62:63], v[0:1]
	ds_read_b128 v[0:3], v105 offset:2096
	v_add_f64 v[46:47], v[58:59], v[46:47]
	s_waitcnt lgkmcnt(0)
	v_mul_f64 v[50:51], v[2:3], v[18:19]
	v_fma_f64 v[50:51], v[0:1], v[16:17], -v[50:51]
	v_add_f64 v[58:59], v[34:35], v[50:51]
	v_mul_f64 v[34:35], v[2:3], v[14:15]
	v_mul_f64 v[52:53], v[0:1], v[18:19]
	v_fma_f64 v[34:35], v[0:1], v[12:13], -v[34:35]
	v_fmac_f64_e32 v[52:53], v[2:3], v[16:17]
	v_add_f64 v[50:51], v[42:43], v[34:35]
	v_mul_f64 v[34:35], v[2:3], v[10:11]
	v_add_f64 v[62:63], v[36:37], v[52:53]
	v_mul_f64 v[36:37], v[0:1], v[14:15]
	v_fma_f64 v[34:35], v[0:1], v[8:9], -v[34:35]
	v_fmac_f64_e32 v[36:37], v[2:3], v[12:13]
	v_add_f64 v[42:43], v[90:91], v[34:35]
	v_mul_f64 v[34:35], v[2:3], v[6:7]
	v_add_f64 v[52:53], v[44:45], v[36:37]
	v_mul_f64 v[36:37], v[0:1], v[10:11]
	v_fma_f64 v[34:35], v[0:1], v[4:5], -v[34:35]
	v_mul_f64 v[0:1], v[0:1], v[6:7]
	v_fmac_f64_e32 v[36:37], v[2:3], v[8:9]
	v_fmac_f64_e32 v[0:1], v[2:3], v[4:5]
	v_add_f64 v[44:45], v[92:93], v[36:37]
	v_add_f64 v[36:37], v[96:97], v[0:1]
	ds_read_b128 v[0:3], v105 offset:3120
	v_add_f64 v[34:35], v[94:95], v[34:35]
	s_waitcnt lgkmcnt(0)
	s_barrier
	v_mul_f64 v[90:91], v[2:3], v[18:19]
	v_mul_f64 v[18:19], v[0:1], v[18:19]
	v_fma_f64 v[90:91], v[0:1], v[16:17], -v[90:91]
	v_fmac_f64_e32 v[18:19], v[2:3], v[16:17]
	v_mul_f64 v[16:17], v[2:3], v[14:15]
	v_mul_f64 v[14:15], v[0:1], v[14:15]
	v_fma_f64 v[16:17], v[0:1], v[12:13], -v[16:17]
	v_fmac_f64_e32 v[14:15], v[2:3], v[12:13]
	;; [unrolled: 4-line block ×3, first 2 shown]
	v_mul_f64 v[8:9], v[2:3], v[6:7]
	v_fma_f64 v[8:9], v[0:1], v[4:5], -v[8:9]
	v_mul_f64 v[0:1], v[0:1], v[6:7]
	v_fmac_f64_e32 v[0:1], v[2:3], v[4:5]
	v_add_f64 v[74:75], v[74:75], v[90:91]
	v_add_f64 v[76:77], v[76:77], v[18:19]
	;; [unrolled: 1-line block ×8, first 2 shown]
	s_cbranch_vccnz .LBB122_2
	s_branch .LBB122_4
.LBB122_3:
	v_pk_mov_b32 v[60:61], 0, 0
	v_pk_mov_b32 v[64:65], 0, 0
	;; [unrolled: 1-line block ×32, first 2 shown]
.LBB122_4:
	s_load_dwordx2 s[4:5], s[4:5], 0x90
	v_mov_b32_e32 v0, s3
	v_add_co_u32_e32 v6, vcc, s2, v101
	v_addc_co_u32_e32 v7, vcc, 0, v0, vcc
	s_waitcnt lgkmcnt(0)
	s_mul_i32 s3, s8, s5
	s_mul_hi_u32 s5, s8, s4
	s_mul_i32 s4, s8, s4
	s_add_i32 s5, s5, s3
	s_lshl_b64 s[4:5], s[4:5], 4
	s_add_u32 s4, s24, s4
	v_cmp_neq_f64_e64 s[6:7], s[14:15], 0
	v_cmp_neq_f64_e64 s[10:11], s[16:17], 0
	v_mov_b32_e32 v1, s1
	v_add_co_u32_e32 v0, vcc, s0, v100
	s_addc_u32 s5, s25, s5
	s_or_b64 s[6:7], s[6:7], s[10:11]
	v_addc_co_u32_e32 v1, vcc, 0, v1, vcc
	s_mov_b64 s[2:3], 0
	s_and_b64 vcc, exec, s[6:7]
	s_cbranch_vccnz .LBB122_6
; %bb.5:
	v_mul_lo_u32 v4, v7, s26
	v_mul_lo_u32 v5, v6, s27
	v_mad_u64_u32 v[2:3], s[0:1], v6, s26, 0
	v_add3_u32 v3, v3, v5, v4
	v_lshlrev_b64 v[2:3], 4, v[2:3]
	v_mov_b32_e32 v4, s5
	v_add_co_u32_e32 v26, vcc, s4, v2
	v_addc_co_u32_e32 v27, vcc, v4, v3, vcc
	v_lshlrev_b64 v[24:25], 4, v[0:1]
	v_mul_f64 v[2:3], s[40:41], v[64:65]
	v_mul_f64 v[4:5], s[38:39], v[64:65]
	v_add_co_u32_e32 v24, vcc, v26, v24
	v_fma_f64 v[2:3], s[38:39], v[60:61], -v[2:3]
	v_fmac_f64_e32 v[4:5], s[40:41], v[60:61]
	v_addc_co_u32_e32 v25, vcc, v27, v25, vcc
	global_store_dwordx4 v[24:25], v[2:5], off
	s_lshl_b64 s[0:1], s[26:27], 8
	v_mul_f64 v[2:3], s[40:41], v[40:41]
	v_mul_f64 v[4:5], s[38:39], v[40:41]
	v_fma_f64 v[2:3], s[38:39], v[38:39], -v[2:3]
	v_fmac_f64_e32 v[4:5], s[40:41], v[38:39]
	global_store_dwordx4 v[24:25], v[2:5], off offset:256
	v_mov_b32_e32 v26, s1
	v_mul_f64 v[2:3], s[40:41], v[32:33]
	v_mul_f64 v[4:5], s[38:39], v[32:33]
	v_fma_f64 v[2:3], s[38:39], v[30:31], -v[2:3]
	v_fmac_f64_e32 v[4:5], s[40:41], v[30:31]
	global_store_dwordx4 v[24:25], v[2:5], off offset:512
	s_nop 0
	v_mul_f64 v[2:3], s[40:41], v[22:23]
	v_mul_f64 v[4:5], s[38:39], v[22:23]
	v_fma_f64 v[2:3], s[38:39], v[20:21], -v[2:3]
	v_fmac_f64_e32 v[4:5], s[40:41], v[20:21]
	global_store_dwordx4 v[24:25], v[2:5], off offset:768
	v_add_co_u32_e32 v24, vcc, s0, v24
	v_mul_f64 v[2:3], s[40:41], v[72:73]
	v_mul_f64 v[4:5], s[38:39], v[72:73]
	v_fma_f64 v[2:3], s[38:39], v[70:71], -v[2:3]
	v_fmac_f64_e32 v[4:5], s[40:41], v[70:71]
	v_addc_co_u32_e32 v25, vcc, v25, v26, vcc
	global_store_dwordx4 v[24:25], v[2:5], off
	s_nop 0
	v_mul_f64 v[2:3], s[40:41], v[68:69]
	v_mul_f64 v[4:5], s[38:39], v[68:69]
	v_fma_f64 v[2:3], s[38:39], v[66:67], -v[2:3]
	v_fmac_f64_e32 v[4:5], s[40:41], v[66:67]
	global_store_dwordx4 v[24:25], v[2:5], off offset:256
	s_nop 0
	v_mul_f64 v[2:3], s[40:41], v[56:57]
	v_mul_f64 v[4:5], s[38:39], v[56:57]
	v_fma_f64 v[2:3], s[38:39], v[54:55], -v[2:3]
	v_fmac_f64_e32 v[4:5], s[40:41], v[54:55]
	global_store_dwordx4 v[24:25], v[2:5], off offset:512
	s_nop 0
	v_mul_f64 v[2:3], s[40:41], v[48:49]
	v_mul_f64 v[4:5], s[38:39], v[48:49]
	v_fma_f64 v[2:3], s[38:39], v[46:47], -v[2:3]
	v_fmac_f64_e32 v[4:5], s[40:41], v[46:47]
	global_store_dwordx4 v[24:25], v[2:5], off offset:768
	v_add_co_u32_e32 v24, vcc, s0, v24
	v_mul_f64 v[2:3], s[40:41], v[62:63]
	v_mul_f64 v[4:5], s[38:39], v[62:63]
	v_fma_f64 v[2:3], s[38:39], v[58:59], -v[2:3]
	v_fmac_f64_e32 v[4:5], s[40:41], v[58:59]
	v_addc_co_u32_e32 v25, vcc, v25, v26, vcc
	global_store_dwordx4 v[24:25], v[2:5], off
	s_nop 0
	v_mul_f64 v[2:3], s[40:41], v[52:53]
	v_mul_f64 v[4:5], s[38:39], v[52:53]
	v_fma_f64 v[2:3], s[38:39], v[50:51], -v[2:3]
	v_fmac_f64_e32 v[4:5], s[40:41], v[50:51]
	global_store_dwordx4 v[24:25], v[2:5], off offset:256
	s_nop 0
	;; [unrolled: 25-line block ×3, first 2 shown]
	v_mul_f64 v[2:3], s[40:41], v[14:15]
	v_mul_f64 v[4:5], s[38:39], v[14:15]
	v_fma_f64 v[2:3], s[38:39], v[12:13], -v[2:3]
	v_fmac_f64_e32 v[4:5], s[40:41], v[12:13]
	global_store_dwordx4 v[24:25], v[2:5], off offset:512
	s_nop 0
	v_mul_f64 v[2:3], s[40:41], v[8:9]
	v_fma_f64 v[26:27], s[38:39], v[10:11], -v[2:3]
	v_mul_f64 v[4:5], s[38:39], v[8:9]
	v_add_co_u32_e32 v2, vcc, 0x300, v24
	v_fmac_f64_e32 v[4:5], s[40:41], v[10:11]
	v_addc_co_u32_e32 v3, vcc, 0, v25, vcc
	global_store_dwordx2 v[24:25], v[26:27], off offset:768
	s_andn2_b64 vcc, exec, s[2:3]
	s_cbranch_vccz .LBB122_7
	s_branch .LBB122_8
.LBB122_6:
                                        ; implicit-def: $vgpr4_vgpr5
                                        ; implicit-def: $vgpr2_vgpr3
.LBB122_7:
	s_mul_i32 s0, s8, s23
	s_mul_hi_u32 s1, s8, s22
	s_add_i32 s1, s1, s0
	s_mul_i32 s0, s8, s22
	s_lshl_b64 s[0:1], s[0:1], 4
	s_add_u32 s2, s18, s0
	s_addc_u32 s3, s19, s1
	v_mul_lo_u32 v4, v7, s20
	v_mul_lo_u32 v5, v6, s21
	v_mad_u64_u32 v[2:3], s[0:1], v6, s20, 0
	v_add3_u32 v3, v3, v5, v4
	v_lshlrev_b64 v[2:3], 4, v[2:3]
	v_mov_b32_e32 v4, s3
	v_add_co_u32_e32 v2, vcc, s2, v2
	v_addc_co_u32_e32 v3, vcc, v4, v3, vcc
	v_lshlrev_b64 v[4:5], 4, v[0:1]
	v_add_co_u32_e32 v24, vcc, v2, v4
	v_addc_co_u32_e32 v25, vcc, v3, v5, vcc
	global_load_dwordx4 v[0:3], v[24:25], off
	v_mul_lo_u32 v78, v7, s26
	v_mul_lo_u32 v79, v6, s27
	v_mad_u64_u32 v[6:7], s[0:1], v6, s26, 0
	v_add3_u32 v7, v7, v79, v78
	v_lshlrev_b64 v[6:7], 4, v[6:7]
	v_mov_b32_e32 v80, s5
	v_add_co_u32_e32 v6, vcc, s4, v6
	v_addc_co_u32_e32 v7, vcc, v80, v7, vcc
	v_add_co_u32_e32 v4, vcc, v6, v4
	v_mul_f64 v[26:27], s[40:41], v[64:65]
	v_mul_f64 v[28:29], s[38:39], v[64:65]
	v_addc_co_u32_e32 v5, vcc, v7, v5, vcc
	v_fma_f64 v[26:27], s[38:39], v[60:61], -v[26:27]
	v_fmac_f64_e32 v[28:29], s[40:41], v[60:61]
	s_lshl_b64 s[0:1], s[20:21], 8
	s_lshl_b64 s[2:3], s[26:27], 8
	s_waitcnt vmcnt(0)
	v_mul_f64 v[6:7], s[16:17], v[2:3]
	v_mul_f64 v[2:3], s[14:15], v[2:3]
	v_fma_f64 v[6:7], s[14:15], v[0:1], -v[6:7]
	v_fmac_f64_e32 v[2:3], s[16:17], v[0:1]
	v_add_f64 v[0:1], v[26:27], v[6:7]
	v_add_f64 v[2:3], v[28:29], v[2:3]
	global_store_dwordx4 v[4:5], v[0:3], off
	global_load_dwordx4 v[0:3], v[24:25], off offset:256
	v_mul_f64 v[6:7], s[40:41], v[40:41]
	v_mul_f64 v[26:27], s[38:39], v[40:41]
	v_fma_f64 v[6:7], s[38:39], v[38:39], -v[6:7]
	v_fmac_f64_e32 v[26:27], s[40:41], v[38:39]
	s_waitcnt vmcnt(0)
	v_mul_f64 v[28:29], s[16:17], v[2:3]
	v_mul_f64 v[2:3], s[14:15], v[2:3]
	v_fma_f64 v[28:29], s[14:15], v[0:1], -v[28:29]
	v_fmac_f64_e32 v[2:3], s[16:17], v[0:1]
	v_add_f64 v[0:1], v[6:7], v[28:29]
	v_add_f64 v[2:3], v[26:27], v[2:3]
	global_store_dwordx4 v[4:5], v[0:3], off offset:256
	global_load_dwordx4 v[0:3], v[24:25], off offset:512
	v_mul_f64 v[6:7], s[40:41], v[32:33]
	v_mul_f64 v[26:27], s[38:39], v[32:33]
	v_fma_f64 v[6:7], s[38:39], v[30:31], -v[6:7]
	v_fmac_f64_e32 v[26:27], s[40:41], v[30:31]
	s_waitcnt vmcnt(0)
	v_mul_f64 v[28:29], s[16:17], v[2:3]
	v_mul_f64 v[2:3], s[14:15], v[2:3]
	v_fma_f64 v[28:29], s[14:15], v[0:1], -v[28:29]
	v_fmac_f64_e32 v[2:3], s[16:17], v[0:1]
	v_add_f64 v[0:1], v[6:7], v[28:29]
	v_add_f64 v[2:3], v[26:27], v[2:3]
	global_store_dwordx4 v[4:5], v[0:3], off offset:512
	global_load_dwordx4 v[0:3], v[24:25], off offset:768
	v_mul_f64 v[6:7], s[40:41], v[22:23]
	v_mul_f64 v[22:23], s[38:39], v[22:23]
	v_fma_f64 v[6:7], s[38:39], v[20:21], -v[6:7]
	v_fmac_f64_e32 v[22:23], s[40:41], v[20:21]
	v_mov_b32_e32 v26, s1
	v_add_co_u32_e32 v20, vcc, s0, v24
	v_addc_co_u32_e32 v21, vcc, v25, v26, vcc
	v_mov_b32_e32 v27, s3
	s_waitcnt vmcnt(0)
	v_mul_f64 v[24:25], s[16:17], v[2:3]
	v_mul_f64 v[2:3], s[14:15], v[2:3]
	v_fma_f64 v[24:25], s[14:15], v[0:1], -v[24:25]
	v_fmac_f64_e32 v[2:3], s[16:17], v[0:1]
	v_add_f64 v[0:1], v[6:7], v[24:25]
	v_add_f64 v[2:3], v[22:23], v[2:3]
	global_store_dwordx4 v[4:5], v[0:3], off offset:768
	global_load_dwordx4 v[0:3], v[20:21], off
	v_mul_f64 v[6:7], s[40:41], v[72:73]
	v_mul_f64 v[22:23], s[38:39], v[72:73]
	v_fma_f64 v[6:7], s[38:39], v[70:71], -v[6:7]
	v_fmac_f64_e32 v[22:23], s[40:41], v[70:71]
	v_add_co_u32_e32 v4, vcc, s2, v4
	v_addc_co_u32_e32 v5, vcc, v5, v27, vcc
	s_waitcnt vmcnt(0)
	v_mul_f64 v[24:25], s[16:17], v[2:3]
	v_mul_f64 v[2:3], s[14:15], v[2:3]
	v_fma_f64 v[24:25], s[14:15], v[0:1], -v[24:25]
	v_fmac_f64_e32 v[2:3], s[16:17], v[0:1]
	v_add_f64 v[0:1], v[6:7], v[24:25]
	v_add_f64 v[2:3], v[22:23], v[2:3]
	global_store_dwordx4 v[4:5], v[0:3], off
	global_load_dwordx4 v[0:3], v[20:21], off offset:256
	v_mul_f64 v[6:7], s[40:41], v[68:69]
	v_mul_f64 v[22:23], s[38:39], v[68:69]
	v_fma_f64 v[6:7], s[38:39], v[66:67], -v[6:7]
	v_fmac_f64_e32 v[22:23], s[40:41], v[66:67]
	s_waitcnt vmcnt(0)
	v_mul_f64 v[24:25], s[16:17], v[2:3]
	v_mul_f64 v[2:3], s[14:15], v[2:3]
	v_fma_f64 v[24:25], s[14:15], v[0:1], -v[24:25]
	v_fmac_f64_e32 v[2:3], s[16:17], v[0:1]
	v_add_f64 v[0:1], v[6:7], v[24:25]
	v_add_f64 v[2:3], v[22:23], v[2:3]
	global_store_dwordx4 v[4:5], v[0:3], off offset:256
	global_load_dwordx4 v[0:3], v[20:21], off offset:512
	v_mul_f64 v[6:7], s[40:41], v[56:57]
	v_mul_f64 v[22:23], s[38:39], v[56:57]
	v_fma_f64 v[6:7], s[38:39], v[54:55], -v[6:7]
	v_fmac_f64_e32 v[22:23], s[40:41], v[54:55]
	s_waitcnt vmcnt(0)
	v_mul_f64 v[24:25], s[16:17], v[2:3]
	v_mul_f64 v[2:3], s[14:15], v[2:3]
	v_fma_f64 v[24:25], s[14:15], v[0:1], -v[24:25]
	v_fmac_f64_e32 v[2:3], s[16:17], v[0:1]
	v_add_f64 v[0:1], v[6:7], v[24:25]
	v_add_f64 v[2:3], v[22:23], v[2:3]
	global_store_dwordx4 v[4:5], v[0:3], off offset:512
	global_load_dwordx4 v[0:3], v[20:21], off offset:768
	v_mul_f64 v[6:7], s[40:41], v[48:49]
	v_mul_f64 v[22:23], s[38:39], v[48:49]
	v_fma_f64 v[6:7], s[38:39], v[46:47], -v[6:7]
	v_fmac_f64_e32 v[22:23], s[40:41], v[46:47]
	v_add_co_u32_e32 v20, vcc, s0, v20
	v_addc_co_u32_e32 v21, vcc, v21, v26, vcc
	s_waitcnt vmcnt(0)
	v_mul_f64 v[24:25], s[16:17], v[2:3]
	v_mul_f64 v[2:3], s[14:15], v[2:3]
	v_fma_f64 v[24:25], s[14:15], v[0:1], -v[24:25]
	v_fmac_f64_e32 v[2:3], s[16:17], v[0:1]
	v_add_f64 v[0:1], v[6:7], v[24:25]
	v_add_f64 v[2:3], v[22:23], v[2:3]
	global_store_dwordx4 v[4:5], v[0:3], off offset:768
	global_load_dwordx4 v[0:3], v[20:21], off
	v_mul_f64 v[6:7], s[40:41], v[62:63]
	v_mul_f64 v[22:23], s[38:39], v[62:63]
	v_fma_f64 v[6:7], s[38:39], v[58:59], -v[6:7]
	v_fmac_f64_e32 v[22:23], s[40:41], v[58:59]
	v_add_co_u32_e32 v4, vcc, s2, v4
	v_addc_co_u32_e32 v5, vcc, v5, v27, vcc
	s_waitcnt vmcnt(0)
	v_mul_f64 v[24:25], s[16:17], v[2:3]
	v_mul_f64 v[2:3], s[14:15], v[2:3]
	v_fma_f64 v[24:25], s[14:15], v[0:1], -v[24:25]
	v_fmac_f64_e32 v[2:3], s[16:17], v[0:1]
	v_add_f64 v[0:1], v[6:7], v[24:25]
	v_add_f64 v[2:3], v[22:23], v[2:3]
	global_store_dwordx4 v[4:5], v[0:3], off
	global_load_dwordx4 v[0:3], v[20:21], off offset:256
	v_mul_f64 v[6:7], s[40:41], v[52:53]
	v_mul_f64 v[22:23], s[38:39], v[52:53]
	v_fma_f64 v[6:7], s[38:39], v[50:51], -v[6:7]
	v_fmac_f64_e32 v[22:23], s[40:41], v[50:51]
	s_waitcnt vmcnt(0)
	v_mul_f64 v[24:25], s[16:17], v[2:3]
	v_mul_f64 v[2:3], s[14:15], v[2:3]
	v_fma_f64 v[24:25], s[14:15], v[0:1], -v[24:25]
	v_fmac_f64_e32 v[2:3], s[16:17], v[0:1]
	v_add_f64 v[0:1], v[6:7], v[24:25]
	v_add_f64 v[2:3], v[22:23], v[2:3]
	global_store_dwordx4 v[4:5], v[0:3], off offset:256
	global_load_dwordx4 v[0:3], v[20:21], off offset:512
	v_mul_f64 v[6:7], s[40:41], v[44:45]
	v_mul_f64 v[22:23], s[38:39], v[44:45]
	v_fma_f64 v[6:7], s[38:39], v[42:43], -v[6:7]
	v_fmac_f64_e32 v[22:23], s[40:41], v[42:43]
	s_waitcnt vmcnt(0)
	v_mul_f64 v[24:25], s[16:17], v[2:3]
	v_mul_f64 v[2:3], s[14:15], v[2:3]
	v_fma_f64 v[24:25], s[14:15], v[0:1], -v[24:25]
	v_fmac_f64_e32 v[2:3], s[16:17], v[0:1]
	v_add_f64 v[0:1], v[6:7], v[24:25]
	v_add_f64 v[2:3], v[22:23], v[2:3]
	global_store_dwordx4 v[4:5], v[0:3], off offset:512
	global_load_dwordx4 v[0:3], v[20:21], off offset:768
	v_mul_f64 v[6:7], s[40:41], v[36:37]
	v_mul_f64 v[22:23], s[38:39], v[36:37]
	v_fma_f64 v[6:7], s[38:39], v[34:35], -v[6:7]
	v_fmac_f64_e32 v[22:23], s[40:41], v[34:35]
	v_add_co_u32_e32 v20, vcc, s0, v20
	v_addc_co_u32_e32 v21, vcc, v21, v26, vcc
	s_waitcnt vmcnt(0)
	v_mul_f64 v[24:25], s[16:17], v[2:3]
	v_mul_f64 v[2:3], s[14:15], v[2:3]
	v_fma_f64 v[24:25], s[14:15], v[0:1], -v[24:25]
	v_fmac_f64_e32 v[2:3], s[16:17], v[0:1]
	v_add_f64 v[0:1], v[6:7], v[24:25]
	v_add_f64 v[2:3], v[22:23], v[2:3]
	global_store_dwordx4 v[4:5], v[0:3], off offset:768
	global_load_dwordx4 v[0:3], v[20:21], off
	v_add_co_u32_e32 v24, vcc, s2, v4
	v_mul_f64 v[6:7], s[40:41], v[76:77]
	v_mul_f64 v[22:23], s[38:39], v[76:77]
	v_addc_co_u32_e32 v25, vcc, v5, v27, vcc
	v_fma_f64 v[6:7], s[38:39], v[74:75], -v[6:7]
	v_fmac_f64_e32 v[22:23], s[40:41], v[74:75]
	s_waitcnt vmcnt(0)
	v_mul_f64 v[4:5], s[16:17], v[2:3]
	v_mul_f64 v[2:3], s[14:15], v[2:3]
	v_fma_f64 v[4:5], s[14:15], v[0:1], -v[4:5]
	v_fmac_f64_e32 v[2:3], s[16:17], v[0:1]
	v_add_f64 v[0:1], v[6:7], v[4:5]
	v_add_f64 v[2:3], v[22:23], v[2:3]
	global_store_dwordx4 v[24:25], v[0:3], off
	global_load_dwordx4 v[0:3], v[20:21], off offset:256
	v_mul_f64 v[4:5], s[40:41], v[18:19]
	v_mul_f64 v[6:7], s[38:39], v[18:19]
	v_fma_f64 v[4:5], s[38:39], v[16:17], -v[4:5]
	v_fmac_f64_e32 v[6:7], s[40:41], v[16:17]
	s_waitcnt vmcnt(0)
	v_mul_f64 v[16:17], s[16:17], v[2:3]
	v_mul_f64 v[2:3], s[14:15], v[2:3]
	v_fma_f64 v[16:17], s[14:15], v[0:1], -v[16:17]
	v_fmac_f64_e32 v[2:3], s[16:17], v[0:1]
	v_add_f64 v[0:1], v[4:5], v[16:17]
	v_add_f64 v[2:3], v[6:7], v[2:3]
	global_store_dwordx4 v[24:25], v[0:3], off offset:256
	global_load_dwordx4 v[0:3], v[20:21], off offset:512
	v_mul_f64 v[4:5], s[40:41], v[14:15]
	v_mul_f64 v[6:7], s[38:39], v[14:15]
	v_fma_f64 v[4:5], s[38:39], v[12:13], -v[4:5]
	v_fmac_f64_e32 v[6:7], s[40:41], v[12:13]
	s_waitcnt vmcnt(0)
	v_mul_f64 v[12:13], s[16:17], v[2:3]
	v_mul_f64 v[2:3], s[14:15], v[2:3]
	v_fma_f64 v[12:13], s[14:15], v[0:1], -v[12:13]
	v_fmac_f64_e32 v[2:3], s[16:17], v[0:1]
	v_add_f64 v[0:1], v[4:5], v[12:13]
	v_add_f64 v[2:3], v[6:7], v[2:3]
	global_store_dwordx4 v[24:25], v[0:3], off offset:512
	global_load_dwordx4 v[4:7], v[20:21], off offset:768
	v_mul_f64 v[0:1], s[40:41], v[8:9]
	v_mul_f64 v[8:9], s[38:39], v[8:9]
	v_fma_f64 v[0:1], s[38:39], v[10:11], -v[0:1]
	v_fmac_f64_e32 v[8:9], s[40:41], v[10:11]
	v_add_co_u32_e32 v2, vcc, 0x300, v24
	v_addc_co_u32_e32 v3, vcc, 0, v25, vcc
	s_waitcnt vmcnt(0)
	v_mul_f64 v[10:11], s[16:17], v[6:7]
	v_mul_f64 v[6:7], s[14:15], v[6:7]
	v_fma_f64 v[10:11], s[14:15], v[4:5], -v[10:11]
	v_fmac_f64_e32 v[6:7], s[16:17], v[4:5]
	v_add_f64 v[0:1], v[0:1], v[10:11]
	v_add_f64 v[4:5], v[8:9], v[6:7]
	global_store_dwordx2 v[24:25], v[0:1], off offset:768
.LBB122_8:
	global_store_dwordx2 v[2:3], v[4:5], off offset:8
	s_endpgm
	.section	.rodata,"a",@progbits
	.p2align	6, 0x0
	.amdhsa_kernel _ZN12_GLOBAL__N_127rocblas_gemm_batched_kernelI19rocblas_complex_numIdELi16ELi16ELi64ELi64ELi4ELi64ELi4ELi4ELi64ELc67ELc67EKS2_S3_S2_EEvlllT_PT11_llS6_llS4_PT12_llPT13_lli
		.amdhsa_group_segment_fixed_size 8192
		.amdhsa_private_segment_fixed_size 0
		.amdhsa_kernarg_size 156
		.amdhsa_user_sgpr_count 6
		.amdhsa_user_sgpr_private_segment_buffer 1
		.amdhsa_user_sgpr_dispatch_ptr 0
		.amdhsa_user_sgpr_queue_ptr 0
		.amdhsa_user_sgpr_kernarg_segment_ptr 1
		.amdhsa_user_sgpr_dispatch_id 0
		.amdhsa_user_sgpr_flat_scratch_init 0
		.amdhsa_user_sgpr_kernarg_preload_length 0
		.amdhsa_user_sgpr_kernarg_preload_offset 0
		.amdhsa_user_sgpr_private_segment_size 0
		.amdhsa_uses_dynamic_stack 0
		.amdhsa_system_sgpr_private_segment_wavefront_offset 0
		.amdhsa_system_sgpr_workgroup_id_x 1
		.amdhsa_system_sgpr_workgroup_id_y 1
		.amdhsa_system_sgpr_workgroup_id_z 1
		.amdhsa_system_sgpr_workgroup_info 0
		.amdhsa_system_vgpr_workitem_id 1
		.amdhsa_next_free_vgpr 136
		.amdhsa_next_free_sgpr 52
		.amdhsa_accum_offset 136
		.amdhsa_reserve_vcc 1
		.amdhsa_reserve_flat_scratch 0
		.amdhsa_float_round_mode_32 0
		.amdhsa_float_round_mode_16_64 0
		.amdhsa_float_denorm_mode_32 3
		.amdhsa_float_denorm_mode_16_64 3
		.amdhsa_dx10_clamp 1
		.amdhsa_ieee_mode 1
		.amdhsa_fp16_overflow 0
		.amdhsa_tg_split 0
		.amdhsa_exception_fp_ieee_invalid_op 0
		.amdhsa_exception_fp_denorm_src 0
		.amdhsa_exception_fp_ieee_div_zero 0
		.amdhsa_exception_fp_ieee_overflow 0
		.amdhsa_exception_fp_ieee_underflow 0
		.amdhsa_exception_fp_ieee_inexact 0
		.amdhsa_exception_int_div_zero 0
	.end_amdhsa_kernel
	.section	.text._ZN12_GLOBAL__N_127rocblas_gemm_batched_kernelI19rocblas_complex_numIdELi16ELi16ELi64ELi64ELi4ELi64ELi4ELi4ELi64ELc67ELc67EKS2_S3_S2_EEvlllT_PT11_llS6_llS4_PT12_llPT13_lli,"axG",@progbits,_ZN12_GLOBAL__N_127rocblas_gemm_batched_kernelI19rocblas_complex_numIdELi16ELi16ELi64ELi64ELi4ELi64ELi4ELi4ELi64ELc67ELc67EKS2_S3_S2_EEvlllT_PT11_llS6_llS4_PT12_llPT13_lli,comdat
.Lfunc_end122:
	.size	_ZN12_GLOBAL__N_127rocblas_gemm_batched_kernelI19rocblas_complex_numIdELi16ELi16ELi64ELi64ELi4ELi64ELi4ELi4ELi64ELc67ELc67EKS2_S3_S2_EEvlllT_PT11_llS6_llS4_PT12_llPT13_lli, .Lfunc_end122-_ZN12_GLOBAL__N_127rocblas_gemm_batched_kernelI19rocblas_complex_numIdELi16ELi16ELi64ELi64ELi4ELi64ELi4ELi4ELi64ELc67ELc67EKS2_S3_S2_EEvlllT_PT11_llS6_llS4_PT12_llPT13_lli
                                        ; -- End function
	.section	.AMDGPU.csdata,"",@progbits
; Kernel info:
; codeLenInByte = 6732
; NumSgprs: 56
; NumVgprs: 136
; NumAgprs: 0
; TotalNumVgprs: 136
; ScratchSize: 0
; MemoryBound: 0
; FloatMode: 240
; IeeeMode: 1
; LDSByteSize: 8192 bytes/workgroup (compile time only)
; SGPRBlocks: 6
; VGPRBlocks: 16
; NumSGPRsForWavesPerEU: 56
; NumVGPRsForWavesPerEU: 136
; AccumOffset: 136
; Occupancy: 3
; WaveLimiterHint : 1
; COMPUTE_PGM_RSRC2:SCRATCH_EN: 0
; COMPUTE_PGM_RSRC2:USER_SGPR: 6
; COMPUTE_PGM_RSRC2:TRAP_HANDLER: 0
; COMPUTE_PGM_RSRC2:TGID_X_EN: 1
; COMPUTE_PGM_RSRC2:TGID_Y_EN: 1
; COMPUTE_PGM_RSRC2:TGID_Z_EN: 1
; COMPUTE_PGM_RSRC2:TIDIG_COMP_CNT: 1
; COMPUTE_PGM_RSRC3_GFX90A:ACCUM_OFFSET: 33
; COMPUTE_PGM_RSRC3_GFX90A:TG_SPLIT: 0
	.section	.text._ZN12_GLOBAL__N_127rocblas_gemm_batched_kernelI19rocblas_complex_numIdELi16ELi16ELi64ELi64ELi4ELi64ELi4ELi4ELi64ELc67ELc78EKS2_S3_S2_EEvlllT_PT11_llS6_llS4_PT12_llPT13_lli,"axG",@progbits,_ZN12_GLOBAL__N_127rocblas_gemm_batched_kernelI19rocblas_complex_numIdELi16ELi16ELi64ELi64ELi4ELi64ELi4ELi4ELi64ELc67ELc78EKS2_S3_S2_EEvlllT_PT11_llS6_llS4_PT12_llPT13_lli,comdat
	.globl	_ZN12_GLOBAL__N_127rocblas_gemm_batched_kernelI19rocblas_complex_numIdELi16ELi16ELi64ELi64ELi4ELi64ELi4ELi4ELi64ELc67ELc78EKS2_S3_S2_EEvlllT_PT11_llS6_llS4_PT12_llPT13_lli ; -- Begin function _ZN12_GLOBAL__N_127rocblas_gemm_batched_kernelI19rocblas_complex_numIdELi16ELi16ELi64ELi64ELi4ELi64ELi4ELi4ELi64ELc67ELc78EKS2_S3_S2_EEvlllT_PT11_llS6_llS4_PT12_llPT13_lli
	.p2align	8
	.type	_ZN12_GLOBAL__N_127rocblas_gemm_batched_kernelI19rocblas_complex_numIdELi16ELi16ELi64ELi64ELi4ELi64ELi4ELi4ELi64ELc67ELc78EKS2_S3_S2_EEvlllT_PT11_llS6_llS4_PT12_llPT13_lli,@function
_ZN12_GLOBAL__N_127rocblas_gemm_batched_kernelI19rocblas_complex_numIdELi16ELi16ELi64ELi64ELi4ELi64ELi4ELi4ELi64ELc67ELc78EKS2_S3_S2_EEvlllT_PT11_llS6_llS4_PT12_llPT13_lli: ; @_ZN12_GLOBAL__N_127rocblas_gemm_batched_kernelI19rocblas_complex_numIdELi16ELi16ELi64ELi64ELi4ELi64ELi4ELi4ELi64ELc67ELc78EKS2_S3_S2_EEvlllT_PT11_llS6_llS4_PT12_llPT13_lli
; %bb.0:
	s_load_dwordx16 s[36:51], s[4:5], 0x10
	s_load_dwordx16 s[12:27], s[4:5], 0x50
	s_mov_b32 s2, s7
	s_ashr_i32 s7, s6, 31
	s_ashr_i32 s3, s2, 31
	s_waitcnt lgkmcnt(0)
	v_cmp_lt_i64_e64 s[10:11], s[36:37], 1
	v_bfe_u32 v101, v0, 10, 10
	v_and_b32_e32 v100, 0x3ff, v0
	s_lshl_b64 s[0:1], s[6:7], 6
	s_lshl_b64 s[2:3], s[2:3], 6
	s_mov_b64 s[6:7], 0
	s_and_b64 vcc, exec, s[10:11]
	s_cbranch_vccnz .LBB123_3
; %bb.1:
	v_lshl_add_u32 v0, v101, 4, v100
	v_and_b32_e32 v4, 3, v100
	v_and_b32_e32 v5, 63, v0
	v_lshrrev_b32_e32 v1, 2, v0
	v_lshrrev_b32_e32 v6, 6, v0
	v_lshlrev_b32_e32 v0, 4, v5
	v_lshlrev_b32_e32 v4, 4, v4
	v_mov_b32_e32 v2, s3
	v_add_co_u32_e32 v3, vcc, s2, v1
	v_lshl_or_b32 v102, v6, 10, v0
	v_lshl_or_b32 v0, v1, 6, v4
	v_addc_co_u32_e32 v2, vcc, 0, v2, vcc
	v_add_u32_e32 v103, 0x1000, v0
	v_mov_b32_e32 v0, 0x1000
	v_lshl_add_u32 v105, v101, 6, v0
	v_mov_b32_e32 v0, s1
	v_add_co_u32_e32 v1, vcc, s0, v5
	v_addc_co_u32_e32 v0, vcc, 0, v0, vcc
	v_mul_lo_u32 v5, s45, v1
	v_mul_lo_u32 v7, s44, v0
	v_mad_u64_u32 v[0:1], s[10:11], s44, v1, 0
	s_mul_i32 s9, s47, s8
	s_mul_hi_u32 s10, s46, s8
	v_add3_u32 v1, v1, v7, v5
	s_add_i32 s11, s10, s9
	s_mul_i32 s10, s46, s8
	v_lshlrev_b64 v[0:1], 4, v[0:1]
	s_lshl_b64 s[10:11], s[10:11], 4
	v_mov_b32_e32 v5, s11
	v_add_co_u32_e32 v0, vcc, s10, v0
	v_addc_co_u32_e32 v1, vcc, v1, v5, vcc
	v_lshlrev_b32_e32 v5, 4, v6
	v_add_co_u32_e32 v0, vcc, v0, v5
	v_addc_co_u32_e32 v1, vcc, 0, v1, vcc
	v_mov_b32_e32 v5, s43
	v_add_co_u32_e32 v0, vcc, s42, v0
	v_addc_co_u32_e32 v1, vcc, v1, v5, vcc
	v_add_co_u32_e32 v24, vcc, 8, v0
	v_addc_co_u32_e32 v25, vcc, 0, v1, vcc
	v_mad_u64_u32 v[0:1], s[10:11], s50, v3, 0
	v_mul_lo_u32 v5, s51, v3
	v_mul_lo_u32 v2, s50, v2
	s_mul_i32 s9, s13, s8
	s_mul_hi_u32 s10, s12, s8
	v_add3_u32 v1, v1, v2, v5
	s_add_i32 s11, s10, s9
	s_mul_i32 s10, s12, s8
	v_lshlrev_b64 v[0:1], 4, v[0:1]
	s_lshl_b64 s[10:11], s[10:11], 4
	v_mov_b32_e32 v2, s11
	v_add_co_u32_e32 v0, vcc, s10, v0
	v_addc_co_u32_e32 v1, vcc, v1, v2, vcc
	v_add_co_u32_e32 v0, vcc, v0, v4
	v_addc_co_u32_e32 v1, vcc, 0, v1, vcc
	v_mov_b32_e32 v2, s49
	v_add_co_u32_e32 v26, vcc, s48, v0
	v_lshlrev_b32_e32 v104, 4, v100
	v_addc_co_u32_e32 v27, vcc, v2, v1, vcc
	v_pk_mov_b32 v[8:9], 0, 0
	v_pk_mov_b32 v[28:29], s[36:37], s[36:37] op_sel:[0,1]
	v_pk_mov_b32 v[10:11], 0, 0
	v_pk_mov_b32 v[14:15], 0, 0
	;; [unrolled: 1-line block ×31, first 2 shown]
.LBB123_2:                              ; =>This Inner Loop Header: Depth=1
	global_load_dwordx4 v[0:3], v[24:25], off offset:-8
	v_add_co_u32_e32 v24, vcc, 64, v24
	v_addc_co_u32_e32 v25, vcc, 0, v25, vcc
	s_add_u32 s6, s6, 4
	s_addc_u32 s7, s7, 0
	s_waitcnt vmcnt(0)
	v_xor_b32_e32 v3, 0x80000000, v3
	ds_write_b128 v102, v[0:3]
	global_load_dwordx4 v[0:3], v[26:27], off
	v_add_co_u32_e32 v26, vcc, 64, v26
	v_addc_co_u32_e32 v27, vcc, 0, v27, vcc
	v_cmp_lt_i64_e32 vcc, s[6:7], v[28:29]
	s_and_b64 vcc, exec, vcc
	s_waitcnt vmcnt(0)
	ds_write2_b64 v103, v[0:1], v[2:3] offset1:1
	s_waitcnt lgkmcnt(0)
	s_barrier
	ds_read_b128 v[78:81], v105
	ds_read_b128 v[106:109], v105 offset:16
	ds_read_b128 v[4:7], v105 offset:32
	;; [unrolled: 1-line block ×3, first 2 shown]
	ds_read_b128 v[110:113], v104
	ds_read_b128 v[114:117], v104 offset:256
	s_waitcnt lgkmcnt(1)
	v_mul_f64 v[82:83], v[80:81], v[112:113]
	v_mul_f64 v[84:85], v[78:79], v[112:113]
	v_fma_f64 v[82:83], v[78:79], v[110:111], -v[82:83]
	v_fmac_f64_e32 v[84:85], v[80:81], v[110:111]
	v_add_f64 v[118:119], v[60:61], v[82:83]
	v_add_f64 v[120:121], v[64:65], v[84:85]
	s_waitcnt lgkmcnt(0)
	v_mul_f64 v[60:61], v[80:81], v[116:117]
	v_mul_f64 v[64:65], v[78:79], v[116:117]
	v_fma_f64 v[60:61], v[78:79], v[114:115], -v[60:61]
	v_fmac_f64_e32 v[64:65], v[80:81], v[114:115]
	v_add_f64 v[122:123], v[38:39], v[60:61]
	v_add_f64 v[124:125], v[40:41], v[64:65]
	ds_read_b128 v[38:41], v104 offset:512
	s_waitcnt lgkmcnt(0)
	v_mul_f64 v[60:61], v[80:81], v[40:41]
	v_mul_f64 v[64:65], v[78:79], v[40:41]
	v_fma_f64 v[60:61], v[78:79], v[38:39], -v[60:61]
	v_fmac_f64_e32 v[64:65], v[80:81], v[38:39]
	v_add_f64 v[126:127], v[30:31], v[60:61]
	v_add_f64 v[128:129], v[32:33], v[64:65]
	ds_read_b128 v[30:33], v104 offset:768
	s_waitcnt lgkmcnt(0)
	v_mul_f64 v[60:61], v[80:81], v[32:33]
	v_mul_f64 v[64:65], v[78:79], v[32:33]
	v_fma_f64 v[60:61], v[78:79], v[30:31], -v[60:61]
	v_fmac_f64_e32 v[64:65], v[80:81], v[30:31]
	v_add_f64 v[130:131], v[20:21], v[60:61]
	v_add_f64 v[132:133], v[22:23], v[64:65]
	ds_read_b128 v[20:23], v105 offset:1024
	s_waitcnt lgkmcnt(0)
	v_mul_f64 v[60:61], v[22:23], v[112:113]
	v_fma_f64 v[60:61], v[20:21], v[110:111], -v[60:61]
	v_mul_f64 v[78:79], v[20:21], v[112:113]
	v_add_f64 v[64:65], v[70:71], v[60:61]
	v_mul_f64 v[60:61], v[22:23], v[116:117]
	v_fmac_f64_e32 v[78:79], v[22:23], v[110:111]
	v_fma_f64 v[60:61], v[20:21], v[114:115], -v[60:61]
	v_add_f64 v[70:71], v[72:73], v[78:79]
	v_mul_f64 v[72:73], v[20:21], v[116:117]
	v_add_f64 v[66:67], v[66:67], v[60:61]
	v_mul_f64 v[60:61], v[22:23], v[40:41]
	v_fmac_f64_e32 v[72:73], v[22:23], v[114:115]
	v_fma_f64 v[60:61], v[20:21], v[38:39], -v[60:61]
	v_add_f64 v[68:69], v[68:69], v[72:73]
	v_add_f64 v[72:73], v[54:55], v[60:61]
	v_mul_f64 v[54:55], v[22:23], v[32:33]
	v_mul_f64 v[78:79], v[20:21], v[40:41]
	v_fma_f64 v[54:55], v[20:21], v[30:31], -v[54:55]
	v_mul_f64 v[20:21], v[20:21], v[32:33]
	v_fmac_f64_e32 v[20:21], v[22:23], v[30:31]
	v_fmac_f64_e32 v[78:79], v[22:23], v[38:39]
	v_add_f64 v[98:99], v[48:49], v[20:21]
	ds_read_b128 v[20:23], v105 offset:2048
	v_add_f64 v[96:97], v[46:47], v[54:55]
	v_add_f64 v[94:95], v[56:57], v[78:79]
	s_waitcnt lgkmcnt(0)
	v_mul_f64 v[46:47], v[22:23], v[112:113]
	v_fma_f64 v[46:47], v[20:21], v[110:111], -v[46:47]
	v_add_f64 v[78:79], v[58:59], v[46:47]
	v_mul_f64 v[46:47], v[22:23], v[116:117]
	v_mul_f64 v[48:49], v[20:21], v[112:113]
	v_fma_f64 v[46:47], v[20:21], v[114:115], -v[46:47]
	v_fmac_f64_e32 v[48:49], v[22:23], v[110:111]
	v_add_f64 v[82:83], v[50:51], v[46:47]
	v_mul_f64 v[46:47], v[22:23], v[40:41]
	v_add_f64 v[80:81], v[62:63], v[48:49]
	v_mul_f64 v[48:49], v[20:21], v[116:117]
	v_fma_f64 v[46:47], v[20:21], v[38:39], -v[46:47]
	v_fmac_f64_e32 v[48:49], v[22:23], v[114:115]
	v_add_f64 v[86:87], v[42:43], v[46:47]
	v_mul_f64 v[42:43], v[22:23], v[32:33]
	v_add_f64 v[84:85], v[52:53], v[48:49]
	v_mul_f64 v[48:49], v[20:21], v[40:41]
	v_fma_f64 v[42:43], v[20:21], v[30:31], -v[42:43]
	v_mul_f64 v[20:21], v[20:21], v[32:33]
	v_fmac_f64_e32 v[20:21], v[22:23], v[30:31]
	v_fmac_f64_e32 v[48:49], v[22:23], v[38:39]
	v_add_f64 v[92:93], v[36:37], v[20:21]
	ds_read_b128 v[20:23], v105 offset:3072
	v_add_f64 v[90:91], v[34:35], v[42:43]
	v_add_f64 v[88:89], v[44:45], v[48:49]
	s_waitcnt lgkmcnt(0)
	v_mul_f64 v[34:35], v[22:23], v[112:113]
	v_mul_f64 v[36:37], v[20:21], v[112:113]
	v_fma_f64 v[34:35], v[20:21], v[110:111], -v[34:35]
	v_fmac_f64_e32 v[36:37], v[22:23], v[110:111]
	v_add_f64 v[58:59], v[74:75], v[34:35]
	v_add_f64 v[60:61], v[76:77], v[36:37]
	v_mul_f64 v[34:35], v[22:23], v[116:117]
	v_mul_f64 v[36:37], v[20:21], v[116:117]
	v_fma_f64 v[34:35], v[20:21], v[114:115], -v[34:35]
	v_fmac_f64_e32 v[36:37], v[22:23], v[114:115]
	v_add_f64 v[54:55], v[16:17], v[34:35]
	v_add_f64 v[56:57], v[18:19], v[36:37]
	v_mul_f64 v[16:17], v[22:23], v[40:41]
	v_mul_f64 v[18:19], v[20:21], v[40:41]
	v_fma_f64 v[16:17], v[20:21], v[38:39], -v[16:17]
	v_fmac_f64_e32 v[18:19], v[22:23], v[38:39]
	v_add_f64 v[50:51], v[12:13], v[16:17]
	v_add_f64 v[52:53], v[14:15], v[18:19]
	v_mul_f64 v[12:13], v[22:23], v[32:33]
	v_mul_f64 v[14:15], v[20:21], v[32:33]
	v_fma_f64 v[12:13], v[20:21], v[30:31], -v[12:13]
	v_fmac_f64_e32 v[14:15], v[22:23], v[30:31]
	ds_read_b128 v[20:23], v104 offset:1024
	ds_read_b128 v[16:19], v104 offset:1280
	v_add_f64 v[46:47], v[10:11], v[12:13]
	v_add_f64 v[48:49], v[8:9], v[14:15]
	ds_read_b128 v[12:15], v104 offset:1536
	ds_read_b128 v[74:77], v105 offset:1040
	s_waitcnt lgkmcnt(3)
	v_mul_f64 v[8:9], v[108:109], v[22:23]
	v_mul_f64 v[10:11], v[106:107], v[22:23]
	v_fma_f64 v[8:9], v[106:107], v[20:21], -v[8:9]
	v_fmac_f64_e32 v[10:11], v[108:109], v[20:21]
	v_add_f64 v[42:43], v[118:119], v[8:9]
	v_add_f64 v[44:45], v[120:121], v[10:11]
	s_waitcnt lgkmcnt(2)
	v_mul_f64 v[8:9], v[108:109], v[18:19]
	v_mul_f64 v[10:11], v[106:107], v[18:19]
	v_fma_f64 v[8:9], v[106:107], v[16:17], -v[8:9]
	v_fmac_f64_e32 v[10:11], v[108:109], v[16:17]
	v_add_f64 v[38:39], v[122:123], v[8:9]
	v_add_f64 v[40:41], v[124:125], v[10:11]
	;; [unrolled: 7-line block ×3, first 2 shown]
	ds_read_b128 v[8:11], v104 offset:1792
	s_waitcnt lgkmcnt(1)
	v_mul_f64 v[62:63], v[76:77], v[22:23]
	v_fma_f64 v[62:63], v[74:75], v[20:21], -v[62:63]
	v_add_f64 v[62:63], v[64:65], v[62:63]
	s_waitcnt lgkmcnt(0)
	v_mul_f64 v[30:31], v[108:109], v[10:11]
	v_fma_f64 v[30:31], v[106:107], v[8:9], -v[30:31]
	v_mul_f64 v[32:33], v[106:107], v[10:11]
	v_mul_f64 v[106:107], v[74:75], v[22:23]
	v_fmac_f64_e32 v[106:107], v[76:77], v[20:21]
	v_add_f64 v[64:65], v[70:71], v[106:107]
	v_mul_f64 v[70:71], v[76:77], v[18:19]
	v_mul_f64 v[106:107], v[74:75], v[18:19]
	v_fma_f64 v[70:71], v[74:75], v[16:17], -v[70:71]
	v_fmac_f64_e32 v[106:107], v[76:77], v[16:17]
	v_add_f64 v[66:67], v[66:67], v[70:71]
	v_add_f64 v[68:69], v[68:69], v[106:107]
	v_mul_f64 v[70:71], v[76:77], v[14:15]
	v_mul_f64 v[106:107], v[74:75], v[14:15]
	v_fma_f64 v[70:71], v[74:75], v[12:13], -v[70:71]
	v_fmac_f64_e32 v[106:107], v[76:77], v[12:13]
	v_add_f64 v[70:71], v[72:73], v[70:71]
	v_add_f64 v[72:73], v[94:95], v[106:107]
	v_mul_f64 v[94:95], v[76:77], v[10:11]
	v_fma_f64 v[94:95], v[74:75], v[8:9], -v[94:95]
	v_mul_f64 v[106:107], v[74:75], v[10:11]
	v_add_f64 v[74:75], v[96:97], v[94:95]
	ds_read_b128 v[94:97], v105 offset:2064
	v_fmac_f64_e32 v[106:107], v[76:77], v[8:9]
	v_add_f64 v[76:77], v[98:99], v[106:107]
	v_fmac_f64_e32 v[32:33], v[108:109], v[8:9]
	v_add_f64 v[32:33], v[132:133], v[32:33]
	s_waitcnt lgkmcnt(0)
	v_mul_f64 v[98:99], v[96:97], v[22:23]
	v_mul_f64 v[106:107], v[94:95], v[22:23]
	v_fma_f64 v[98:99], v[94:95], v[20:21], -v[98:99]
	v_fmac_f64_e32 v[106:107], v[96:97], v[20:21]
	v_add_f64 v[78:79], v[78:79], v[98:99]
	v_add_f64 v[80:81], v[80:81], v[106:107]
	v_mul_f64 v[98:99], v[96:97], v[18:19]
	v_mul_f64 v[106:107], v[94:95], v[18:19]
	v_fma_f64 v[98:99], v[94:95], v[16:17], -v[98:99]
	v_fmac_f64_e32 v[106:107], v[96:97], v[16:17]
	v_add_f64 v[82:83], v[82:83], v[98:99]
	v_add_f64 v[84:85], v[84:85], v[106:107]
	v_mul_f64 v[98:99], v[96:97], v[14:15]
	v_mul_f64 v[106:107], v[94:95], v[14:15]
	v_fma_f64 v[98:99], v[94:95], v[12:13], -v[98:99]
	v_fmac_f64_e32 v[106:107], v[96:97], v[12:13]
	v_add_f64 v[86:87], v[86:87], v[98:99]
	v_add_f64 v[88:89], v[88:89], v[106:107]
	v_mul_f64 v[98:99], v[96:97], v[10:11]
	v_mul_f64 v[106:107], v[94:95], v[10:11]
	v_fma_f64 v[98:99], v[94:95], v[8:9], -v[98:99]
	v_fmac_f64_e32 v[106:107], v[96:97], v[8:9]
	v_add_f64 v[94:95], v[90:91], v[98:99]
	v_add_f64 v[96:97], v[92:93], v[106:107]
	ds_read_b128 v[90:93], v105 offset:3088
	v_add_f64 v[30:31], v[130:131], v[30:31]
	s_waitcnt lgkmcnt(0)
	v_mul_f64 v[98:99], v[92:93], v[22:23]
	v_mul_f64 v[22:23], v[90:91], v[22:23]
	v_fma_f64 v[98:99], v[90:91], v[20:21], -v[98:99]
	v_fmac_f64_e32 v[22:23], v[92:93], v[20:21]
	v_mul_f64 v[20:21], v[92:93], v[18:19]
	v_mul_f64 v[18:19], v[90:91], v[18:19]
	v_fma_f64 v[20:21], v[90:91], v[16:17], -v[20:21]
	v_fmac_f64_e32 v[18:19], v[92:93], v[16:17]
	;; [unrolled: 4-line block ×3, first 2 shown]
	v_mul_f64 v[12:13], v[92:93], v[10:11]
	v_mul_f64 v[10:11], v[90:91], v[10:11]
	v_fmac_f64_e32 v[10:11], v[92:93], v[8:9]
	v_fma_f64 v[12:13], v[90:91], v[8:9], -v[12:13]
	v_add_f64 v[116:117], v[48:49], v[10:11]
	ds_read_b128 v[8:11], v104 offset:2048
	v_add_f64 v[112:113], v[52:53], v[14:15]
	v_add_f64 v[114:115], v[46:47], v[12:13]
	;; [unrolled: 1-line block ×4, first 2 shown]
	s_waitcnt lgkmcnt(0)
	v_mul_f64 v[12:13], v[6:7], v[10:11]
	v_mul_f64 v[14:15], v[4:5], v[10:11]
	v_fma_f64 v[12:13], v[4:5], v[8:9], -v[12:13]
	v_fmac_f64_e32 v[14:15], v[6:7], v[8:9]
	v_add_f64 v[118:119], v[42:43], v[12:13]
	v_add_f64 v[120:121], v[44:45], v[14:15]
	ds_read_b128 v[12:15], v104 offset:2304
	v_add_f64 v[60:61], v[60:61], v[22:23]
	v_add_f64 v[106:107], v[54:55], v[20:21]
	;; [unrolled: 1-line block ×3, first 2 shown]
	s_waitcnt lgkmcnt(0)
	v_mul_f64 v[16:17], v[6:7], v[14:15]
	v_mul_f64 v[18:19], v[4:5], v[14:15]
	v_fma_f64 v[16:17], v[4:5], v[12:13], -v[16:17]
	v_fmac_f64_e32 v[18:19], v[6:7], v[12:13]
	v_add_f64 v[38:39], v[38:39], v[16:17]
	v_add_f64 v[40:41], v[40:41], v[18:19]
	ds_read_b128 v[16:19], v104 offset:2560
	s_waitcnt lgkmcnt(0)
	v_mul_f64 v[20:21], v[6:7], v[18:19]
	v_mul_f64 v[22:23], v[4:5], v[18:19]
	v_fma_f64 v[20:21], v[4:5], v[16:17], -v[20:21]
	v_fmac_f64_e32 v[22:23], v[6:7], v[16:17]
	v_add_f64 v[122:123], v[34:35], v[20:21]
	v_add_f64 v[124:125], v[36:37], v[22:23]
	ds_read_b128 v[20:23], v104 offset:2816
	s_waitcnt lgkmcnt(0)
	v_mul_f64 v[34:35], v[6:7], v[22:23]
	v_fma_f64 v[34:35], v[4:5], v[20:21], -v[34:35]
	v_mul_f64 v[4:5], v[4:5], v[22:23]
	v_fmac_f64_e32 v[4:5], v[6:7], v[20:21]
	v_add_f64 v[128:129], v[32:33], v[4:5]
	ds_read_b128 v[4:7], v105 offset:1056
	v_add_f64 v[126:127], v[30:31], v[34:35]
	s_waitcnt lgkmcnt(0)
	v_mul_f64 v[30:31], v[6:7], v[10:11]
	v_fma_f64 v[30:31], v[4:5], v[8:9], -v[30:31]
	v_add_f64 v[46:47], v[62:63], v[30:31]
	v_mul_f64 v[30:31], v[6:7], v[14:15]
	v_mul_f64 v[32:33], v[4:5], v[10:11]
	v_fma_f64 v[30:31], v[4:5], v[12:13], -v[30:31]
	v_fmac_f64_e32 v[32:33], v[6:7], v[8:9]
	v_add_f64 v[50:51], v[66:67], v[30:31]
	v_mul_f64 v[30:31], v[6:7], v[18:19]
	v_add_f64 v[48:49], v[64:65], v[32:33]
	v_mul_f64 v[32:33], v[4:5], v[14:15]
	v_fma_f64 v[30:31], v[4:5], v[16:17], -v[30:31]
	v_fmac_f64_e32 v[32:33], v[6:7], v[12:13]
	v_add_f64 v[54:55], v[70:71], v[30:31]
	v_mul_f64 v[30:31], v[6:7], v[22:23]
	v_add_f64 v[52:53], v[68:69], v[32:33]
	v_mul_f64 v[32:33], v[4:5], v[18:19]
	v_fma_f64 v[30:31], v[4:5], v[20:21], -v[30:31]
	v_mul_f64 v[4:5], v[4:5], v[22:23]
	v_fmac_f64_e32 v[4:5], v[6:7], v[20:21]
	v_fmac_f64_e32 v[32:33], v[6:7], v[16:17]
	v_add_f64 v[62:63], v[76:77], v[4:5]
	ds_read_b128 v[4:7], v105 offset:2080
	v_add_f64 v[58:59], v[74:75], v[30:31]
	v_add_f64 v[56:57], v[72:73], v[32:33]
	s_waitcnt lgkmcnt(0)
	v_mul_f64 v[30:31], v[6:7], v[10:11]
	v_fma_f64 v[30:31], v[4:5], v[8:9], -v[30:31]
	v_add_f64 v[34:35], v[78:79], v[30:31]
	v_mul_f64 v[30:31], v[6:7], v[14:15]
	v_mul_f64 v[32:33], v[4:5], v[10:11]
	v_fma_f64 v[30:31], v[4:5], v[12:13], -v[30:31]
	v_fmac_f64_e32 v[32:33], v[6:7], v[8:9]
	v_add_f64 v[42:43], v[82:83], v[30:31]
	v_mul_f64 v[30:31], v[6:7], v[18:19]
	v_add_f64 v[36:37], v[80:81], v[32:33]
	v_mul_f64 v[32:33], v[4:5], v[14:15]
	v_fma_f64 v[30:31], v[4:5], v[16:17], -v[30:31]
	v_fmac_f64_e32 v[32:33], v[6:7], v[12:13]
	v_add_f64 v[90:91], v[86:87], v[30:31]
	v_mul_f64 v[30:31], v[6:7], v[22:23]
	v_add_f64 v[44:45], v[84:85], v[32:33]
	v_mul_f64 v[32:33], v[4:5], v[18:19]
	v_fma_f64 v[30:31], v[4:5], v[20:21], -v[30:31]
	v_mul_f64 v[4:5], v[4:5], v[22:23]
	v_fmac_f64_e32 v[4:5], v[6:7], v[20:21]
	v_fmac_f64_e32 v[32:33], v[6:7], v[16:17]
	v_add_f64 v[96:97], v[96:97], v[4:5]
	ds_read_b128 v[4:7], v105 offset:3104
	v_add_f64 v[94:95], v[94:95], v[30:31]
	v_add_f64 v[92:93], v[88:89], v[32:33]
	s_waitcnt lgkmcnt(0)
	v_mul_f64 v[30:31], v[6:7], v[10:11]
	v_mul_f64 v[10:11], v[4:5], v[10:11]
	v_fmac_f64_e32 v[10:11], v[6:7], v[8:9]
	v_fma_f64 v[30:31], v[4:5], v[8:9], -v[30:31]
	v_add_f64 v[76:77], v[60:61], v[10:11]
	v_mul_f64 v[8:9], v[6:7], v[14:15]
	v_mul_f64 v[10:11], v[4:5], v[14:15]
	v_fma_f64 v[8:9], v[4:5], v[12:13], -v[8:9]
	v_fmac_f64_e32 v[10:11], v[6:7], v[12:13]
	v_add_f64 v[86:87], v[106:107], v[8:9]
	v_add_f64 v[88:89], v[108:109], v[10:11]
	v_mul_f64 v[8:9], v[6:7], v[18:19]
	v_mul_f64 v[10:11], v[4:5], v[18:19]
	v_fma_f64 v[8:9], v[4:5], v[16:17], -v[8:9]
	v_fmac_f64_e32 v[10:11], v[6:7], v[16:17]
	ds_read_b128 v[16:19], v104 offset:3072
	ds_read_b128 v[12:15], v104 offset:3328
	v_add_f64 v[82:83], v[110:111], v[8:9]
	v_mul_f64 v[8:9], v[6:7], v[22:23]
	v_fma_f64 v[8:9], v[4:5], v[20:21], -v[8:9]
	v_mul_f64 v[4:5], v[4:5], v[22:23]
	v_add_f64 v[84:85], v[112:113], v[10:11]
	v_fmac_f64_e32 v[4:5], v[6:7], v[20:21]
	v_add_f64 v[78:79], v[114:115], v[8:9]
	ds_read_b128 v[8:11], v104 offset:3584
	v_add_f64 v[80:81], v[116:117], v[4:5]
	s_waitcnt lgkmcnt(2)
	v_mul_f64 v[4:5], v[2:3], v[18:19]
	v_mul_f64 v[6:7], v[0:1], v[18:19]
	v_fma_f64 v[4:5], v[0:1], v[16:17], -v[4:5]
	v_fmac_f64_e32 v[6:7], v[2:3], v[16:17]
	v_add_f64 v[60:61], v[118:119], v[4:5]
	v_add_f64 v[64:65], v[120:121], v[6:7]
	s_waitcnt lgkmcnt(1)
	v_mul_f64 v[4:5], v[2:3], v[14:15]
	v_mul_f64 v[6:7], v[0:1], v[14:15]
	v_fma_f64 v[4:5], v[0:1], v[12:13], -v[4:5]
	v_fmac_f64_e32 v[6:7], v[2:3], v[12:13]
	v_add_f64 v[38:39], v[38:39], v[4:5]
	;; [unrolled: 7-line block ×3, first 2 shown]
	v_add_f64 v[30:31], v[122:123], v[4:5]
	v_add_f64 v[32:33], v[124:125], v[6:7]
	ds_read_b128 v[4:7], v104 offset:3840
	s_waitcnt lgkmcnt(0)
	v_mul_f64 v[20:21], v[2:3], v[6:7]
	v_fma_f64 v[20:21], v[0:1], v[4:5], -v[20:21]
	v_mul_f64 v[0:1], v[0:1], v[6:7]
	v_fmac_f64_e32 v[0:1], v[2:3], v[4:5]
	v_add_f64 v[22:23], v[128:129], v[0:1]
	ds_read_b128 v[0:3], v105 offset:1072
	v_add_f64 v[20:21], v[126:127], v[20:21]
	s_waitcnt lgkmcnt(0)
	v_mul_f64 v[66:67], v[2:3], v[18:19]
	v_fma_f64 v[66:67], v[0:1], v[16:17], -v[66:67]
	v_add_f64 v[70:71], v[46:47], v[66:67]
	v_mul_f64 v[46:47], v[2:3], v[14:15]
	v_mul_f64 v[68:69], v[0:1], v[18:19]
	v_fma_f64 v[46:47], v[0:1], v[12:13], -v[46:47]
	v_fmac_f64_e32 v[68:69], v[2:3], v[16:17]
	v_add_f64 v[66:67], v[50:51], v[46:47]
	v_mul_f64 v[46:47], v[2:3], v[10:11]
	v_add_f64 v[72:73], v[48:49], v[68:69]
	v_mul_f64 v[48:49], v[0:1], v[14:15]
	v_fma_f64 v[46:47], v[0:1], v[8:9], -v[46:47]
	v_fmac_f64_e32 v[48:49], v[2:3], v[12:13]
	v_add_f64 v[54:55], v[54:55], v[46:47]
	v_mul_f64 v[46:47], v[2:3], v[6:7]
	v_add_f64 v[68:69], v[52:53], v[48:49]
	v_mul_f64 v[48:49], v[0:1], v[10:11]
	v_fma_f64 v[46:47], v[0:1], v[4:5], -v[46:47]
	v_mul_f64 v[0:1], v[0:1], v[6:7]
	v_fmac_f64_e32 v[48:49], v[2:3], v[8:9]
	v_fmac_f64_e32 v[0:1], v[2:3], v[4:5]
	v_add_f64 v[56:57], v[56:57], v[48:49]
	v_add_f64 v[48:49], v[62:63], v[0:1]
	ds_read_b128 v[0:3], v105 offset:2096
	v_add_f64 v[46:47], v[58:59], v[46:47]
	s_waitcnt lgkmcnt(0)
	v_mul_f64 v[50:51], v[2:3], v[18:19]
	v_fma_f64 v[50:51], v[0:1], v[16:17], -v[50:51]
	v_add_f64 v[58:59], v[34:35], v[50:51]
	v_mul_f64 v[34:35], v[2:3], v[14:15]
	v_mul_f64 v[52:53], v[0:1], v[18:19]
	v_fma_f64 v[34:35], v[0:1], v[12:13], -v[34:35]
	v_fmac_f64_e32 v[52:53], v[2:3], v[16:17]
	v_add_f64 v[50:51], v[42:43], v[34:35]
	v_mul_f64 v[34:35], v[2:3], v[10:11]
	v_add_f64 v[62:63], v[36:37], v[52:53]
	v_mul_f64 v[36:37], v[0:1], v[14:15]
	v_fma_f64 v[34:35], v[0:1], v[8:9], -v[34:35]
	v_fmac_f64_e32 v[36:37], v[2:3], v[12:13]
	v_add_f64 v[42:43], v[90:91], v[34:35]
	v_mul_f64 v[34:35], v[2:3], v[6:7]
	v_add_f64 v[52:53], v[44:45], v[36:37]
	v_mul_f64 v[36:37], v[0:1], v[10:11]
	v_fma_f64 v[34:35], v[0:1], v[4:5], -v[34:35]
	v_mul_f64 v[0:1], v[0:1], v[6:7]
	v_fmac_f64_e32 v[36:37], v[2:3], v[8:9]
	v_fmac_f64_e32 v[0:1], v[2:3], v[4:5]
	v_add_f64 v[44:45], v[92:93], v[36:37]
	v_add_f64 v[36:37], v[96:97], v[0:1]
	ds_read_b128 v[0:3], v105 offset:3120
	v_add_f64 v[34:35], v[94:95], v[34:35]
	s_waitcnt lgkmcnt(0)
	s_barrier
	v_mul_f64 v[90:91], v[2:3], v[18:19]
	v_mul_f64 v[18:19], v[0:1], v[18:19]
	v_fma_f64 v[90:91], v[0:1], v[16:17], -v[90:91]
	v_fmac_f64_e32 v[18:19], v[2:3], v[16:17]
	v_mul_f64 v[16:17], v[2:3], v[14:15]
	v_mul_f64 v[14:15], v[0:1], v[14:15]
	v_fma_f64 v[16:17], v[0:1], v[12:13], -v[16:17]
	v_fmac_f64_e32 v[14:15], v[2:3], v[12:13]
	;; [unrolled: 4-line block ×3, first 2 shown]
	v_mul_f64 v[8:9], v[2:3], v[6:7]
	v_fma_f64 v[8:9], v[0:1], v[4:5], -v[8:9]
	v_mul_f64 v[0:1], v[0:1], v[6:7]
	v_fmac_f64_e32 v[0:1], v[2:3], v[4:5]
	v_add_f64 v[74:75], v[74:75], v[90:91]
	v_add_f64 v[76:77], v[76:77], v[18:19]
	;; [unrolled: 1-line block ×8, first 2 shown]
	s_cbranch_vccnz .LBB123_2
	s_branch .LBB123_4
.LBB123_3:
	v_pk_mov_b32 v[60:61], 0, 0
	v_pk_mov_b32 v[64:65], 0, 0
	;; [unrolled: 1-line block ×32, first 2 shown]
.LBB123_4:
	s_load_dwordx2 s[4:5], s[4:5], 0x90
	v_mov_b32_e32 v0, s3
	v_add_co_u32_e32 v6, vcc, s2, v101
	v_addc_co_u32_e32 v7, vcc, 0, v0, vcc
	s_waitcnt lgkmcnt(0)
	s_mul_i32 s3, s8, s5
	s_mul_hi_u32 s5, s8, s4
	s_mul_i32 s4, s8, s4
	s_add_i32 s5, s5, s3
	s_lshl_b64 s[4:5], s[4:5], 4
	s_add_u32 s4, s24, s4
	v_cmp_neq_f64_e64 s[6:7], s[14:15], 0
	v_cmp_neq_f64_e64 s[10:11], s[16:17], 0
	v_mov_b32_e32 v1, s1
	v_add_co_u32_e32 v0, vcc, s0, v100
	s_addc_u32 s5, s25, s5
	s_or_b64 s[6:7], s[6:7], s[10:11]
	v_addc_co_u32_e32 v1, vcc, 0, v1, vcc
	s_mov_b64 s[2:3], 0
	s_and_b64 vcc, exec, s[6:7]
	s_cbranch_vccnz .LBB123_6
; %bb.5:
	v_mul_lo_u32 v4, v7, s26
	v_mul_lo_u32 v5, v6, s27
	v_mad_u64_u32 v[2:3], s[0:1], v6, s26, 0
	v_add3_u32 v3, v3, v5, v4
	v_lshlrev_b64 v[2:3], 4, v[2:3]
	v_mov_b32_e32 v4, s5
	v_add_co_u32_e32 v26, vcc, s4, v2
	v_addc_co_u32_e32 v27, vcc, v4, v3, vcc
	v_lshlrev_b64 v[24:25], 4, v[0:1]
	v_mul_f64 v[2:3], s[40:41], v[64:65]
	v_mul_f64 v[4:5], s[38:39], v[64:65]
	v_add_co_u32_e32 v24, vcc, v26, v24
	v_fma_f64 v[2:3], s[38:39], v[60:61], -v[2:3]
	v_fmac_f64_e32 v[4:5], s[40:41], v[60:61]
	v_addc_co_u32_e32 v25, vcc, v27, v25, vcc
	global_store_dwordx4 v[24:25], v[2:5], off
	s_lshl_b64 s[0:1], s[26:27], 8
	v_mul_f64 v[2:3], s[40:41], v[40:41]
	v_mul_f64 v[4:5], s[38:39], v[40:41]
	v_fma_f64 v[2:3], s[38:39], v[38:39], -v[2:3]
	v_fmac_f64_e32 v[4:5], s[40:41], v[38:39]
	global_store_dwordx4 v[24:25], v[2:5], off offset:256
	v_mov_b32_e32 v26, s1
	v_mul_f64 v[2:3], s[40:41], v[32:33]
	v_mul_f64 v[4:5], s[38:39], v[32:33]
	v_fma_f64 v[2:3], s[38:39], v[30:31], -v[2:3]
	v_fmac_f64_e32 v[4:5], s[40:41], v[30:31]
	global_store_dwordx4 v[24:25], v[2:5], off offset:512
	s_nop 0
	v_mul_f64 v[2:3], s[40:41], v[22:23]
	v_mul_f64 v[4:5], s[38:39], v[22:23]
	v_fma_f64 v[2:3], s[38:39], v[20:21], -v[2:3]
	v_fmac_f64_e32 v[4:5], s[40:41], v[20:21]
	global_store_dwordx4 v[24:25], v[2:5], off offset:768
	v_add_co_u32_e32 v24, vcc, s0, v24
	v_mul_f64 v[2:3], s[40:41], v[72:73]
	v_mul_f64 v[4:5], s[38:39], v[72:73]
	v_fma_f64 v[2:3], s[38:39], v[70:71], -v[2:3]
	v_fmac_f64_e32 v[4:5], s[40:41], v[70:71]
	v_addc_co_u32_e32 v25, vcc, v25, v26, vcc
	global_store_dwordx4 v[24:25], v[2:5], off
	s_nop 0
	v_mul_f64 v[2:3], s[40:41], v[68:69]
	v_mul_f64 v[4:5], s[38:39], v[68:69]
	v_fma_f64 v[2:3], s[38:39], v[66:67], -v[2:3]
	v_fmac_f64_e32 v[4:5], s[40:41], v[66:67]
	global_store_dwordx4 v[24:25], v[2:5], off offset:256
	s_nop 0
	v_mul_f64 v[2:3], s[40:41], v[56:57]
	v_mul_f64 v[4:5], s[38:39], v[56:57]
	v_fma_f64 v[2:3], s[38:39], v[54:55], -v[2:3]
	v_fmac_f64_e32 v[4:5], s[40:41], v[54:55]
	global_store_dwordx4 v[24:25], v[2:5], off offset:512
	s_nop 0
	v_mul_f64 v[2:3], s[40:41], v[48:49]
	v_mul_f64 v[4:5], s[38:39], v[48:49]
	v_fma_f64 v[2:3], s[38:39], v[46:47], -v[2:3]
	v_fmac_f64_e32 v[4:5], s[40:41], v[46:47]
	global_store_dwordx4 v[24:25], v[2:5], off offset:768
	v_add_co_u32_e32 v24, vcc, s0, v24
	v_mul_f64 v[2:3], s[40:41], v[62:63]
	v_mul_f64 v[4:5], s[38:39], v[62:63]
	v_fma_f64 v[2:3], s[38:39], v[58:59], -v[2:3]
	v_fmac_f64_e32 v[4:5], s[40:41], v[58:59]
	v_addc_co_u32_e32 v25, vcc, v25, v26, vcc
	global_store_dwordx4 v[24:25], v[2:5], off
	s_nop 0
	v_mul_f64 v[2:3], s[40:41], v[52:53]
	v_mul_f64 v[4:5], s[38:39], v[52:53]
	v_fma_f64 v[2:3], s[38:39], v[50:51], -v[2:3]
	v_fmac_f64_e32 v[4:5], s[40:41], v[50:51]
	global_store_dwordx4 v[24:25], v[2:5], off offset:256
	s_nop 0
	;; [unrolled: 25-line block ×3, first 2 shown]
	v_mul_f64 v[2:3], s[40:41], v[14:15]
	v_mul_f64 v[4:5], s[38:39], v[14:15]
	v_fma_f64 v[2:3], s[38:39], v[12:13], -v[2:3]
	v_fmac_f64_e32 v[4:5], s[40:41], v[12:13]
	global_store_dwordx4 v[24:25], v[2:5], off offset:512
	s_nop 0
	v_mul_f64 v[2:3], s[40:41], v[8:9]
	v_fma_f64 v[26:27], s[38:39], v[10:11], -v[2:3]
	v_mul_f64 v[4:5], s[38:39], v[8:9]
	v_add_co_u32_e32 v2, vcc, 0x300, v24
	v_fmac_f64_e32 v[4:5], s[40:41], v[10:11]
	v_addc_co_u32_e32 v3, vcc, 0, v25, vcc
	global_store_dwordx2 v[24:25], v[26:27], off offset:768
	s_andn2_b64 vcc, exec, s[2:3]
	s_cbranch_vccz .LBB123_7
	s_branch .LBB123_8
.LBB123_6:
                                        ; implicit-def: $vgpr4_vgpr5
                                        ; implicit-def: $vgpr2_vgpr3
.LBB123_7:
	s_mul_i32 s0, s8, s23
	s_mul_hi_u32 s1, s8, s22
	s_add_i32 s1, s1, s0
	s_mul_i32 s0, s8, s22
	s_lshl_b64 s[0:1], s[0:1], 4
	s_add_u32 s2, s18, s0
	s_addc_u32 s3, s19, s1
	v_mul_lo_u32 v4, v7, s20
	v_mul_lo_u32 v5, v6, s21
	v_mad_u64_u32 v[2:3], s[0:1], v6, s20, 0
	v_add3_u32 v3, v3, v5, v4
	v_lshlrev_b64 v[2:3], 4, v[2:3]
	v_mov_b32_e32 v4, s3
	v_add_co_u32_e32 v2, vcc, s2, v2
	v_addc_co_u32_e32 v3, vcc, v4, v3, vcc
	v_lshlrev_b64 v[4:5], 4, v[0:1]
	v_add_co_u32_e32 v24, vcc, v2, v4
	v_addc_co_u32_e32 v25, vcc, v3, v5, vcc
	global_load_dwordx4 v[0:3], v[24:25], off
	v_mul_lo_u32 v78, v7, s26
	v_mul_lo_u32 v79, v6, s27
	v_mad_u64_u32 v[6:7], s[0:1], v6, s26, 0
	v_add3_u32 v7, v7, v79, v78
	v_lshlrev_b64 v[6:7], 4, v[6:7]
	v_mov_b32_e32 v80, s5
	v_add_co_u32_e32 v6, vcc, s4, v6
	v_addc_co_u32_e32 v7, vcc, v80, v7, vcc
	v_add_co_u32_e32 v4, vcc, v6, v4
	v_mul_f64 v[26:27], s[40:41], v[64:65]
	v_mul_f64 v[28:29], s[38:39], v[64:65]
	v_addc_co_u32_e32 v5, vcc, v7, v5, vcc
	v_fma_f64 v[26:27], s[38:39], v[60:61], -v[26:27]
	v_fmac_f64_e32 v[28:29], s[40:41], v[60:61]
	s_lshl_b64 s[0:1], s[20:21], 8
	s_lshl_b64 s[2:3], s[26:27], 8
	s_waitcnt vmcnt(0)
	v_mul_f64 v[6:7], s[16:17], v[2:3]
	v_mul_f64 v[2:3], s[14:15], v[2:3]
	v_fma_f64 v[6:7], s[14:15], v[0:1], -v[6:7]
	v_fmac_f64_e32 v[2:3], s[16:17], v[0:1]
	v_add_f64 v[0:1], v[26:27], v[6:7]
	v_add_f64 v[2:3], v[28:29], v[2:3]
	global_store_dwordx4 v[4:5], v[0:3], off
	global_load_dwordx4 v[0:3], v[24:25], off offset:256
	v_mul_f64 v[6:7], s[40:41], v[40:41]
	v_mul_f64 v[26:27], s[38:39], v[40:41]
	v_fma_f64 v[6:7], s[38:39], v[38:39], -v[6:7]
	v_fmac_f64_e32 v[26:27], s[40:41], v[38:39]
	s_waitcnt vmcnt(0)
	v_mul_f64 v[28:29], s[16:17], v[2:3]
	v_mul_f64 v[2:3], s[14:15], v[2:3]
	v_fma_f64 v[28:29], s[14:15], v[0:1], -v[28:29]
	v_fmac_f64_e32 v[2:3], s[16:17], v[0:1]
	v_add_f64 v[0:1], v[6:7], v[28:29]
	v_add_f64 v[2:3], v[26:27], v[2:3]
	global_store_dwordx4 v[4:5], v[0:3], off offset:256
	global_load_dwordx4 v[0:3], v[24:25], off offset:512
	v_mul_f64 v[6:7], s[40:41], v[32:33]
	v_mul_f64 v[26:27], s[38:39], v[32:33]
	v_fma_f64 v[6:7], s[38:39], v[30:31], -v[6:7]
	v_fmac_f64_e32 v[26:27], s[40:41], v[30:31]
	s_waitcnt vmcnt(0)
	v_mul_f64 v[28:29], s[16:17], v[2:3]
	v_mul_f64 v[2:3], s[14:15], v[2:3]
	v_fma_f64 v[28:29], s[14:15], v[0:1], -v[28:29]
	v_fmac_f64_e32 v[2:3], s[16:17], v[0:1]
	v_add_f64 v[0:1], v[6:7], v[28:29]
	v_add_f64 v[2:3], v[26:27], v[2:3]
	global_store_dwordx4 v[4:5], v[0:3], off offset:512
	global_load_dwordx4 v[0:3], v[24:25], off offset:768
	v_mul_f64 v[6:7], s[40:41], v[22:23]
	v_mul_f64 v[22:23], s[38:39], v[22:23]
	v_fma_f64 v[6:7], s[38:39], v[20:21], -v[6:7]
	v_fmac_f64_e32 v[22:23], s[40:41], v[20:21]
	v_mov_b32_e32 v26, s1
	v_add_co_u32_e32 v20, vcc, s0, v24
	v_addc_co_u32_e32 v21, vcc, v25, v26, vcc
	v_mov_b32_e32 v27, s3
	s_waitcnt vmcnt(0)
	v_mul_f64 v[24:25], s[16:17], v[2:3]
	v_mul_f64 v[2:3], s[14:15], v[2:3]
	v_fma_f64 v[24:25], s[14:15], v[0:1], -v[24:25]
	v_fmac_f64_e32 v[2:3], s[16:17], v[0:1]
	v_add_f64 v[0:1], v[6:7], v[24:25]
	v_add_f64 v[2:3], v[22:23], v[2:3]
	global_store_dwordx4 v[4:5], v[0:3], off offset:768
	global_load_dwordx4 v[0:3], v[20:21], off
	v_mul_f64 v[6:7], s[40:41], v[72:73]
	v_mul_f64 v[22:23], s[38:39], v[72:73]
	v_fma_f64 v[6:7], s[38:39], v[70:71], -v[6:7]
	v_fmac_f64_e32 v[22:23], s[40:41], v[70:71]
	v_add_co_u32_e32 v4, vcc, s2, v4
	v_addc_co_u32_e32 v5, vcc, v5, v27, vcc
	s_waitcnt vmcnt(0)
	v_mul_f64 v[24:25], s[16:17], v[2:3]
	v_mul_f64 v[2:3], s[14:15], v[2:3]
	v_fma_f64 v[24:25], s[14:15], v[0:1], -v[24:25]
	v_fmac_f64_e32 v[2:3], s[16:17], v[0:1]
	v_add_f64 v[0:1], v[6:7], v[24:25]
	v_add_f64 v[2:3], v[22:23], v[2:3]
	global_store_dwordx4 v[4:5], v[0:3], off
	global_load_dwordx4 v[0:3], v[20:21], off offset:256
	v_mul_f64 v[6:7], s[40:41], v[68:69]
	v_mul_f64 v[22:23], s[38:39], v[68:69]
	v_fma_f64 v[6:7], s[38:39], v[66:67], -v[6:7]
	v_fmac_f64_e32 v[22:23], s[40:41], v[66:67]
	s_waitcnt vmcnt(0)
	v_mul_f64 v[24:25], s[16:17], v[2:3]
	v_mul_f64 v[2:3], s[14:15], v[2:3]
	v_fma_f64 v[24:25], s[14:15], v[0:1], -v[24:25]
	v_fmac_f64_e32 v[2:3], s[16:17], v[0:1]
	v_add_f64 v[0:1], v[6:7], v[24:25]
	v_add_f64 v[2:3], v[22:23], v[2:3]
	global_store_dwordx4 v[4:5], v[0:3], off offset:256
	global_load_dwordx4 v[0:3], v[20:21], off offset:512
	v_mul_f64 v[6:7], s[40:41], v[56:57]
	v_mul_f64 v[22:23], s[38:39], v[56:57]
	v_fma_f64 v[6:7], s[38:39], v[54:55], -v[6:7]
	v_fmac_f64_e32 v[22:23], s[40:41], v[54:55]
	s_waitcnt vmcnt(0)
	v_mul_f64 v[24:25], s[16:17], v[2:3]
	v_mul_f64 v[2:3], s[14:15], v[2:3]
	v_fma_f64 v[24:25], s[14:15], v[0:1], -v[24:25]
	v_fmac_f64_e32 v[2:3], s[16:17], v[0:1]
	v_add_f64 v[0:1], v[6:7], v[24:25]
	v_add_f64 v[2:3], v[22:23], v[2:3]
	global_store_dwordx4 v[4:5], v[0:3], off offset:512
	global_load_dwordx4 v[0:3], v[20:21], off offset:768
	v_mul_f64 v[6:7], s[40:41], v[48:49]
	v_mul_f64 v[22:23], s[38:39], v[48:49]
	v_fma_f64 v[6:7], s[38:39], v[46:47], -v[6:7]
	v_fmac_f64_e32 v[22:23], s[40:41], v[46:47]
	v_add_co_u32_e32 v20, vcc, s0, v20
	v_addc_co_u32_e32 v21, vcc, v21, v26, vcc
	s_waitcnt vmcnt(0)
	v_mul_f64 v[24:25], s[16:17], v[2:3]
	v_mul_f64 v[2:3], s[14:15], v[2:3]
	v_fma_f64 v[24:25], s[14:15], v[0:1], -v[24:25]
	v_fmac_f64_e32 v[2:3], s[16:17], v[0:1]
	v_add_f64 v[0:1], v[6:7], v[24:25]
	v_add_f64 v[2:3], v[22:23], v[2:3]
	global_store_dwordx4 v[4:5], v[0:3], off offset:768
	global_load_dwordx4 v[0:3], v[20:21], off
	v_mul_f64 v[6:7], s[40:41], v[62:63]
	v_mul_f64 v[22:23], s[38:39], v[62:63]
	v_fma_f64 v[6:7], s[38:39], v[58:59], -v[6:7]
	v_fmac_f64_e32 v[22:23], s[40:41], v[58:59]
	v_add_co_u32_e32 v4, vcc, s2, v4
	v_addc_co_u32_e32 v5, vcc, v5, v27, vcc
	s_waitcnt vmcnt(0)
	v_mul_f64 v[24:25], s[16:17], v[2:3]
	v_mul_f64 v[2:3], s[14:15], v[2:3]
	v_fma_f64 v[24:25], s[14:15], v[0:1], -v[24:25]
	v_fmac_f64_e32 v[2:3], s[16:17], v[0:1]
	v_add_f64 v[0:1], v[6:7], v[24:25]
	v_add_f64 v[2:3], v[22:23], v[2:3]
	global_store_dwordx4 v[4:5], v[0:3], off
	global_load_dwordx4 v[0:3], v[20:21], off offset:256
	v_mul_f64 v[6:7], s[40:41], v[52:53]
	v_mul_f64 v[22:23], s[38:39], v[52:53]
	v_fma_f64 v[6:7], s[38:39], v[50:51], -v[6:7]
	v_fmac_f64_e32 v[22:23], s[40:41], v[50:51]
	s_waitcnt vmcnt(0)
	v_mul_f64 v[24:25], s[16:17], v[2:3]
	v_mul_f64 v[2:3], s[14:15], v[2:3]
	v_fma_f64 v[24:25], s[14:15], v[0:1], -v[24:25]
	v_fmac_f64_e32 v[2:3], s[16:17], v[0:1]
	v_add_f64 v[0:1], v[6:7], v[24:25]
	v_add_f64 v[2:3], v[22:23], v[2:3]
	global_store_dwordx4 v[4:5], v[0:3], off offset:256
	global_load_dwordx4 v[0:3], v[20:21], off offset:512
	v_mul_f64 v[6:7], s[40:41], v[44:45]
	v_mul_f64 v[22:23], s[38:39], v[44:45]
	v_fma_f64 v[6:7], s[38:39], v[42:43], -v[6:7]
	v_fmac_f64_e32 v[22:23], s[40:41], v[42:43]
	s_waitcnt vmcnt(0)
	v_mul_f64 v[24:25], s[16:17], v[2:3]
	v_mul_f64 v[2:3], s[14:15], v[2:3]
	v_fma_f64 v[24:25], s[14:15], v[0:1], -v[24:25]
	v_fmac_f64_e32 v[2:3], s[16:17], v[0:1]
	v_add_f64 v[0:1], v[6:7], v[24:25]
	v_add_f64 v[2:3], v[22:23], v[2:3]
	global_store_dwordx4 v[4:5], v[0:3], off offset:512
	global_load_dwordx4 v[0:3], v[20:21], off offset:768
	v_mul_f64 v[6:7], s[40:41], v[36:37]
	v_mul_f64 v[22:23], s[38:39], v[36:37]
	v_fma_f64 v[6:7], s[38:39], v[34:35], -v[6:7]
	v_fmac_f64_e32 v[22:23], s[40:41], v[34:35]
	v_add_co_u32_e32 v20, vcc, s0, v20
	v_addc_co_u32_e32 v21, vcc, v21, v26, vcc
	s_waitcnt vmcnt(0)
	v_mul_f64 v[24:25], s[16:17], v[2:3]
	v_mul_f64 v[2:3], s[14:15], v[2:3]
	v_fma_f64 v[24:25], s[14:15], v[0:1], -v[24:25]
	v_fmac_f64_e32 v[2:3], s[16:17], v[0:1]
	v_add_f64 v[0:1], v[6:7], v[24:25]
	v_add_f64 v[2:3], v[22:23], v[2:3]
	global_store_dwordx4 v[4:5], v[0:3], off offset:768
	global_load_dwordx4 v[0:3], v[20:21], off
	v_add_co_u32_e32 v24, vcc, s2, v4
	v_mul_f64 v[6:7], s[40:41], v[76:77]
	v_mul_f64 v[22:23], s[38:39], v[76:77]
	v_addc_co_u32_e32 v25, vcc, v5, v27, vcc
	v_fma_f64 v[6:7], s[38:39], v[74:75], -v[6:7]
	v_fmac_f64_e32 v[22:23], s[40:41], v[74:75]
	s_waitcnt vmcnt(0)
	v_mul_f64 v[4:5], s[16:17], v[2:3]
	v_mul_f64 v[2:3], s[14:15], v[2:3]
	v_fma_f64 v[4:5], s[14:15], v[0:1], -v[4:5]
	v_fmac_f64_e32 v[2:3], s[16:17], v[0:1]
	v_add_f64 v[0:1], v[6:7], v[4:5]
	v_add_f64 v[2:3], v[22:23], v[2:3]
	global_store_dwordx4 v[24:25], v[0:3], off
	global_load_dwordx4 v[0:3], v[20:21], off offset:256
	v_mul_f64 v[4:5], s[40:41], v[18:19]
	v_mul_f64 v[6:7], s[38:39], v[18:19]
	v_fma_f64 v[4:5], s[38:39], v[16:17], -v[4:5]
	v_fmac_f64_e32 v[6:7], s[40:41], v[16:17]
	s_waitcnt vmcnt(0)
	v_mul_f64 v[16:17], s[16:17], v[2:3]
	v_mul_f64 v[2:3], s[14:15], v[2:3]
	v_fma_f64 v[16:17], s[14:15], v[0:1], -v[16:17]
	v_fmac_f64_e32 v[2:3], s[16:17], v[0:1]
	v_add_f64 v[0:1], v[4:5], v[16:17]
	v_add_f64 v[2:3], v[6:7], v[2:3]
	global_store_dwordx4 v[24:25], v[0:3], off offset:256
	global_load_dwordx4 v[0:3], v[20:21], off offset:512
	v_mul_f64 v[4:5], s[40:41], v[14:15]
	v_mul_f64 v[6:7], s[38:39], v[14:15]
	v_fma_f64 v[4:5], s[38:39], v[12:13], -v[4:5]
	v_fmac_f64_e32 v[6:7], s[40:41], v[12:13]
	s_waitcnt vmcnt(0)
	v_mul_f64 v[12:13], s[16:17], v[2:3]
	v_mul_f64 v[2:3], s[14:15], v[2:3]
	v_fma_f64 v[12:13], s[14:15], v[0:1], -v[12:13]
	v_fmac_f64_e32 v[2:3], s[16:17], v[0:1]
	v_add_f64 v[0:1], v[4:5], v[12:13]
	v_add_f64 v[2:3], v[6:7], v[2:3]
	global_store_dwordx4 v[24:25], v[0:3], off offset:512
	global_load_dwordx4 v[4:7], v[20:21], off offset:768
	v_mul_f64 v[0:1], s[40:41], v[8:9]
	v_mul_f64 v[8:9], s[38:39], v[8:9]
	v_fma_f64 v[0:1], s[38:39], v[10:11], -v[0:1]
	v_fmac_f64_e32 v[8:9], s[40:41], v[10:11]
	v_add_co_u32_e32 v2, vcc, 0x300, v24
	v_addc_co_u32_e32 v3, vcc, 0, v25, vcc
	s_waitcnt vmcnt(0)
	v_mul_f64 v[10:11], s[16:17], v[6:7]
	v_mul_f64 v[6:7], s[14:15], v[6:7]
	v_fma_f64 v[10:11], s[14:15], v[4:5], -v[10:11]
	v_fmac_f64_e32 v[6:7], s[16:17], v[4:5]
	v_add_f64 v[0:1], v[0:1], v[10:11]
	v_add_f64 v[4:5], v[8:9], v[6:7]
	global_store_dwordx2 v[24:25], v[0:1], off offset:768
.LBB123_8:
	global_store_dwordx2 v[2:3], v[4:5], off offset:8
	s_endpgm
	.section	.rodata,"a",@progbits
	.p2align	6, 0x0
	.amdhsa_kernel _ZN12_GLOBAL__N_127rocblas_gemm_batched_kernelI19rocblas_complex_numIdELi16ELi16ELi64ELi64ELi4ELi64ELi4ELi4ELi64ELc67ELc78EKS2_S3_S2_EEvlllT_PT11_llS6_llS4_PT12_llPT13_lli
		.amdhsa_group_segment_fixed_size 8192
		.amdhsa_private_segment_fixed_size 0
		.amdhsa_kernarg_size 156
		.amdhsa_user_sgpr_count 6
		.amdhsa_user_sgpr_private_segment_buffer 1
		.amdhsa_user_sgpr_dispatch_ptr 0
		.amdhsa_user_sgpr_queue_ptr 0
		.amdhsa_user_sgpr_kernarg_segment_ptr 1
		.amdhsa_user_sgpr_dispatch_id 0
		.amdhsa_user_sgpr_flat_scratch_init 0
		.amdhsa_user_sgpr_kernarg_preload_length 0
		.amdhsa_user_sgpr_kernarg_preload_offset 0
		.amdhsa_user_sgpr_private_segment_size 0
		.amdhsa_uses_dynamic_stack 0
		.amdhsa_system_sgpr_private_segment_wavefront_offset 0
		.amdhsa_system_sgpr_workgroup_id_x 1
		.amdhsa_system_sgpr_workgroup_id_y 1
		.amdhsa_system_sgpr_workgroup_id_z 1
		.amdhsa_system_sgpr_workgroup_info 0
		.amdhsa_system_vgpr_workitem_id 1
		.amdhsa_next_free_vgpr 134
		.amdhsa_next_free_sgpr 52
		.amdhsa_accum_offset 136
		.amdhsa_reserve_vcc 1
		.amdhsa_reserve_flat_scratch 0
		.amdhsa_float_round_mode_32 0
		.amdhsa_float_round_mode_16_64 0
		.amdhsa_float_denorm_mode_32 3
		.amdhsa_float_denorm_mode_16_64 3
		.amdhsa_dx10_clamp 1
		.amdhsa_ieee_mode 1
		.amdhsa_fp16_overflow 0
		.amdhsa_tg_split 0
		.amdhsa_exception_fp_ieee_invalid_op 0
		.amdhsa_exception_fp_denorm_src 0
		.amdhsa_exception_fp_ieee_div_zero 0
		.amdhsa_exception_fp_ieee_overflow 0
		.amdhsa_exception_fp_ieee_underflow 0
		.amdhsa_exception_fp_ieee_inexact 0
		.amdhsa_exception_int_div_zero 0
	.end_amdhsa_kernel
	.section	.text._ZN12_GLOBAL__N_127rocblas_gemm_batched_kernelI19rocblas_complex_numIdELi16ELi16ELi64ELi64ELi4ELi64ELi4ELi4ELi64ELc67ELc78EKS2_S3_S2_EEvlllT_PT11_llS6_llS4_PT12_llPT13_lli,"axG",@progbits,_ZN12_GLOBAL__N_127rocblas_gemm_batched_kernelI19rocblas_complex_numIdELi16ELi16ELi64ELi64ELi4ELi64ELi4ELi4ELi64ELc67ELc78EKS2_S3_S2_EEvlllT_PT11_llS6_llS4_PT12_llPT13_lli,comdat
.Lfunc_end123:
	.size	_ZN12_GLOBAL__N_127rocblas_gemm_batched_kernelI19rocblas_complex_numIdELi16ELi16ELi64ELi64ELi4ELi64ELi4ELi4ELi64ELc67ELc78EKS2_S3_S2_EEvlllT_PT11_llS6_llS4_PT12_llPT13_lli, .Lfunc_end123-_ZN12_GLOBAL__N_127rocblas_gemm_batched_kernelI19rocblas_complex_numIdELi16ELi16ELi64ELi64ELi4ELi64ELi4ELi4ELi64ELc67ELc78EKS2_S3_S2_EEvlllT_PT11_llS6_llS4_PT12_llPT13_lli
                                        ; -- End function
	.section	.AMDGPU.csdata,"",@progbits
; Kernel info:
; codeLenInByte = 6728
; NumSgprs: 56
; NumVgprs: 134
; NumAgprs: 0
; TotalNumVgprs: 134
; ScratchSize: 0
; MemoryBound: 0
; FloatMode: 240
; IeeeMode: 1
; LDSByteSize: 8192 bytes/workgroup (compile time only)
; SGPRBlocks: 6
; VGPRBlocks: 16
; NumSGPRsForWavesPerEU: 56
; NumVGPRsForWavesPerEU: 134
; AccumOffset: 136
; Occupancy: 3
; WaveLimiterHint : 1
; COMPUTE_PGM_RSRC2:SCRATCH_EN: 0
; COMPUTE_PGM_RSRC2:USER_SGPR: 6
; COMPUTE_PGM_RSRC2:TRAP_HANDLER: 0
; COMPUTE_PGM_RSRC2:TGID_X_EN: 1
; COMPUTE_PGM_RSRC2:TGID_Y_EN: 1
; COMPUTE_PGM_RSRC2:TGID_Z_EN: 1
; COMPUTE_PGM_RSRC2:TIDIG_COMP_CNT: 1
; COMPUTE_PGM_RSRC3_GFX90A:ACCUM_OFFSET: 33
; COMPUTE_PGM_RSRC3_GFX90A:TG_SPLIT: 0
	.section	.text._ZN12_GLOBAL__N_127rocblas_gemm_batched_kernelI19rocblas_complex_numIdELi16ELi16ELi64ELi64ELi4ELi64ELi4ELi4ELi64ELc67ELc84EKS2_S3_S2_EEvlllT_PT11_llS6_llS4_PT12_llPT13_lli,"axG",@progbits,_ZN12_GLOBAL__N_127rocblas_gemm_batched_kernelI19rocblas_complex_numIdELi16ELi16ELi64ELi64ELi4ELi64ELi4ELi4ELi64ELc67ELc84EKS2_S3_S2_EEvlllT_PT11_llS6_llS4_PT12_llPT13_lli,comdat
	.globl	_ZN12_GLOBAL__N_127rocblas_gemm_batched_kernelI19rocblas_complex_numIdELi16ELi16ELi64ELi64ELi4ELi64ELi4ELi4ELi64ELc67ELc84EKS2_S3_S2_EEvlllT_PT11_llS6_llS4_PT12_llPT13_lli ; -- Begin function _ZN12_GLOBAL__N_127rocblas_gemm_batched_kernelI19rocblas_complex_numIdELi16ELi16ELi64ELi64ELi4ELi64ELi4ELi4ELi64ELc67ELc84EKS2_S3_S2_EEvlllT_PT11_llS6_llS4_PT12_llPT13_lli
	.p2align	8
	.type	_ZN12_GLOBAL__N_127rocblas_gemm_batched_kernelI19rocblas_complex_numIdELi16ELi16ELi64ELi64ELi4ELi64ELi4ELi4ELi64ELc67ELc84EKS2_S3_S2_EEvlllT_PT11_llS6_llS4_PT12_llPT13_lli,@function
_ZN12_GLOBAL__N_127rocblas_gemm_batched_kernelI19rocblas_complex_numIdELi16ELi16ELi64ELi64ELi4ELi64ELi4ELi4ELi64ELc67ELc84EKS2_S3_S2_EEvlllT_PT11_llS6_llS4_PT12_llPT13_lli: ; @_ZN12_GLOBAL__N_127rocblas_gemm_batched_kernelI19rocblas_complex_numIdELi16ELi16ELi64ELi64ELi4ELi64ELi4ELi4ELi64ELc67ELc84EKS2_S3_S2_EEvlllT_PT11_llS6_llS4_PT12_llPT13_lli
; %bb.0:
	s_load_dwordx16 s[36:51], s[4:5], 0x10
	s_load_dwordx16 s[12:27], s[4:5], 0x50
	s_mov_b32 s2, s7
	s_ashr_i32 s7, s6, 31
	s_ashr_i32 s3, s2, 31
	s_waitcnt lgkmcnt(0)
	v_cmp_lt_i64_e64 s[10:11], s[36:37], 1
	v_bfe_u32 v101, v0, 10, 10
	v_and_b32_e32 v100, 0x3ff, v0
	s_lshl_b64 s[0:1], s[6:7], 6
	s_lshl_b64 s[2:3], s[2:3], 6
	s_mov_b64 s[6:7], 0
	s_and_b64 vcc, exec, s[10:11]
	s_cbranch_vccnz .LBB124_3
; %bb.1:
	v_lshl_add_u32 v4, v101, 4, v100
	v_lshrrev_b32_e32 v5, 2, v4
	v_mov_b32_e32 v1, s3
	v_add_co_u32_e32 v0, vcc, s2, v5
	v_addc_co_u32_e32 v1, vcc, 0, v1, vcc
	v_and_b32_e32 v6, 3, v100
	v_mad_u64_u32 v[0:1], s[10:11], v6, s50, v[0:1]
	v_mov_b32_e32 v2, v1
	v_mad_u64_u32 v[2:3], s[10:11], v6, s51, v[2:3]
	v_mov_b32_e32 v1, v2
	v_and_b32_e32 v2, 63, v4
	v_lshrrev_b32_e32 v4, 6, v4
	v_lshlrev_b32_e32 v3, 4, v2
	v_lshl_or_b32 v102, v4, 10, v3
	v_lshlrev_b32_e32 v3, 4, v6
	v_lshl_or_b32 v3, v5, 6, v3
	v_add_u32_e32 v103, 0x1000, v3
	v_mov_b32_e32 v3, 0x1000
	v_lshl_add_u32 v105, v101, 6, v3
	v_mov_b32_e32 v3, s1
	v_add_co_u32_e32 v2, vcc, s0, v2
	v_addc_co_u32_e32 v3, vcc, 0, v3, vcc
	v_mul_lo_u32 v5, s45, v2
	v_mul_lo_u32 v6, s44, v3
	v_mad_u64_u32 v[2:3], s[10:11], s44, v2, 0
	s_mul_i32 s9, s47, s8
	s_mul_hi_u32 s10, s46, s8
	v_add3_u32 v3, v3, v6, v5
	s_add_i32 s11, s10, s9
	s_mul_i32 s10, s46, s8
	v_lshlrev_b64 v[2:3], 4, v[2:3]
	s_lshl_b64 s[10:11], s[10:11], 4
	v_mov_b32_e32 v5, s11
	v_add_co_u32_e32 v2, vcc, s10, v2
	v_addc_co_u32_e32 v3, vcc, v3, v5, vcc
	v_lshlrev_b32_e32 v4, 4, v4
	v_add_co_u32_e32 v2, vcc, v2, v4
	v_addc_co_u32_e32 v3, vcc, 0, v3, vcc
	s_mul_i32 s9, s13, s8
	s_mul_hi_u32 s10, s12, s8
	v_mov_b32_e32 v4, s43
	v_add_co_u32_e32 v2, vcc, s42, v2
	s_add_i32 s11, s10, s9
	s_mul_i32 s10, s12, s8
	v_addc_co_u32_e32 v3, vcc, v3, v4, vcc
	s_lshl_b64 s[10:11], s[10:11], 4
	v_add_co_u32_e32 v24, vcc, 8, v2
	s_add_u32 s9, s48, s10
	v_addc_co_u32_e32 v25, vcc, 0, v3, vcc
	v_lshlrev_b64 v[0:1], 4, v[0:1]
	s_addc_u32 s10, s49, s11
	v_mov_b32_e32 v2, s10
	v_add_co_u32_e32 v26, vcc, s9, v0
	s_lshl_b64 s[10:11], s[50:51], 6
	v_lshlrev_b32_e32 v104, 4, v100
	v_addc_co_u32_e32 v27, vcc, v2, v1, vcc
	v_pk_mov_b32 v[8:9], 0, 0
	v_mov_b32_e32 v106, s11
	v_pk_mov_b32 v[28:29], s[36:37], s[36:37] op_sel:[0,1]
	v_pk_mov_b32 v[10:11], 0, 0
	v_pk_mov_b32 v[14:15], 0, 0
	;; [unrolled: 1-line block ×31, first 2 shown]
.LBB124_2:                              ; =>This Inner Loop Header: Depth=1
	global_load_dwordx4 v[0:3], v[24:25], off offset:-8
	v_add_co_u32_e32 v24, vcc, 64, v24
	v_addc_co_u32_e32 v25, vcc, 0, v25, vcc
	s_add_u32 s6, s6, 4
	s_addc_u32 s7, s7, 0
	s_waitcnt vmcnt(0)
	v_xor_b32_e32 v3, 0x80000000, v3
	ds_write_b128 v102, v[0:3]
	global_load_dwordx4 v[0:3], v[26:27], off
	v_add_co_u32_e32 v26, vcc, s10, v26
	v_addc_co_u32_e32 v27, vcc, v27, v106, vcc
	v_cmp_lt_i64_e32 vcc, s[6:7], v[28:29]
	s_and_b64 vcc, exec, vcc
	s_waitcnt vmcnt(0)
	ds_write2_b64 v103, v[0:1], v[2:3] offset1:1
	s_waitcnt lgkmcnt(0)
	s_barrier
	ds_read_b128 v[78:81], v105
	ds_read_b128 v[108:111], v105 offset:16
	ds_read_b128 v[4:7], v105 offset:32
	;; [unrolled: 1-line block ×3, first 2 shown]
	ds_read_b128 v[112:115], v104
	ds_read_b128 v[116:119], v104 offset:256
	s_waitcnt lgkmcnt(1)
	v_mul_f64 v[82:83], v[80:81], v[114:115]
	v_mul_f64 v[84:85], v[78:79], v[114:115]
	v_fma_f64 v[82:83], v[78:79], v[112:113], -v[82:83]
	v_fmac_f64_e32 v[84:85], v[80:81], v[112:113]
	v_add_f64 v[120:121], v[60:61], v[82:83]
	v_add_f64 v[122:123], v[64:65], v[84:85]
	s_waitcnt lgkmcnt(0)
	v_mul_f64 v[60:61], v[80:81], v[118:119]
	v_mul_f64 v[64:65], v[78:79], v[118:119]
	v_fma_f64 v[60:61], v[78:79], v[116:117], -v[60:61]
	v_fmac_f64_e32 v[64:65], v[80:81], v[116:117]
	v_add_f64 v[124:125], v[38:39], v[60:61]
	v_add_f64 v[126:127], v[40:41], v[64:65]
	ds_read_b128 v[38:41], v104 offset:512
	s_waitcnt lgkmcnt(0)
	v_mul_f64 v[60:61], v[80:81], v[40:41]
	v_mul_f64 v[64:65], v[78:79], v[40:41]
	v_fma_f64 v[60:61], v[78:79], v[38:39], -v[60:61]
	v_fmac_f64_e32 v[64:65], v[80:81], v[38:39]
	v_add_f64 v[128:129], v[30:31], v[60:61]
	v_add_f64 v[130:131], v[32:33], v[64:65]
	ds_read_b128 v[30:33], v104 offset:768
	;; [unrolled: 8-line block ×3, first 2 shown]
	s_waitcnt lgkmcnt(0)
	v_mul_f64 v[60:61], v[22:23], v[114:115]
	v_fma_f64 v[60:61], v[20:21], v[112:113], -v[60:61]
	v_mul_f64 v[78:79], v[20:21], v[114:115]
	v_add_f64 v[64:65], v[70:71], v[60:61]
	v_mul_f64 v[60:61], v[22:23], v[118:119]
	v_fmac_f64_e32 v[78:79], v[22:23], v[112:113]
	v_fma_f64 v[60:61], v[20:21], v[116:117], -v[60:61]
	v_add_f64 v[70:71], v[72:73], v[78:79]
	v_mul_f64 v[72:73], v[20:21], v[118:119]
	v_add_f64 v[66:67], v[66:67], v[60:61]
	v_mul_f64 v[60:61], v[22:23], v[40:41]
	v_fmac_f64_e32 v[72:73], v[22:23], v[116:117]
	v_fma_f64 v[60:61], v[20:21], v[38:39], -v[60:61]
	v_add_f64 v[68:69], v[68:69], v[72:73]
	v_add_f64 v[72:73], v[54:55], v[60:61]
	v_mul_f64 v[54:55], v[22:23], v[32:33]
	v_mul_f64 v[78:79], v[20:21], v[40:41]
	v_fma_f64 v[54:55], v[20:21], v[30:31], -v[54:55]
	v_mul_f64 v[20:21], v[20:21], v[32:33]
	v_fmac_f64_e32 v[20:21], v[22:23], v[30:31]
	v_fmac_f64_e32 v[78:79], v[22:23], v[38:39]
	v_add_f64 v[98:99], v[48:49], v[20:21]
	ds_read_b128 v[20:23], v105 offset:2048
	v_add_f64 v[96:97], v[46:47], v[54:55]
	v_add_f64 v[94:95], v[56:57], v[78:79]
	s_waitcnt lgkmcnt(0)
	v_mul_f64 v[46:47], v[22:23], v[114:115]
	v_fma_f64 v[46:47], v[20:21], v[112:113], -v[46:47]
	v_add_f64 v[78:79], v[58:59], v[46:47]
	v_mul_f64 v[46:47], v[22:23], v[118:119]
	v_mul_f64 v[48:49], v[20:21], v[114:115]
	v_fma_f64 v[46:47], v[20:21], v[116:117], -v[46:47]
	v_fmac_f64_e32 v[48:49], v[22:23], v[112:113]
	v_add_f64 v[82:83], v[50:51], v[46:47]
	v_mul_f64 v[46:47], v[22:23], v[40:41]
	v_add_f64 v[80:81], v[62:63], v[48:49]
	v_mul_f64 v[48:49], v[20:21], v[118:119]
	v_fma_f64 v[46:47], v[20:21], v[38:39], -v[46:47]
	v_fmac_f64_e32 v[48:49], v[22:23], v[116:117]
	v_add_f64 v[86:87], v[42:43], v[46:47]
	v_mul_f64 v[42:43], v[22:23], v[32:33]
	v_add_f64 v[84:85], v[52:53], v[48:49]
	v_mul_f64 v[48:49], v[20:21], v[40:41]
	v_fma_f64 v[42:43], v[20:21], v[30:31], -v[42:43]
	v_mul_f64 v[20:21], v[20:21], v[32:33]
	v_fmac_f64_e32 v[20:21], v[22:23], v[30:31]
	v_fmac_f64_e32 v[48:49], v[22:23], v[38:39]
	v_add_f64 v[92:93], v[36:37], v[20:21]
	ds_read_b128 v[20:23], v105 offset:3072
	v_add_f64 v[90:91], v[34:35], v[42:43]
	v_add_f64 v[88:89], v[44:45], v[48:49]
	s_waitcnt lgkmcnt(0)
	v_mul_f64 v[34:35], v[22:23], v[114:115]
	v_mul_f64 v[36:37], v[20:21], v[114:115]
	v_fma_f64 v[34:35], v[20:21], v[112:113], -v[34:35]
	v_fmac_f64_e32 v[36:37], v[22:23], v[112:113]
	v_add_f64 v[58:59], v[74:75], v[34:35]
	v_add_f64 v[60:61], v[76:77], v[36:37]
	v_mul_f64 v[34:35], v[22:23], v[118:119]
	v_mul_f64 v[36:37], v[20:21], v[118:119]
	v_fma_f64 v[34:35], v[20:21], v[116:117], -v[34:35]
	v_fmac_f64_e32 v[36:37], v[22:23], v[116:117]
	v_add_f64 v[54:55], v[16:17], v[34:35]
	v_add_f64 v[56:57], v[18:19], v[36:37]
	;; [unrolled: 6-line block ×3, first 2 shown]
	v_mul_f64 v[12:13], v[22:23], v[32:33]
	v_mul_f64 v[14:15], v[20:21], v[32:33]
	v_fma_f64 v[12:13], v[20:21], v[30:31], -v[12:13]
	v_fmac_f64_e32 v[14:15], v[22:23], v[30:31]
	ds_read_b128 v[20:23], v104 offset:1024
	ds_read_b128 v[16:19], v104 offset:1280
	v_add_f64 v[46:47], v[10:11], v[12:13]
	v_add_f64 v[48:49], v[8:9], v[14:15]
	ds_read_b128 v[12:15], v104 offset:1536
	ds_read_b128 v[74:77], v105 offset:1040
	s_waitcnt lgkmcnt(3)
	v_mul_f64 v[8:9], v[110:111], v[22:23]
	v_mul_f64 v[10:11], v[108:109], v[22:23]
	v_fma_f64 v[8:9], v[108:109], v[20:21], -v[8:9]
	v_fmac_f64_e32 v[10:11], v[110:111], v[20:21]
	v_add_f64 v[42:43], v[120:121], v[8:9]
	v_add_f64 v[44:45], v[122:123], v[10:11]
	s_waitcnt lgkmcnt(2)
	v_mul_f64 v[8:9], v[110:111], v[18:19]
	v_mul_f64 v[10:11], v[108:109], v[18:19]
	v_fma_f64 v[8:9], v[108:109], v[16:17], -v[8:9]
	v_fmac_f64_e32 v[10:11], v[110:111], v[16:17]
	v_add_f64 v[38:39], v[124:125], v[8:9]
	v_add_f64 v[40:41], v[126:127], v[10:11]
	s_waitcnt lgkmcnt(1)
	v_mul_f64 v[8:9], v[110:111], v[14:15]
	v_mul_f64 v[10:11], v[108:109], v[14:15]
	v_fma_f64 v[8:9], v[108:109], v[12:13], -v[8:9]
	v_fmac_f64_e32 v[10:11], v[110:111], v[12:13]
	v_add_f64 v[34:35], v[128:129], v[8:9]
	v_add_f64 v[36:37], v[130:131], v[10:11]
	ds_read_b128 v[8:11], v104 offset:1792
	s_waitcnt lgkmcnt(1)
	v_mul_f64 v[62:63], v[76:77], v[22:23]
	v_fma_f64 v[62:63], v[74:75], v[20:21], -v[62:63]
	v_add_f64 v[62:63], v[64:65], v[62:63]
	s_waitcnt lgkmcnt(0)
	v_mul_f64 v[30:31], v[110:111], v[10:11]
	v_fma_f64 v[30:31], v[108:109], v[8:9], -v[30:31]
	v_mul_f64 v[32:33], v[108:109], v[10:11]
	v_mul_f64 v[108:109], v[74:75], v[22:23]
	v_fmac_f64_e32 v[108:109], v[76:77], v[20:21]
	v_add_f64 v[64:65], v[70:71], v[108:109]
	v_mul_f64 v[70:71], v[76:77], v[18:19]
	v_mul_f64 v[108:109], v[74:75], v[18:19]
	v_fma_f64 v[70:71], v[74:75], v[16:17], -v[70:71]
	v_fmac_f64_e32 v[108:109], v[76:77], v[16:17]
	v_add_f64 v[66:67], v[66:67], v[70:71]
	v_add_f64 v[68:69], v[68:69], v[108:109]
	v_mul_f64 v[70:71], v[76:77], v[14:15]
	v_mul_f64 v[108:109], v[74:75], v[14:15]
	v_fma_f64 v[70:71], v[74:75], v[12:13], -v[70:71]
	v_fmac_f64_e32 v[108:109], v[76:77], v[12:13]
	v_add_f64 v[70:71], v[72:73], v[70:71]
	v_add_f64 v[72:73], v[94:95], v[108:109]
	v_mul_f64 v[94:95], v[76:77], v[10:11]
	v_fma_f64 v[94:95], v[74:75], v[8:9], -v[94:95]
	v_mul_f64 v[108:109], v[74:75], v[10:11]
	v_add_f64 v[74:75], v[96:97], v[94:95]
	ds_read_b128 v[94:97], v105 offset:2064
	v_fmac_f64_e32 v[108:109], v[76:77], v[8:9]
	v_add_f64 v[76:77], v[98:99], v[108:109]
	v_fmac_f64_e32 v[32:33], v[110:111], v[8:9]
	v_add_f64 v[32:33], v[134:135], v[32:33]
	s_waitcnt lgkmcnt(0)
	v_mul_f64 v[98:99], v[96:97], v[22:23]
	v_mul_f64 v[108:109], v[94:95], v[22:23]
	v_fma_f64 v[98:99], v[94:95], v[20:21], -v[98:99]
	v_fmac_f64_e32 v[108:109], v[96:97], v[20:21]
	v_add_f64 v[78:79], v[78:79], v[98:99]
	v_add_f64 v[80:81], v[80:81], v[108:109]
	v_mul_f64 v[98:99], v[96:97], v[18:19]
	v_mul_f64 v[108:109], v[94:95], v[18:19]
	v_fma_f64 v[98:99], v[94:95], v[16:17], -v[98:99]
	v_fmac_f64_e32 v[108:109], v[96:97], v[16:17]
	v_add_f64 v[82:83], v[82:83], v[98:99]
	v_add_f64 v[84:85], v[84:85], v[108:109]
	;; [unrolled: 6-line block ×4, first 2 shown]
	ds_read_b128 v[90:93], v105 offset:3088
	v_add_f64 v[30:31], v[132:133], v[30:31]
	s_waitcnt lgkmcnt(0)
	v_mul_f64 v[98:99], v[92:93], v[22:23]
	v_mul_f64 v[22:23], v[90:91], v[22:23]
	v_fma_f64 v[98:99], v[90:91], v[20:21], -v[98:99]
	v_fmac_f64_e32 v[22:23], v[92:93], v[20:21]
	v_mul_f64 v[20:21], v[92:93], v[18:19]
	v_mul_f64 v[18:19], v[90:91], v[18:19]
	v_fma_f64 v[20:21], v[90:91], v[16:17], -v[20:21]
	v_fmac_f64_e32 v[18:19], v[92:93], v[16:17]
	;; [unrolled: 4-line block ×3, first 2 shown]
	v_mul_f64 v[12:13], v[92:93], v[10:11]
	v_mul_f64 v[10:11], v[90:91], v[10:11]
	v_fmac_f64_e32 v[10:11], v[92:93], v[8:9]
	v_fma_f64 v[12:13], v[90:91], v[8:9], -v[12:13]
	v_add_f64 v[118:119], v[48:49], v[10:11]
	ds_read_b128 v[8:11], v104 offset:2048
	v_add_f64 v[114:115], v[52:53], v[14:15]
	v_add_f64 v[116:117], v[46:47], v[12:13]
	;; [unrolled: 1-line block ×4, first 2 shown]
	s_waitcnt lgkmcnt(0)
	v_mul_f64 v[12:13], v[6:7], v[10:11]
	v_mul_f64 v[14:15], v[4:5], v[10:11]
	v_fma_f64 v[12:13], v[4:5], v[8:9], -v[12:13]
	v_fmac_f64_e32 v[14:15], v[6:7], v[8:9]
	v_add_f64 v[120:121], v[42:43], v[12:13]
	v_add_f64 v[122:123], v[44:45], v[14:15]
	ds_read_b128 v[12:15], v104 offset:2304
	v_add_f64 v[60:61], v[60:61], v[22:23]
	v_add_f64 v[108:109], v[54:55], v[20:21]
	;; [unrolled: 1-line block ×3, first 2 shown]
	s_waitcnt lgkmcnt(0)
	v_mul_f64 v[16:17], v[6:7], v[14:15]
	v_mul_f64 v[18:19], v[4:5], v[14:15]
	v_fma_f64 v[16:17], v[4:5], v[12:13], -v[16:17]
	v_fmac_f64_e32 v[18:19], v[6:7], v[12:13]
	v_add_f64 v[38:39], v[38:39], v[16:17]
	v_add_f64 v[40:41], v[40:41], v[18:19]
	ds_read_b128 v[16:19], v104 offset:2560
	s_waitcnt lgkmcnt(0)
	v_mul_f64 v[20:21], v[6:7], v[18:19]
	v_mul_f64 v[22:23], v[4:5], v[18:19]
	v_fma_f64 v[20:21], v[4:5], v[16:17], -v[20:21]
	v_fmac_f64_e32 v[22:23], v[6:7], v[16:17]
	v_add_f64 v[124:125], v[34:35], v[20:21]
	v_add_f64 v[126:127], v[36:37], v[22:23]
	ds_read_b128 v[20:23], v104 offset:2816
	s_waitcnt lgkmcnt(0)
	v_mul_f64 v[34:35], v[6:7], v[22:23]
	v_fma_f64 v[34:35], v[4:5], v[20:21], -v[34:35]
	v_mul_f64 v[4:5], v[4:5], v[22:23]
	v_fmac_f64_e32 v[4:5], v[6:7], v[20:21]
	v_add_f64 v[130:131], v[32:33], v[4:5]
	ds_read_b128 v[4:7], v105 offset:1056
	v_add_f64 v[128:129], v[30:31], v[34:35]
	s_waitcnt lgkmcnt(0)
	v_mul_f64 v[30:31], v[6:7], v[10:11]
	v_fma_f64 v[30:31], v[4:5], v[8:9], -v[30:31]
	v_add_f64 v[46:47], v[62:63], v[30:31]
	v_mul_f64 v[30:31], v[6:7], v[14:15]
	v_mul_f64 v[32:33], v[4:5], v[10:11]
	v_fma_f64 v[30:31], v[4:5], v[12:13], -v[30:31]
	v_fmac_f64_e32 v[32:33], v[6:7], v[8:9]
	v_add_f64 v[50:51], v[66:67], v[30:31]
	v_mul_f64 v[30:31], v[6:7], v[18:19]
	v_add_f64 v[48:49], v[64:65], v[32:33]
	v_mul_f64 v[32:33], v[4:5], v[14:15]
	v_fma_f64 v[30:31], v[4:5], v[16:17], -v[30:31]
	v_fmac_f64_e32 v[32:33], v[6:7], v[12:13]
	v_add_f64 v[54:55], v[70:71], v[30:31]
	v_mul_f64 v[30:31], v[6:7], v[22:23]
	v_add_f64 v[52:53], v[68:69], v[32:33]
	v_mul_f64 v[32:33], v[4:5], v[18:19]
	v_fma_f64 v[30:31], v[4:5], v[20:21], -v[30:31]
	v_mul_f64 v[4:5], v[4:5], v[22:23]
	v_fmac_f64_e32 v[4:5], v[6:7], v[20:21]
	v_fmac_f64_e32 v[32:33], v[6:7], v[16:17]
	v_add_f64 v[62:63], v[76:77], v[4:5]
	ds_read_b128 v[4:7], v105 offset:2080
	v_add_f64 v[58:59], v[74:75], v[30:31]
	v_add_f64 v[56:57], v[72:73], v[32:33]
	s_waitcnt lgkmcnt(0)
	v_mul_f64 v[30:31], v[6:7], v[10:11]
	v_fma_f64 v[30:31], v[4:5], v[8:9], -v[30:31]
	v_add_f64 v[34:35], v[78:79], v[30:31]
	v_mul_f64 v[30:31], v[6:7], v[14:15]
	v_mul_f64 v[32:33], v[4:5], v[10:11]
	v_fma_f64 v[30:31], v[4:5], v[12:13], -v[30:31]
	v_fmac_f64_e32 v[32:33], v[6:7], v[8:9]
	v_add_f64 v[42:43], v[82:83], v[30:31]
	v_mul_f64 v[30:31], v[6:7], v[18:19]
	v_add_f64 v[36:37], v[80:81], v[32:33]
	v_mul_f64 v[32:33], v[4:5], v[14:15]
	v_fma_f64 v[30:31], v[4:5], v[16:17], -v[30:31]
	v_fmac_f64_e32 v[32:33], v[6:7], v[12:13]
	v_add_f64 v[90:91], v[86:87], v[30:31]
	v_mul_f64 v[30:31], v[6:7], v[22:23]
	v_add_f64 v[44:45], v[84:85], v[32:33]
	v_mul_f64 v[32:33], v[4:5], v[18:19]
	v_fma_f64 v[30:31], v[4:5], v[20:21], -v[30:31]
	v_mul_f64 v[4:5], v[4:5], v[22:23]
	v_fmac_f64_e32 v[4:5], v[6:7], v[20:21]
	v_fmac_f64_e32 v[32:33], v[6:7], v[16:17]
	v_add_f64 v[96:97], v[96:97], v[4:5]
	ds_read_b128 v[4:7], v105 offset:3104
	v_add_f64 v[94:95], v[94:95], v[30:31]
	v_add_f64 v[92:93], v[88:89], v[32:33]
	s_waitcnt lgkmcnt(0)
	v_mul_f64 v[30:31], v[6:7], v[10:11]
	v_mul_f64 v[10:11], v[4:5], v[10:11]
	v_fmac_f64_e32 v[10:11], v[6:7], v[8:9]
	v_fma_f64 v[30:31], v[4:5], v[8:9], -v[30:31]
	v_add_f64 v[76:77], v[60:61], v[10:11]
	v_mul_f64 v[8:9], v[6:7], v[14:15]
	v_mul_f64 v[10:11], v[4:5], v[14:15]
	v_fma_f64 v[8:9], v[4:5], v[12:13], -v[8:9]
	v_fmac_f64_e32 v[10:11], v[6:7], v[12:13]
	v_add_f64 v[86:87], v[108:109], v[8:9]
	v_add_f64 v[88:89], v[110:111], v[10:11]
	v_mul_f64 v[8:9], v[6:7], v[18:19]
	v_mul_f64 v[10:11], v[4:5], v[18:19]
	v_fma_f64 v[8:9], v[4:5], v[16:17], -v[8:9]
	v_fmac_f64_e32 v[10:11], v[6:7], v[16:17]
	ds_read_b128 v[16:19], v104 offset:3072
	ds_read_b128 v[12:15], v104 offset:3328
	v_add_f64 v[82:83], v[112:113], v[8:9]
	v_mul_f64 v[8:9], v[6:7], v[22:23]
	v_fma_f64 v[8:9], v[4:5], v[20:21], -v[8:9]
	v_mul_f64 v[4:5], v[4:5], v[22:23]
	v_add_f64 v[84:85], v[114:115], v[10:11]
	v_fmac_f64_e32 v[4:5], v[6:7], v[20:21]
	v_add_f64 v[78:79], v[116:117], v[8:9]
	ds_read_b128 v[8:11], v104 offset:3584
	v_add_f64 v[80:81], v[118:119], v[4:5]
	s_waitcnt lgkmcnt(2)
	v_mul_f64 v[4:5], v[2:3], v[18:19]
	v_mul_f64 v[6:7], v[0:1], v[18:19]
	v_fma_f64 v[4:5], v[0:1], v[16:17], -v[4:5]
	v_fmac_f64_e32 v[6:7], v[2:3], v[16:17]
	v_add_f64 v[60:61], v[120:121], v[4:5]
	v_add_f64 v[64:65], v[122:123], v[6:7]
	s_waitcnt lgkmcnt(1)
	v_mul_f64 v[4:5], v[2:3], v[14:15]
	v_mul_f64 v[6:7], v[0:1], v[14:15]
	v_fma_f64 v[4:5], v[0:1], v[12:13], -v[4:5]
	v_fmac_f64_e32 v[6:7], v[2:3], v[12:13]
	v_add_f64 v[38:39], v[38:39], v[4:5]
	v_add_f64 v[40:41], v[40:41], v[6:7]
	s_waitcnt lgkmcnt(0)
	v_mul_f64 v[4:5], v[2:3], v[10:11]
	v_mul_f64 v[6:7], v[0:1], v[10:11]
	v_fma_f64 v[4:5], v[0:1], v[8:9], -v[4:5]
	v_fmac_f64_e32 v[6:7], v[2:3], v[8:9]
	v_add_f64 v[74:75], v[98:99], v[30:31]
	v_add_f64 v[30:31], v[124:125], v[4:5]
	v_add_f64 v[32:33], v[126:127], v[6:7]
	ds_read_b128 v[4:7], v104 offset:3840
	s_waitcnt lgkmcnt(0)
	v_mul_f64 v[20:21], v[2:3], v[6:7]
	v_fma_f64 v[20:21], v[0:1], v[4:5], -v[20:21]
	v_mul_f64 v[0:1], v[0:1], v[6:7]
	v_fmac_f64_e32 v[0:1], v[2:3], v[4:5]
	v_add_f64 v[22:23], v[130:131], v[0:1]
	ds_read_b128 v[0:3], v105 offset:1072
	v_add_f64 v[20:21], v[128:129], v[20:21]
	s_waitcnt lgkmcnt(0)
	v_mul_f64 v[66:67], v[2:3], v[18:19]
	v_fma_f64 v[66:67], v[0:1], v[16:17], -v[66:67]
	v_add_f64 v[70:71], v[46:47], v[66:67]
	v_mul_f64 v[46:47], v[2:3], v[14:15]
	v_mul_f64 v[68:69], v[0:1], v[18:19]
	v_fma_f64 v[46:47], v[0:1], v[12:13], -v[46:47]
	v_fmac_f64_e32 v[68:69], v[2:3], v[16:17]
	v_add_f64 v[66:67], v[50:51], v[46:47]
	v_mul_f64 v[46:47], v[2:3], v[10:11]
	v_add_f64 v[72:73], v[48:49], v[68:69]
	v_mul_f64 v[48:49], v[0:1], v[14:15]
	v_fma_f64 v[46:47], v[0:1], v[8:9], -v[46:47]
	v_fmac_f64_e32 v[48:49], v[2:3], v[12:13]
	v_add_f64 v[54:55], v[54:55], v[46:47]
	v_mul_f64 v[46:47], v[2:3], v[6:7]
	v_add_f64 v[68:69], v[52:53], v[48:49]
	v_mul_f64 v[48:49], v[0:1], v[10:11]
	v_fma_f64 v[46:47], v[0:1], v[4:5], -v[46:47]
	v_mul_f64 v[0:1], v[0:1], v[6:7]
	v_fmac_f64_e32 v[48:49], v[2:3], v[8:9]
	v_fmac_f64_e32 v[0:1], v[2:3], v[4:5]
	v_add_f64 v[56:57], v[56:57], v[48:49]
	v_add_f64 v[48:49], v[62:63], v[0:1]
	ds_read_b128 v[0:3], v105 offset:2096
	v_add_f64 v[46:47], v[58:59], v[46:47]
	s_waitcnt lgkmcnt(0)
	v_mul_f64 v[50:51], v[2:3], v[18:19]
	v_fma_f64 v[50:51], v[0:1], v[16:17], -v[50:51]
	v_add_f64 v[58:59], v[34:35], v[50:51]
	v_mul_f64 v[34:35], v[2:3], v[14:15]
	v_mul_f64 v[52:53], v[0:1], v[18:19]
	v_fma_f64 v[34:35], v[0:1], v[12:13], -v[34:35]
	v_fmac_f64_e32 v[52:53], v[2:3], v[16:17]
	v_add_f64 v[50:51], v[42:43], v[34:35]
	v_mul_f64 v[34:35], v[2:3], v[10:11]
	v_add_f64 v[62:63], v[36:37], v[52:53]
	v_mul_f64 v[36:37], v[0:1], v[14:15]
	v_fma_f64 v[34:35], v[0:1], v[8:9], -v[34:35]
	v_fmac_f64_e32 v[36:37], v[2:3], v[12:13]
	v_add_f64 v[42:43], v[90:91], v[34:35]
	v_mul_f64 v[34:35], v[2:3], v[6:7]
	v_add_f64 v[52:53], v[44:45], v[36:37]
	v_mul_f64 v[36:37], v[0:1], v[10:11]
	v_fma_f64 v[34:35], v[0:1], v[4:5], -v[34:35]
	v_mul_f64 v[0:1], v[0:1], v[6:7]
	v_fmac_f64_e32 v[36:37], v[2:3], v[8:9]
	v_fmac_f64_e32 v[0:1], v[2:3], v[4:5]
	v_add_f64 v[44:45], v[92:93], v[36:37]
	v_add_f64 v[36:37], v[96:97], v[0:1]
	ds_read_b128 v[0:3], v105 offset:3120
	v_add_f64 v[34:35], v[94:95], v[34:35]
	s_waitcnt lgkmcnt(0)
	s_barrier
	v_mul_f64 v[90:91], v[2:3], v[18:19]
	v_mul_f64 v[18:19], v[0:1], v[18:19]
	v_fma_f64 v[90:91], v[0:1], v[16:17], -v[90:91]
	v_fmac_f64_e32 v[18:19], v[2:3], v[16:17]
	v_mul_f64 v[16:17], v[2:3], v[14:15]
	v_mul_f64 v[14:15], v[0:1], v[14:15]
	v_fma_f64 v[16:17], v[0:1], v[12:13], -v[16:17]
	v_fmac_f64_e32 v[14:15], v[2:3], v[12:13]
	;; [unrolled: 4-line block ×3, first 2 shown]
	v_mul_f64 v[8:9], v[2:3], v[6:7]
	v_fma_f64 v[8:9], v[0:1], v[4:5], -v[8:9]
	v_mul_f64 v[0:1], v[0:1], v[6:7]
	v_fmac_f64_e32 v[0:1], v[2:3], v[4:5]
	v_add_f64 v[74:75], v[74:75], v[90:91]
	v_add_f64 v[76:77], v[76:77], v[18:19]
	;; [unrolled: 1-line block ×8, first 2 shown]
	s_cbranch_vccnz .LBB124_2
	s_branch .LBB124_4
.LBB124_3:
	v_pk_mov_b32 v[60:61], 0, 0
	v_pk_mov_b32 v[64:65], 0, 0
	;; [unrolled: 1-line block ×32, first 2 shown]
.LBB124_4:
	s_load_dwordx2 s[4:5], s[4:5], 0x90
	v_mov_b32_e32 v0, s3
	v_add_co_u32_e32 v6, vcc, s2, v101
	v_addc_co_u32_e32 v7, vcc, 0, v0, vcc
	s_waitcnt lgkmcnt(0)
	s_mul_i32 s3, s8, s5
	s_mul_hi_u32 s5, s8, s4
	s_mul_i32 s4, s8, s4
	s_add_i32 s5, s5, s3
	s_lshl_b64 s[4:5], s[4:5], 4
	s_add_u32 s4, s24, s4
	v_cmp_neq_f64_e64 s[6:7], s[14:15], 0
	v_cmp_neq_f64_e64 s[10:11], s[16:17], 0
	v_mov_b32_e32 v1, s1
	v_add_co_u32_e32 v0, vcc, s0, v100
	s_addc_u32 s5, s25, s5
	s_or_b64 s[6:7], s[6:7], s[10:11]
	v_addc_co_u32_e32 v1, vcc, 0, v1, vcc
	s_mov_b64 s[2:3], 0
	s_and_b64 vcc, exec, s[6:7]
	s_cbranch_vccnz .LBB124_6
; %bb.5:
	v_mul_lo_u32 v4, v7, s26
	v_mul_lo_u32 v5, v6, s27
	v_mad_u64_u32 v[2:3], s[0:1], v6, s26, 0
	v_add3_u32 v3, v3, v5, v4
	v_lshlrev_b64 v[2:3], 4, v[2:3]
	v_mov_b32_e32 v4, s5
	v_add_co_u32_e32 v26, vcc, s4, v2
	v_addc_co_u32_e32 v27, vcc, v4, v3, vcc
	v_lshlrev_b64 v[24:25], 4, v[0:1]
	v_mul_f64 v[2:3], s[40:41], v[64:65]
	v_mul_f64 v[4:5], s[38:39], v[64:65]
	v_add_co_u32_e32 v24, vcc, v26, v24
	v_fma_f64 v[2:3], s[38:39], v[60:61], -v[2:3]
	v_fmac_f64_e32 v[4:5], s[40:41], v[60:61]
	v_addc_co_u32_e32 v25, vcc, v27, v25, vcc
	global_store_dwordx4 v[24:25], v[2:5], off
	s_lshl_b64 s[0:1], s[26:27], 8
	v_mul_f64 v[2:3], s[40:41], v[40:41]
	v_mul_f64 v[4:5], s[38:39], v[40:41]
	v_fma_f64 v[2:3], s[38:39], v[38:39], -v[2:3]
	v_fmac_f64_e32 v[4:5], s[40:41], v[38:39]
	global_store_dwordx4 v[24:25], v[2:5], off offset:256
	v_mov_b32_e32 v26, s1
	v_mul_f64 v[2:3], s[40:41], v[32:33]
	v_mul_f64 v[4:5], s[38:39], v[32:33]
	v_fma_f64 v[2:3], s[38:39], v[30:31], -v[2:3]
	v_fmac_f64_e32 v[4:5], s[40:41], v[30:31]
	global_store_dwordx4 v[24:25], v[2:5], off offset:512
	s_nop 0
	v_mul_f64 v[2:3], s[40:41], v[22:23]
	v_mul_f64 v[4:5], s[38:39], v[22:23]
	v_fma_f64 v[2:3], s[38:39], v[20:21], -v[2:3]
	v_fmac_f64_e32 v[4:5], s[40:41], v[20:21]
	global_store_dwordx4 v[24:25], v[2:5], off offset:768
	v_add_co_u32_e32 v24, vcc, s0, v24
	v_mul_f64 v[2:3], s[40:41], v[72:73]
	v_mul_f64 v[4:5], s[38:39], v[72:73]
	v_fma_f64 v[2:3], s[38:39], v[70:71], -v[2:3]
	v_fmac_f64_e32 v[4:5], s[40:41], v[70:71]
	v_addc_co_u32_e32 v25, vcc, v25, v26, vcc
	global_store_dwordx4 v[24:25], v[2:5], off
	s_nop 0
	v_mul_f64 v[2:3], s[40:41], v[68:69]
	v_mul_f64 v[4:5], s[38:39], v[68:69]
	v_fma_f64 v[2:3], s[38:39], v[66:67], -v[2:3]
	v_fmac_f64_e32 v[4:5], s[40:41], v[66:67]
	global_store_dwordx4 v[24:25], v[2:5], off offset:256
	s_nop 0
	v_mul_f64 v[2:3], s[40:41], v[56:57]
	v_mul_f64 v[4:5], s[38:39], v[56:57]
	v_fma_f64 v[2:3], s[38:39], v[54:55], -v[2:3]
	v_fmac_f64_e32 v[4:5], s[40:41], v[54:55]
	global_store_dwordx4 v[24:25], v[2:5], off offset:512
	s_nop 0
	v_mul_f64 v[2:3], s[40:41], v[48:49]
	v_mul_f64 v[4:5], s[38:39], v[48:49]
	v_fma_f64 v[2:3], s[38:39], v[46:47], -v[2:3]
	v_fmac_f64_e32 v[4:5], s[40:41], v[46:47]
	global_store_dwordx4 v[24:25], v[2:5], off offset:768
	v_add_co_u32_e32 v24, vcc, s0, v24
	v_mul_f64 v[2:3], s[40:41], v[62:63]
	v_mul_f64 v[4:5], s[38:39], v[62:63]
	v_fma_f64 v[2:3], s[38:39], v[58:59], -v[2:3]
	v_fmac_f64_e32 v[4:5], s[40:41], v[58:59]
	v_addc_co_u32_e32 v25, vcc, v25, v26, vcc
	global_store_dwordx4 v[24:25], v[2:5], off
	s_nop 0
	v_mul_f64 v[2:3], s[40:41], v[52:53]
	v_mul_f64 v[4:5], s[38:39], v[52:53]
	v_fma_f64 v[2:3], s[38:39], v[50:51], -v[2:3]
	v_fmac_f64_e32 v[4:5], s[40:41], v[50:51]
	global_store_dwordx4 v[24:25], v[2:5], off offset:256
	s_nop 0
	;; [unrolled: 25-line block ×3, first 2 shown]
	v_mul_f64 v[2:3], s[40:41], v[14:15]
	v_mul_f64 v[4:5], s[38:39], v[14:15]
	v_fma_f64 v[2:3], s[38:39], v[12:13], -v[2:3]
	v_fmac_f64_e32 v[4:5], s[40:41], v[12:13]
	global_store_dwordx4 v[24:25], v[2:5], off offset:512
	s_nop 0
	v_mul_f64 v[2:3], s[40:41], v[8:9]
	v_fma_f64 v[26:27], s[38:39], v[10:11], -v[2:3]
	v_mul_f64 v[4:5], s[38:39], v[8:9]
	v_add_co_u32_e32 v2, vcc, 0x300, v24
	v_fmac_f64_e32 v[4:5], s[40:41], v[10:11]
	v_addc_co_u32_e32 v3, vcc, 0, v25, vcc
	global_store_dwordx2 v[24:25], v[26:27], off offset:768
	s_andn2_b64 vcc, exec, s[2:3]
	s_cbranch_vccz .LBB124_7
	s_branch .LBB124_8
.LBB124_6:
                                        ; implicit-def: $vgpr4_vgpr5
                                        ; implicit-def: $vgpr2_vgpr3
.LBB124_7:
	s_mul_i32 s0, s8, s23
	s_mul_hi_u32 s1, s8, s22
	s_add_i32 s1, s1, s0
	s_mul_i32 s0, s8, s22
	s_lshl_b64 s[0:1], s[0:1], 4
	s_add_u32 s2, s18, s0
	s_addc_u32 s3, s19, s1
	v_mul_lo_u32 v4, v7, s20
	v_mul_lo_u32 v5, v6, s21
	v_mad_u64_u32 v[2:3], s[0:1], v6, s20, 0
	v_add3_u32 v3, v3, v5, v4
	v_lshlrev_b64 v[2:3], 4, v[2:3]
	v_mov_b32_e32 v4, s3
	v_add_co_u32_e32 v2, vcc, s2, v2
	v_addc_co_u32_e32 v3, vcc, v4, v3, vcc
	v_lshlrev_b64 v[4:5], 4, v[0:1]
	v_add_co_u32_e32 v24, vcc, v2, v4
	v_addc_co_u32_e32 v25, vcc, v3, v5, vcc
	global_load_dwordx4 v[0:3], v[24:25], off
	v_mul_lo_u32 v78, v7, s26
	v_mul_lo_u32 v79, v6, s27
	v_mad_u64_u32 v[6:7], s[0:1], v6, s26, 0
	v_add3_u32 v7, v7, v79, v78
	v_lshlrev_b64 v[6:7], 4, v[6:7]
	v_mov_b32_e32 v80, s5
	v_add_co_u32_e32 v6, vcc, s4, v6
	v_addc_co_u32_e32 v7, vcc, v80, v7, vcc
	v_add_co_u32_e32 v4, vcc, v6, v4
	v_mul_f64 v[26:27], s[40:41], v[64:65]
	v_mul_f64 v[28:29], s[38:39], v[64:65]
	v_addc_co_u32_e32 v5, vcc, v7, v5, vcc
	v_fma_f64 v[26:27], s[38:39], v[60:61], -v[26:27]
	v_fmac_f64_e32 v[28:29], s[40:41], v[60:61]
	s_lshl_b64 s[0:1], s[20:21], 8
	s_lshl_b64 s[2:3], s[26:27], 8
	s_waitcnt vmcnt(0)
	v_mul_f64 v[6:7], s[16:17], v[2:3]
	v_mul_f64 v[2:3], s[14:15], v[2:3]
	v_fma_f64 v[6:7], s[14:15], v[0:1], -v[6:7]
	v_fmac_f64_e32 v[2:3], s[16:17], v[0:1]
	v_add_f64 v[0:1], v[26:27], v[6:7]
	v_add_f64 v[2:3], v[28:29], v[2:3]
	global_store_dwordx4 v[4:5], v[0:3], off
	global_load_dwordx4 v[0:3], v[24:25], off offset:256
	v_mul_f64 v[6:7], s[40:41], v[40:41]
	v_mul_f64 v[26:27], s[38:39], v[40:41]
	v_fma_f64 v[6:7], s[38:39], v[38:39], -v[6:7]
	v_fmac_f64_e32 v[26:27], s[40:41], v[38:39]
	s_waitcnt vmcnt(0)
	v_mul_f64 v[28:29], s[16:17], v[2:3]
	v_mul_f64 v[2:3], s[14:15], v[2:3]
	v_fma_f64 v[28:29], s[14:15], v[0:1], -v[28:29]
	v_fmac_f64_e32 v[2:3], s[16:17], v[0:1]
	v_add_f64 v[0:1], v[6:7], v[28:29]
	v_add_f64 v[2:3], v[26:27], v[2:3]
	global_store_dwordx4 v[4:5], v[0:3], off offset:256
	global_load_dwordx4 v[0:3], v[24:25], off offset:512
	v_mul_f64 v[6:7], s[40:41], v[32:33]
	v_mul_f64 v[26:27], s[38:39], v[32:33]
	v_fma_f64 v[6:7], s[38:39], v[30:31], -v[6:7]
	v_fmac_f64_e32 v[26:27], s[40:41], v[30:31]
	s_waitcnt vmcnt(0)
	v_mul_f64 v[28:29], s[16:17], v[2:3]
	v_mul_f64 v[2:3], s[14:15], v[2:3]
	v_fma_f64 v[28:29], s[14:15], v[0:1], -v[28:29]
	v_fmac_f64_e32 v[2:3], s[16:17], v[0:1]
	v_add_f64 v[0:1], v[6:7], v[28:29]
	v_add_f64 v[2:3], v[26:27], v[2:3]
	global_store_dwordx4 v[4:5], v[0:3], off offset:512
	global_load_dwordx4 v[0:3], v[24:25], off offset:768
	v_mul_f64 v[6:7], s[40:41], v[22:23]
	v_mul_f64 v[22:23], s[38:39], v[22:23]
	v_fma_f64 v[6:7], s[38:39], v[20:21], -v[6:7]
	v_fmac_f64_e32 v[22:23], s[40:41], v[20:21]
	v_mov_b32_e32 v26, s1
	v_add_co_u32_e32 v20, vcc, s0, v24
	v_addc_co_u32_e32 v21, vcc, v25, v26, vcc
	v_mov_b32_e32 v27, s3
	s_waitcnt vmcnt(0)
	v_mul_f64 v[24:25], s[16:17], v[2:3]
	v_mul_f64 v[2:3], s[14:15], v[2:3]
	v_fma_f64 v[24:25], s[14:15], v[0:1], -v[24:25]
	v_fmac_f64_e32 v[2:3], s[16:17], v[0:1]
	v_add_f64 v[0:1], v[6:7], v[24:25]
	v_add_f64 v[2:3], v[22:23], v[2:3]
	global_store_dwordx4 v[4:5], v[0:3], off offset:768
	global_load_dwordx4 v[0:3], v[20:21], off
	v_mul_f64 v[6:7], s[40:41], v[72:73]
	v_mul_f64 v[22:23], s[38:39], v[72:73]
	v_fma_f64 v[6:7], s[38:39], v[70:71], -v[6:7]
	v_fmac_f64_e32 v[22:23], s[40:41], v[70:71]
	v_add_co_u32_e32 v4, vcc, s2, v4
	v_addc_co_u32_e32 v5, vcc, v5, v27, vcc
	s_waitcnt vmcnt(0)
	v_mul_f64 v[24:25], s[16:17], v[2:3]
	v_mul_f64 v[2:3], s[14:15], v[2:3]
	v_fma_f64 v[24:25], s[14:15], v[0:1], -v[24:25]
	v_fmac_f64_e32 v[2:3], s[16:17], v[0:1]
	v_add_f64 v[0:1], v[6:7], v[24:25]
	v_add_f64 v[2:3], v[22:23], v[2:3]
	global_store_dwordx4 v[4:5], v[0:3], off
	global_load_dwordx4 v[0:3], v[20:21], off offset:256
	v_mul_f64 v[6:7], s[40:41], v[68:69]
	v_mul_f64 v[22:23], s[38:39], v[68:69]
	v_fma_f64 v[6:7], s[38:39], v[66:67], -v[6:7]
	v_fmac_f64_e32 v[22:23], s[40:41], v[66:67]
	s_waitcnt vmcnt(0)
	v_mul_f64 v[24:25], s[16:17], v[2:3]
	v_mul_f64 v[2:3], s[14:15], v[2:3]
	v_fma_f64 v[24:25], s[14:15], v[0:1], -v[24:25]
	v_fmac_f64_e32 v[2:3], s[16:17], v[0:1]
	v_add_f64 v[0:1], v[6:7], v[24:25]
	v_add_f64 v[2:3], v[22:23], v[2:3]
	global_store_dwordx4 v[4:5], v[0:3], off offset:256
	global_load_dwordx4 v[0:3], v[20:21], off offset:512
	v_mul_f64 v[6:7], s[40:41], v[56:57]
	v_mul_f64 v[22:23], s[38:39], v[56:57]
	v_fma_f64 v[6:7], s[38:39], v[54:55], -v[6:7]
	v_fmac_f64_e32 v[22:23], s[40:41], v[54:55]
	s_waitcnt vmcnt(0)
	v_mul_f64 v[24:25], s[16:17], v[2:3]
	v_mul_f64 v[2:3], s[14:15], v[2:3]
	v_fma_f64 v[24:25], s[14:15], v[0:1], -v[24:25]
	v_fmac_f64_e32 v[2:3], s[16:17], v[0:1]
	v_add_f64 v[0:1], v[6:7], v[24:25]
	v_add_f64 v[2:3], v[22:23], v[2:3]
	global_store_dwordx4 v[4:5], v[0:3], off offset:512
	global_load_dwordx4 v[0:3], v[20:21], off offset:768
	v_mul_f64 v[6:7], s[40:41], v[48:49]
	v_mul_f64 v[22:23], s[38:39], v[48:49]
	v_fma_f64 v[6:7], s[38:39], v[46:47], -v[6:7]
	v_fmac_f64_e32 v[22:23], s[40:41], v[46:47]
	v_add_co_u32_e32 v20, vcc, s0, v20
	v_addc_co_u32_e32 v21, vcc, v21, v26, vcc
	s_waitcnt vmcnt(0)
	v_mul_f64 v[24:25], s[16:17], v[2:3]
	v_mul_f64 v[2:3], s[14:15], v[2:3]
	v_fma_f64 v[24:25], s[14:15], v[0:1], -v[24:25]
	v_fmac_f64_e32 v[2:3], s[16:17], v[0:1]
	v_add_f64 v[0:1], v[6:7], v[24:25]
	v_add_f64 v[2:3], v[22:23], v[2:3]
	global_store_dwordx4 v[4:5], v[0:3], off offset:768
	global_load_dwordx4 v[0:3], v[20:21], off
	v_mul_f64 v[6:7], s[40:41], v[62:63]
	v_mul_f64 v[22:23], s[38:39], v[62:63]
	v_fma_f64 v[6:7], s[38:39], v[58:59], -v[6:7]
	v_fmac_f64_e32 v[22:23], s[40:41], v[58:59]
	v_add_co_u32_e32 v4, vcc, s2, v4
	v_addc_co_u32_e32 v5, vcc, v5, v27, vcc
	s_waitcnt vmcnt(0)
	v_mul_f64 v[24:25], s[16:17], v[2:3]
	v_mul_f64 v[2:3], s[14:15], v[2:3]
	v_fma_f64 v[24:25], s[14:15], v[0:1], -v[24:25]
	v_fmac_f64_e32 v[2:3], s[16:17], v[0:1]
	v_add_f64 v[0:1], v[6:7], v[24:25]
	v_add_f64 v[2:3], v[22:23], v[2:3]
	global_store_dwordx4 v[4:5], v[0:3], off
	global_load_dwordx4 v[0:3], v[20:21], off offset:256
	v_mul_f64 v[6:7], s[40:41], v[52:53]
	v_mul_f64 v[22:23], s[38:39], v[52:53]
	v_fma_f64 v[6:7], s[38:39], v[50:51], -v[6:7]
	v_fmac_f64_e32 v[22:23], s[40:41], v[50:51]
	s_waitcnt vmcnt(0)
	v_mul_f64 v[24:25], s[16:17], v[2:3]
	v_mul_f64 v[2:3], s[14:15], v[2:3]
	v_fma_f64 v[24:25], s[14:15], v[0:1], -v[24:25]
	v_fmac_f64_e32 v[2:3], s[16:17], v[0:1]
	v_add_f64 v[0:1], v[6:7], v[24:25]
	v_add_f64 v[2:3], v[22:23], v[2:3]
	global_store_dwordx4 v[4:5], v[0:3], off offset:256
	global_load_dwordx4 v[0:3], v[20:21], off offset:512
	v_mul_f64 v[6:7], s[40:41], v[44:45]
	v_mul_f64 v[22:23], s[38:39], v[44:45]
	v_fma_f64 v[6:7], s[38:39], v[42:43], -v[6:7]
	v_fmac_f64_e32 v[22:23], s[40:41], v[42:43]
	s_waitcnt vmcnt(0)
	v_mul_f64 v[24:25], s[16:17], v[2:3]
	v_mul_f64 v[2:3], s[14:15], v[2:3]
	v_fma_f64 v[24:25], s[14:15], v[0:1], -v[24:25]
	v_fmac_f64_e32 v[2:3], s[16:17], v[0:1]
	v_add_f64 v[0:1], v[6:7], v[24:25]
	v_add_f64 v[2:3], v[22:23], v[2:3]
	global_store_dwordx4 v[4:5], v[0:3], off offset:512
	global_load_dwordx4 v[0:3], v[20:21], off offset:768
	v_mul_f64 v[6:7], s[40:41], v[36:37]
	v_mul_f64 v[22:23], s[38:39], v[36:37]
	v_fma_f64 v[6:7], s[38:39], v[34:35], -v[6:7]
	v_fmac_f64_e32 v[22:23], s[40:41], v[34:35]
	v_add_co_u32_e32 v20, vcc, s0, v20
	v_addc_co_u32_e32 v21, vcc, v21, v26, vcc
	s_waitcnt vmcnt(0)
	v_mul_f64 v[24:25], s[16:17], v[2:3]
	v_mul_f64 v[2:3], s[14:15], v[2:3]
	v_fma_f64 v[24:25], s[14:15], v[0:1], -v[24:25]
	v_fmac_f64_e32 v[2:3], s[16:17], v[0:1]
	v_add_f64 v[0:1], v[6:7], v[24:25]
	v_add_f64 v[2:3], v[22:23], v[2:3]
	global_store_dwordx4 v[4:5], v[0:3], off offset:768
	global_load_dwordx4 v[0:3], v[20:21], off
	v_add_co_u32_e32 v24, vcc, s2, v4
	v_mul_f64 v[6:7], s[40:41], v[76:77]
	v_mul_f64 v[22:23], s[38:39], v[76:77]
	v_addc_co_u32_e32 v25, vcc, v5, v27, vcc
	v_fma_f64 v[6:7], s[38:39], v[74:75], -v[6:7]
	v_fmac_f64_e32 v[22:23], s[40:41], v[74:75]
	s_waitcnt vmcnt(0)
	v_mul_f64 v[4:5], s[16:17], v[2:3]
	v_mul_f64 v[2:3], s[14:15], v[2:3]
	v_fma_f64 v[4:5], s[14:15], v[0:1], -v[4:5]
	v_fmac_f64_e32 v[2:3], s[16:17], v[0:1]
	v_add_f64 v[0:1], v[6:7], v[4:5]
	v_add_f64 v[2:3], v[22:23], v[2:3]
	global_store_dwordx4 v[24:25], v[0:3], off
	global_load_dwordx4 v[0:3], v[20:21], off offset:256
	v_mul_f64 v[4:5], s[40:41], v[18:19]
	v_mul_f64 v[6:7], s[38:39], v[18:19]
	v_fma_f64 v[4:5], s[38:39], v[16:17], -v[4:5]
	v_fmac_f64_e32 v[6:7], s[40:41], v[16:17]
	s_waitcnt vmcnt(0)
	v_mul_f64 v[16:17], s[16:17], v[2:3]
	v_mul_f64 v[2:3], s[14:15], v[2:3]
	v_fma_f64 v[16:17], s[14:15], v[0:1], -v[16:17]
	v_fmac_f64_e32 v[2:3], s[16:17], v[0:1]
	v_add_f64 v[0:1], v[4:5], v[16:17]
	v_add_f64 v[2:3], v[6:7], v[2:3]
	global_store_dwordx4 v[24:25], v[0:3], off offset:256
	global_load_dwordx4 v[0:3], v[20:21], off offset:512
	v_mul_f64 v[4:5], s[40:41], v[14:15]
	v_mul_f64 v[6:7], s[38:39], v[14:15]
	v_fma_f64 v[4:5], s[38:39], v[12:13], -v[4:5]
	v_fmac_f64_e32 v[6:7], s[40:41], v[12:13]
	s_waitcnt vmcnt(0)
	v_mul_f64 v[12:13], s[16:17], v[2:3]
	v_mul_f64 v[2:3], s[14:15], v[2:3]
	v_fma_f64 v[12:13], s[14:15], v[0:1], -v[12:13]
	v_fmac_f64_e32 v[2:3], s[16:17], v[0:1]
	v_add_f64 v[0:1], v[4:5], v[12:13]
	v_add_f64 v[2:3], v[6:7], v[2:3]
	global_store_dwordx4 v[24:25], v[0:3], off offset:512
	global_load_dwordx4 v[4:7], v[20:21], off offset:768
	v_mul_f64 v[0:1], s[40:41], v[8:9]
	v_mul_f64 v[8:9], s[38:39], v[8:9]
	v_fma_f64 v[0:1], s[38:39], v[10:11], -v[0:1]
	v_fmac_f64_e32 v[8:9], s[40:41], v[10:11]
	v_add_co_u32_e32 v2, vcc, 0x300, v24
	v_addc_co_u32_e32 v3, vcc, 0, v25, vcc
	s_waitcnt vmcnt(0)
	v_mul_f64 v[10:11], s[16:17], v[6:7]
	v_mul_f64 v[6:7], s[14:15], v[6:7]
	v_fma_f64 v[10:11], s[14:15], v[4:5], -v[10:11]
	v_fmac_f64_e32 v[6:7], s[16:17], v[4:5]
	v_add_f64 v[0:1], v[0:1], v[10:11]
	v_add_f64 v[4:5], v[8:9], v[6:7]
	global_store_dwordx2 v[24:25], v[0:1], off offset:768
.LBB124_8:
	global_store_dwordx2 v[2:3], v[4:5], off offset:8
	s_endpgm
	.section	.rodata,"a",@progbits
	.p2align	6, 0x0
	.amdhsa_kernel _ZN12_GLOBAL__N_127rocblas_gemm_batched_kernelI19rocblas_complex_numIdELi16ELi16ELi64ELi64ELi4ELi64ELi4ELi4ELi64ELc67ELc84EKS2_S3_S2_EEvlllT_PT11_llS6_llS4_PT12_llPT13_lli
		.amdhsa_group_segment_fixed_size 8192
		.amdhsa_private_segment_fixed_size 0
		.amdhsa_kernarg_size 156
		.amdhsa_user_sgpr_count 6
		.amdhsa_user_sgpr_private_segment_buffer 1
		.amdhsa_user_sgpr_dispatch_ptr 0
		.amdhsa_user_sgpr_queue_ptr 0
		.amdhsa_user_sgpr_kernarg_segment_ptr 1
		.amdhsa_user_sgpr_dispatch_id 0
		.amdhsa_user_sgpr_flat_scratch_init 0
		.amdhsa_user_sgpr_kernarg_preload_length 0
		.amdhsa_user_sgpr_kernarg_preload_offset 0
		.amdhsa_user_sgpr_private_segment_size 0
		.amdhsa_uses_dynamic_stack 0
		.amdhsa_system_sgpr_private_segment_wavefront_offset 0
		.amdhsa_system_sgpr_workgroup_id_x 1
		.amdhsa_system_sgpr_workgroup_id_y 1
		.amdhsa_system_sgpr_workgroup_id_z 1
		.amdhsa_system_sgpr_workgroup_info 0
		.amdhsa_system_vgpr_workitem_id 1
		.amdhsa_next_free_vgpr 136
		.amdhsa_next_free_sgpr 52
		.amdhsa_accum_offset 136
		.amdhsa_reserve_vcc 1
		.amdhsa_reserve_flat_scratch 0
		.amdhsa_float_round_mode_32 0
		.amdhsa_float_round_mode_16_64 0
		.amdhsa_float_denorm_mode_32 3
		.amdhsa_float_denorm_mode_16_64 3
		.amdhsa_dx10_clamp 1
		.amdhsa_ieee_mode 1
		.amdhsa_fp16_overflow 0
		.amdhsa_tg_split 0
		.amdhsa_exception_fp_ieee_invalid_op 0
		.amdhsa_exception_fp_denorm_src 0
		.amdhsa_exception_fp_ieee_div_zero 0
		.amdhsa_exception_fp_ieee_overflow 0
		.amdhsa_exception_fp_ieee_underflow 0
		.amdhsa_exception_fp_ieee_inexact 0
		.amdhsa_exception_int_div_zero 0
	.end_amdhsa_kernel
	.section	.text._ZN12_GLOBAL__N_127rocblas_gemm_batched_kernelI19rocblas_complex_numIdELi16ELi16ELi64ELi64ELi4ELi64ELi4ELi4ELi64ELc67ELc84EKS2_S3_S2_EEvlllT_PT11_llS6_llS4_PT12_llPT13_lli,"axG",@progbits,_ZN12_GLOBAL__N_127rocblas_gemm_batched_kernelI19rocblas_complex_numIdELi16ELi16ELi64ELi64ELi4ELi64ELi4ELi4ELi64ELc67ELc84EKS2_S3_S2_EEvlllT_PT11_llS6_llS4_PT12_llPT13_lli,comdat
.Lfunc_end124:
	.size	_ZN12_GLOBAL__N_127rocblas_gemm_batched_kernelI19rocblas_complex_numIdELi16ELi16ELi64ELi64ELi4ELi64ELi4ELi4ELi64ELc67ELc84EKS2_S3_S2_EEvlllT_PT11_llS6_llS4_PT12_llPT13_lli, .Lfunc_end124-_ZN12_GLOBAL__N_127rocblas_gemm_batched_kernelI19rocblas_complex_numIdELi16ELi16ELi64ELi64ELi4ELi64ELi4ELi4ELi64ELc67ELc84EKS2_S3_S2_EEvlllT_PT11_llS6_llS4_PT12_llPT13_lli
                                        ; -- End function
	.section	.AMDGPU.csdata,"",@progbits
; Kernel info:
; codeLenInByte = 6716
; NumSgprs: 56
; NumVgprs: 136
; NumAgprs: 0
; TotalNumVgprs: 136
; ScratchSize: 0
; MemoryBound: 0
; FloatMode: 240
; IeeeMode: 1
; LDSByteSize: 8192 bytes/workgroup (compile time only)
; SGPRBlocks: 6
; VGPRBlocks: 16
; NumSGPRsForWavesPerEU: 56
; NumVGPRsForWavesPerEU: 136
; AccumOffset: 136
; Occupancy: 3
; WaveLimiterHint : 1
; COMPUTE_PGM_RSRC2:SCRATCH_EN: 0
; COMPUTE_PGM_RSRC2:USER_SGPR: 6
; COMPUTE_PGM_RSRC2:TRAP_HANDLER: 0
; COMPUTE_PGM_RSRC2:TGID_X_EN: 1
; COMPUTE_PGM_RSRC2:TGID_Y_EN: 1
; COMPUTE_PGM_RSRC2:TGID_Z_EN: 1
; COMPUTE_PGM_RSRC2:TIDIG_COMP_CNT: 1
; COMPUTE_PGM_RSRC3_GFX90A:ACCUM_OFFSET: 33
; COMPUTE_PGM_RSRC3_GFX90A:TG_SPLIT: 0
	.section	.text._ZN12_GLOBAL__N_127rocblas_gemm_batched_kernelI19rocblas_complex_numIdELi16ELi16ELi64ELi64ELi4ELi64ELi4ELi4ELi64ELc78ELc67EKS2_S3_S2_EEvlllT_PT11_llS6_llS4_PT12_llPT13_lli,"axG",@progbits,_ZN12_GLOBAL__N_127rocblas_gemm_batched_kernelI19rocblas_complex_numIdELi16ELi16ELi64ELi64ELi4ELi64ELi4ELi4ELi64ELc78ELc67EKS2_S3_S2_EEvlllT_PT11_llS6_llS4_PT12_llPT13_lli,comdat
	.globl	_ZN12_GLOBAL__N_127rocblas_gemm_batched_kernelI19rocblas_complex_numIdELi16ELi16ELi64ELi64ELi4ELi64ELi4ELi4ELi64ELc78ELc67EKS2_S3_S2_EEvlllT_PT11_llS6_llS4_PT12_llPT13_lli ; -- Begin function _ZN12_GLOBAL__N_127rocblas_gemm_batched_kernelI19rocblas_complex_numIdELi16ELi16ELi64ELi64ELi4ELi64ELi4ELi4ELi64ELc78ELc67EKS2_S3_S2_EEvlllT_PT11_llS6_llS4_PT12_llPT13_lli
	.p2align	8
	.type	_ZN12_GLOBAL__N_127rocblas_gemm_batched_kernelI19rocblas_complex_numIdELi16ELi16ELi64ELi64ELi4ELi64ELi4ELi4ELi64ELc78ELc67EKS2_S3_S2_EEvlllT_PT11_llS6_llS4_PT12_llPT13_lli,@function
_ZN12_GLOBAL__N_127rocblas_gemm_batched_kernelI19rocblas_complex_numIdELi16ELi16ELi64ELi64ELi4ELi64ELi4ELi4ELi64ELc78ELc67EKS2_S3_S2_EEvlllT_PT11_llS6_llS4_PT12_llPT13_lli: ; @_ZN12_GLOBAL__N_127rocblas_gemm_batched_kernelI19rocblas_complex_numIdELi16ELi16ELi64ELi64ELi4ELi64ELi4ELi4ELi64ELc78ELc67EKS2_S3_S2_EEvlllT_PT11_llS6_llS4_PT12_llPT13_lli
; %bb.0:
	s_load_dwordx16 s[36:51], s[4:5], 0x10
	s_load_dwordx16 s[12:27], s[4:5], 0x50
	s_mov_b32 s2, s7
	s_ashr_i32 s7, s6, 31
	s_ashr_i32 s3, s2, 31
	s_waitcnt lgkmcnt(0)
	v_cmp_lt_i64_e64 s[10:11], s[36:37], 1
	v_bfe_u32 v101, v0, 10, 10
	v_and_b32_e32 v100, 0x3ff, v0
	s_lshl_b64 s[0:1], s[6:7], 6
	s_lshl_b64 s[2:3], s[2:3], 6
	s_mov_b64 s[6:7], 0
	s_and_b64 vcc, exec, s[10:11]
	s_cbranch_vccnz .LBB125_3
; %bb.1:
	v_lshl_add_u32 v4, v101, 4, v100
	v_lshrrev_b32_e32 v5, 2, v4
	v_mov_b32_e32 v1, s3
	v_add_co_u32_e32 v0, vcc, s2, v5
	v_addc_co_u32_e32 v1, vcc, 0, v1, vcc
	v_and_b32_e32 v6, 3, v100
	v_mad_u64_u32 v[0:1], s[10:11], v6, s50, v[0:1]
	v_mov_b32_e32 v2, v1
	v_mad_u64_u32 v[2:3], s[10:11], v6, s51, v[2:3]
	v_and_b32_e32 v7, 63, v4
	v_mov_b32_e32 v1, v2
	v_lshrrev_b32_e32 v8, 6, v4
	v_lshlrev_b32_e32 v2, 4, v7
	v_lshl_or_b32 v102, v8, 10, v2
	v_lshlrev_b32_e32 v2, 4, v6
	v_lshl_or_b32 v2, v5, 6, v2
	v_add_u32_e32 v103, 0x1000, v2
	v_mov_b32_e32 v2, 0x1000
	v_lshl_add_u32 v105, v101, 6, v2
	v_pk_mov_b32 v[2:3], s[0:1], s[0:1] op_sel:[0,1]
	v_mad_u64_u32 v[2:3], s[28:29], v8, s44, v[2:3]
	v_mov_b32_e32 v4, v3
	s_mul_i32 s9, s47, s8
	s_mul_hi_u32 s10, s46, s8
	v_mad_u64_u32 v[4:5], s[28:29], v8, s45, v[4:5]
	s_add_i32 s11, s10, s9
	s_mul_i32 s10, s46, s8
	v_mov_b32_e32 v3, v4
	v_add_co_u32_e32 v2, vcc, v2, v7
	s_lshl_b64 s[10:11], s[10:11], 4
	v_addc_co_u32_e32 v3, vcc, 0, v3, vcc
	v_lshlrev_b64 v[2:3], 4, v[2:3]
	s_add_u32 s9, s42, s10
	v_add_co_u32_e32 v24, vcc, s9, v2
	s_mul_i32 s9, s13, s8
	s_mul_hi_u32 s13, s12, s8
	s_addc_u32 s10, s43, s11
	s_add_i32 s13, s13, s9
	s_mul_i32 s12, s12, s8
	v_mov_b32_e32 v4, s10
	s_lshl_b64 s[10:11], s[44:45], 6
	s_lshl_b64 s[12:13], s[12:13], 4
	s_add_u32 s9, s48, s12
	v_addc_co_u32_e32 v25, vcc, v4, v3, vcc
	v_lshlrev_b64 v[0:1], 4, v[0:1]
	s_addc_u32 s12, s49, s13
	v_mov_b32_e32 v2, s12
	v_add_co_u32_e32 v0, vcc, s9, v0
	v_addc_co_u32_e32 v1, vcc, v2, v1, vcc
	v_add_co_u32_e32 v26, vcc, 8, v0
	s_lshl_b64 s[12:13], s[50:51], 6
	v_lshlrev_b32_e32 v104, 4, v100
	v_addc_co_u32_e32 v27, vcc, 0, v1, vcc
	v_pk_mov_b32 v[8:9], 0, 0
	v_mov_b32_e32 v106, s11
	v_mov_b32_e32 v107, s13
	v_pk_mov_b32 v[28:29], s[36:37], s[36:37] op_sel:[0,1]
	v_pk_mov_b32 v[10:11], 0, 0
	v_pk_mov_b32 v[14:15], 0, 0
	;; [unrolled: 1-line block ×31, first 2 shown]
.LBB125_2:                              ; =>This Inner Loop Header: Depth=1
	global_load_dwordx4 v[0:3], v[24:25], off
	v_add_co_u32_e32 v24, vcc, s10, v24
	v_addc_co_u32_e32 v25, vcc, v25, v106, vcc
	s_add_u32 s6, s6, 4
	s_addc_u32 s7, s7, 0
	s_waitcnt vmcnt(0)
	ds_write2_b64 v102, v[0:1], v[2:3] offset1:1
	global_load_dwordx4 v[0:3], v[26:27], off offset:-8
	v_add_co_u32_e32 v26, vcc, s12, v26
	v_addc_co_u32_e32 v27, vcc, v27, v107, vcc
	v_cmp_lt_i64_e32 vcc, s[6:7], v[28:29]
	s_and_b64 vcc, exec, vcc
	s_waitcnt vmcnt(0)
	v_xor_b32_e32 v3, 0x80000000, v3
	ds_write_b128 v103, v[0:3]
	s_waitcnt lgkmcnt(0)
	s_barrier
	ds_read_b128 v[78:81], v105
	ds_read_b128 v[108:111], v105 offset:16
	ds_read_b128 v[4:7], v105 offset:32
	;; [unrolled: 1-line block ×3, first 2 shown]
	ds_read_b128 v[112:115], v104
	ds_read_b128 v[116:119], v104 offset:256
	s_waitcnt lgkmcnt(1)
	v_mul_f64 v[82:83], v[80:81], v[114:115]
	v_mul_f64 v[84:85], v[78:79], v[114:115]
	v_fma_f64 v[82:83], v[78:79], v[112:113], -v[82:83]
	v_fmac_f64_e32 v[84:85], v[80:81], v[112:113]
	v_add_f64 v[120:121], v[60:61], v[82:83]
	v_add_f64 v[122:123], v[64:65], v[84:85]
	s_waitcnt lgkmcnt(0)
	v_mul_f64 v[60:61], v[80:81], v[118:119]
	v_mul_f64 v[64:65], v[78:79], v[118:119]
	v_fma_f64 v[60:61], v[78:79], v[116:117], -v[60:61]
	v_fmac_f64_e32 v[64:65], v[80:81], v[116:117]
	v_add_f64 v[124:125], v[38:39], v[60:61]
	v_add_f64 v[126:127], v[40:41], v[64:65]
	ds_read_b128 v[38:41], v104 offset:512
	s_waitcnt lgkmcnt(0)
	v_mul_f64 v[60:61], v[80:81], v[40:41]
	v_mul_f64 v[64:65], v[78:79], v[40:41]
	v_fma_f64 v[60:61], v[78:79], v[38:39], -v[60:61]
	v_fmac_f64_e32 v[64:65], v[80:81], v[38:39]
	v_add_f64 v[128:129], v[30:31], v[60:61]
	v_add_f64 v[130:131], v[32:33], v[64:65]
	ds_read_b128 v[30:33], v104 offset:768
	;; [unrolled: 8-line block ×3, first 2 shown]
	s_waitcnt lgkmcnt(0)
	v_mul_f64 v[60:61], v[22:23], v[114:115]
	v_fma_f64 v[60:61], v[20:21], v[112:113], -v[60:61]
	v_mul_f64 v[78:79], v[20:21], v[114:115]
	v_add_f64 v[64:65], v[70:71], v[60:61]
	v_mul_f64 v[60:61], v[22:23], v[118:119]
	v_fmac_f64_e32 v[78:79], v[22:23], v[112:113]
	v_fma_f64 v[60:61], v[20:21], v[116:117], -v[60:61]
	v_add_f64 v[70:71], v[72:73], v[78:79]
	v_mul_f64 v[72:73], v[20:21], v[118:119]
	v_add_f64 v[66:67], v[66:67], v[60:61]
	v_mul_f64 v[60:61], v[22:23], v[40:41]
	v_fmac_f64_e32 v[72:73], v[22:23], v[116:117]
	v_fma_f64 v[60:61], v[20:21], v[38:39], -v[60:61]
	v_add_f64 v[68:69], v[68:69], v[72:73]
	v_add_f64 v[72:73], v[54:55], v[60:61]
	v_mul_f64 v[54:55], v[22:23], v[32:33]
	v_mul_f64 v[78:79], v[20:21], v[40:41]
	v_fma_f64 v[54:55], v[20:21], v[30:31], -v[54:55]
	v_mul_f64 v[20:21], v[20:21], v[32:33]
	v_fmac_f64_e32 v[20:21], v[22:23], v[30:31]
	v_fmac_f64_e32 v[78:79], v[22:23], v[38:39]
	v_add_f64 v[98:99], v[48:49], v[20:21]
	ds_read_b128 v[20:23], v105 offset:2048
	v_add_f64 v[96:97], v[46:47], v[54:55]
	v_add_f64 v[94:95], v[56:57], v[78:79]
	s_waitcnt lgkmcnt(0)
	v_mul_f64 v[46:47], v[22:23], v[114:115]
	v_fma_f64 v[46:47], v[20:21], v[112:113], -v[46:47]
	v_add_f64 v[78:79], v[58:59], v[46:47]
	v_mul_f64 v[46:47], v[22:23], v[118:119]
	v_mul_f64 v[48:49], v[20:21], v[114:115]
	v_fma_f64 v[46:47], v[20:21], v[116:117], -v[46:47]
	v_fmac_f64_e32 v[48:49], v[22:23], v[112:113]
	v_add_f64 v[82:83], v[50:51], v[46:47]
	v_mul_f64 v[46:47], v[22:23], v[40:41]
	v_add_f64 v[80:81], v[62:63], v[48:49]
	v_mul_f64 v[48:49], v[20:21], v[118:119]
	v_fma_f64 v[46:47], v[20:21], v[38:39], -v[46:47]
	v_fmac_f64_e32 v[48:49], v[22:23], v[116:117]
	v_add_f64 v[86:87], v[42:43], v[46:47]
	v_mul_f64 v[42:43], v[22:23], v[32:33]
	v_add_f64 v[84:85], v[52:53], v[48:49]
	v_mul_f64 v[48:49], v[20:21], v[40:41]
	v_fma_f64 v[42:43], v[20:21], v[30:31], -v[42:43]
	v_mul_f64 v[20:21], v[20:21], v[32:33]
	v_fmac_f64_e32 v[20:21], v[22:23], v[30:31]
	v_fmac_f64_e32 v[48:49], v[22:23], v[38:39]
	v_add_f64 v[92:93], v[36:37], v[20:21]
	ds_read_b128 v[20:23], v105 offset:3072
	v_add_f64 v[90:91], v[34:35], v[42:43]
	v_add_f64 v[88:89], v[44:45], v[48:49]
	s_waitcnt lgkmcnt(0)
	v_mul_f64 v[34:35], v[22:23], v[114:115]
	v_mul_f64 v[36:37], v[20:21], v[114:115]
	v_fma_f64 v[34:35], v[20:21], v[112:113], -v[34:35]
	v_fmac_f64_e32 v[36:37], v[22:23], v[112:113]
	v_add_f64 v[58:59], v[74:75], v[34:35]
	v_add_f64 v[60:61], v[76:77], v[36:37]
	v_mul_f64 v[34:35], v[22:23], v[118:119]
	v_mul_f64 v[36:37], v[20:21], v[118:119]
	v_fma_f64 v[34:35], v[20:21], v[116:117], -v[34:35]
	v_fmac_f64_e32 v[36:37], v[22:23], v[116:117]
	v_add_f64 v[54:55], v[16:17], v[34:35]
	v_add_f64 v[56:57], v[18:19], v[36:37]
	v_mul_f64 v[16:17], v[22:23], v[40:41]
	v_mul_f64 v[18:19], v[20:21], v[40:41]
	v_fma_f64 v[16:17], v[20:21], v[38:39], -v[16:17]
	v_fmac_f64_e32 v[18:19], v[22:23], v[38:39]
	v_add_f64 v[50:51], v[12:13], v[16:17]
	v_add_f64 v[52:53], v[14:15], v[18:19]
	v_mul_f64 v[12:13], v[22:23], v[32:33]
	v_mul_f64 v[14:15], v[20:21], v[32:33]
	v_fma_f64 v[12:13], v[20:21], v[30:31], -v[12:13]
	v_fmac_f64_e32 v[14:15], v[22:23], v[30:31]
	ds_read_b128 v[20:23], v104 offset:1024
	ds_read_b128 v[16:19], v104 offset:1280
	v_add_f64 v[46:47], v[10:11], v[12:13]
	v_add_f64 v[48:49], v[8:9], v[14:15]
	ds_read_b128 v[12:15], v104 offset:1536
	ds_read_b128 v[74:77], v105 offset:1040
	s_waitcnt lgkmcnt(3)
	v_mul_f64 v[8:9], v[110:111], v[22:23]
	v_mul_f64 v[10:11], v[108:109], v[22:23]
	v_fma_f64 v[8:9], v[108:109], v[20:21], -v[8:9]
	v_fmac_f64_e32 v[10:11], v[110:111], v[20:21]
	v_add_f64 v[42:43], v[120:121], v[8:9]
	v_add_f64 v[44:45], v[122:123], v[10:11]
	s_waitcnt lgkmcnt(2)
	v_mul_f64 v[8:9], v[110:111], v[18:19]
	v_mul_f64 v[10:11], v[108:109], v[18:19]
	v_fma_f64 v[8:9], v[108:109], v[16:17], -v[8:9]
	v_fmac_f64_e32 v[10:11], v[110:111], v[16:17]
	v_add_f64 v[38:39], v[124:125], v[8:9]
	v_add_f64 v[40:41], v[126:127], v[10:11]
	;; [unrolled: 7-line block ×3, first 2 shown]
	ds_read_b128 v[8:11], v104 offset:1792
	s_waitcnt lgkmcnt(1)
	v_mul_f64 v[62:63], v[76:77], v[22:23]
	v_fma_f64 v[62:63], v[74:75], v[20:21], -v[62:63]
	v_add_f64 v[62:63], v[64:65], v[62:63]
	s_waitcnt lgkmcnt(0)
	v_mul_f64 v[30:31], v[110:111], v[10:11]
	v_fma_f64 v[30:31], v[108:109], v[8:9], -v[30:31]
	v_mul_f64 v[32:33], v[108:109], v[10:11]
	v_mul_f64 v[108:109], v[74:75], v[22:23]
	v_fmac_f64_e32 v[108:109], v[76:77], v[20:21]
	v_add_f64 v[64:65], v[70:71], v[108:109]
	v_mul_f64 v[70:71], v[76:77], v[18:19]
	v_mul_f64 v[108:109], v[74:75], v[18:19]
	v_fma_f64 v[70:71], v[74:75], v[16:17], -v[70:71]
	v_fmac_f64_e32 v[108:109], v[76:77], v[16:17]
	v_add_f64 v[66:67], v[66:67], v[70:71]
	v_add_f64 v[68:69], v[68:69], v[108:109]
	v_mul_f64 v[70:71], v[76:77], v[14:15]
	v_mul_f64 v[108:109], v[74:75], v[14:15]
	v_fma_f64 v[70:71], v[74:75], v[12:13], -v[70:71]
	v_fmac_f64_e32 v[108:109], v[76:77], v[12:13]
	v_add_f64 v[70:71], v[72:73], v[70:71]
	v_add_f64 v[72:73], v[94:95], v[108:109]
	v_mul_f64 v[94:95], v[76:77], v[10:11]
	v_fma_f64 v[94:95], v[74:75], v[8:9], -v[94:95]
	v_mul_f64 v[108:109], v[74:75], v[10:11]
	v_add_f64 v[74:75], v[96:97], v[94:95]
	ds_read_b128 v[94:97], v105 offset:2064
	v_fmac_f64_e32 v[108:109], v[76:77], v[8:9]
	v_add_f64 v[76:77], v[98:99], v[108:109]
	v_fmac_f64_e32 v[32:33], v[110:111], v[8:9]
	v_add_f64 v[32:33], v[134:135], v[32:33]
	s_waitcnt lgkmcnt(0)
	v_mul_f64 v[98:99], v[96:97], v[22:23]
	v_mul_f64 v[108:109], v[94:95], v[22:23]
	v_fma_f64 v[98:99], v[94:95], v[20:21], -v[98:99]
	v_fmac_f64_e32 v[108:109], v[96:97], v[20:21]
	v_add_f64 v[78:79], v[78:79], v[98:99]
	v_add_f64 v[80:81], v[80:81], v[108:109]
	v_mul_f64 v[98:99], v[96:97], v[18:19]
	v_mul_f64 v[108:109], v[94:95], v[18:19]
	v_fma_f64 v[98:99], v[94:95], v[16:17], -v[98:99]
	v_fmac_f64_e32 v[108:109], v[96:97], v[16:17]
	v_add_f64 v[82:83], v[82:83], v[98:99]
	v_add_f64 v[84:85], v[84:85], v[108:109]
	;; [unrolled: 6-line block ×4, first 2 shown]
	ds_read_b128 v[90:93], v105 offset:3088
	v_add_f64 v[30:31], v[132:133], v[30:31]
	s_waitcnt lgkmcnt(0)
	v_mul_f64 v[98:99], v[92:93], v[22:23]
	v_mul_f64 v[22:23], v[90:91], v[22:23]
	v_fma_f64 v[98:99], v[90:91], v[20:21], -v[98:99]
	v_fmac_f64_e32 v[22:23], v[92:93], v[20:21]
	v_mul_f64 v[20:21], v[92:93], v[18:19]
	v_mul_f64 v[18:19], v[90:91], v[18:19]
	v_fma_f64 v[20:21], v[90:91], v[16:17], -v[20:21]
	v_fmac_f64_e32 v[18:19], v[92:93], v[16:17]
	;; [unrolled: 4-line block ×3, first 2 shown]
	v_mul_f64 v[12:13], v[92:93], v[10:11]
	v_mul_f64 v[10:11], v[90:91], v[10:11]
	v_fmac_f64_e32 v[10:11], v[92:93], v[8:9]
	v_fma_f64 v[12:13], v[90:91], v[8:9], -v[12:13]
	v_add_f64 v[118:119], v[48:49], v[10:11]
	ds_read_b128 v[8:11], v104 offset:2048
	v_add_f64 v[114:115], v[52:53], v[14:15]
	v_add_f64 v[116:117], v[46:47], v[12:13]
	;; [unrolled: 1-line block ×4, first 2 shown]
	s_waitcnt lgkmcnt(0)
	v_mul_f64 v[12:13], v[6:7], v[10:11]
	v_mul_f64 v[14:15], v[4:5], v[10:11]
	v_fma_f64 v[12:13], v[4:5], v[8:9], -v[12:13]
	v_fmac_f64_e32 v[14:15], v[6:7], v[8:9]
	v_add_f64 v[120:121], v[42:43], v[12:13]
	v_add_f64 v[122:123], v[44:45], v[14:15]
	ds_read_b128 v[12:15], v104 offset:2304
	v_add_f64 v[60:61], v[60:61], v[22:23]
	v_add_f64 v[108:109], v[54:55], v[20:21]
	;; [unrolled: 1-line block ×3, first 2 shown]
	s_waitcnt lgkmcnt(0)
	v_mul_f64 v[16:17], v[6:7], v[14:15]
	v_mul_f64 v[18:19], v[4:5], v[14:15]
	v_fma_f64 v[16:17], v[4:5], v[12:13], -v[16:17]
	v_fmac_f64_e32 v[18:19], v[6:7], v[12:13]
	v_add_f64 v[38:39], v[38:39], v[16:17]
	v_add_f64 v[40:41], v[40:41], v[18:19]
	ds_read_b128 v[16:19], v104 offset:2560
	s_waitcnt lgkmcnt(0)
	v_mul_f64 v[20:21], v[6:7], v[18:19]
	v_mul_f64 v[22:23], v[4:5], v[18:19]
	v_fma_f64 v[20:21], v[4:5], v[16:17], -v[20:21]
	v_fmac_f64_e32 v[22:23], v[6:7], v[16:17]
	v_add_f64 v[124:125], v[34:35], v[20:21]
	v_add_f64 v[126:127], v[36:37], v[22:23]
	ds_read_b128 v[20:23], v104 offset:2816
	s_waitcnt lgkmcnt(0)
	v_mul_f64 v[34:35], v[6:7], v[22:23]
	v_fma_f64 v[34:35], v[4:5], v[20:21], -v[34:35]
	v_mul_f64 v[4:5], v[4:5], v[22:23]
	v_fmac_f64_e32 v[4:5], v[6:7], v[20:21]
	v_add_f64 v[130:131], v[32:33], v[4:5]
	ds_read_b128 v[4:7], v105 offset:1056
	v_add_f64 v[128:129], v[30:31], v[34:35]
	s_waitcnt lgkmcnt(0)
	v_mul_f64 v[30:31], v[6:7], v[10:11]
	v_fma_f64 v[30:31], v[4:5], v[8:9], -v[30:31]
	v_add_f64 v[46:47], v[62:63], v[30:31]
	v_mul_f64 v[30:31], v[6:7], v[14:15]
	v_mul_f64 v[32:33], v[4:5], v[10:11]
	v_fma_f64 v[30:31], v[4:5], v[12:13], -v[30:31]
	v_fmac_f64_e32 v[32:33], v[6:7], v[8:9]
	v_add_f64 v[50:51], v[66:67], v[30:31]
	v_mul_f64 v[30:31], v[6:7], v[18:19]
	v_add_f64 v[48:49], v[64:65], v[32:33]
	v_mul_f64 v[32:33], v[4:5], v[14:15]
	v_fma_f64 v[30:31], v[4:5], v[16:17], -v[30:31]
	v_fmac_f64_e32 v[32:33], v[6:7], v[12:13]
	v_add_f64 v[54:55], v[70:71], v[30:31]
	v_mul_f64 v[30:31], v[6:7], v[22:23]
	v_add_f64 v[52:53], v[68:69], v[32:33]
	v_mul_f64 v[32:33], v[4:5], v[18:19]
	v_fma_f64 v[30:31], v[4:5], v[20:21], -v[30:31]
	v_mul_f64 v[4:5], v[4:5], v[22:23]
	v_fmac_f64_e32 v[4:5], v[6:7], v[20:21]
	v_fmac_f64_e32 v[32:33], v[6:7], v[16:17]
	v_add_f64 v[62:63], v[76:77], v[4:5]
	ds_read_b128 v[4:7], v105 offset:2080
	v_add_f64 v[58:59], v[74:75], v[30:31]
	v_add_f64 v[56:57], v[72:73], v[32:33]
	s_waitcnt lgkmcnt(0)
	v_mul_f64 v[30:31], v[6:7], v[10:11]
	v_fma_f64 v[30:31], v[4:5], v[8:9], -v[30:31]
	v_add_f64 v[34:35], v[78:79], v[30:31]
	v_mul_f64 v[30:31], v[6:7], v[14:15]
	v_mul_f64 v[32:33], v[4:5], v[10:11]
	v_fma_f64 v[30:31], v[4:5], v[12:13], -v[30:31]
	v_fmac_f64_e32 v[32:33], v[6:7], v[8:9]
	v_add_f64 v[42:43], v[82:83], v[30:31]
	v_mul_f64 v[30:31], v[6:7], v[18:19]
	v_add_f64 v[36:37], v[80:81], v[32:33]
	v_mul_f64 v[32:33], v[4:5], v[14:15]
	v_fma_f64 v[30:31], v[4:5], v[16:17], -v[30:31]
	v_fmac_f64_e32 v[32:33], v[6:7], v[12:13]
	v_add_f64 v[90:91], v[86:87], v[30:31]
	v_mul_f64 v[30:31], v[6:7], v[22:23]
	v_add_f64 v[44:45], v[84:85], v[32:33]
	v_mul_f64 v[32:33], v[4:5], v[18:19]
	v_fma_f64 v[30:31], v[4:5], v[20:21], -v[30:31]
	v_mul_f64 v[4:5], v[4:5], v[22:23]
	v_fmac_f64_e32 v[4:5], v[6:7], v[20:21]
	v_fmac_f64_e32 v[32:33], v[6:7], v[16:17]
	v_add_f64 v[96:97], v[96:97], v[4:5]
	ds_read_b128 v[4:7], v105 offset:3104
	v_add_f64 v[94:95], v[94:95], v[30:31]
	v_add_f64 v[92:93], v[88:89], v[32:33]
	s_waitcnt lgkmcnt(0)
	v_mul_f64 v[30:31], v[6:7], v[10:11]
	v_mul_f64 v[10:11], v[4:5], v[10:11]
	v_fmac_f64_e32 v[10:11], v[6:7], v[8:9]
	v_fma_f64 v[30:31], v[4:5], v[8:9], -v[30:31]
	v_add_f64 v[76:77], v[60:61], v[10:11]
	v_mul_f64 v[8:9], v[6:7], v[14:15]
	v_mul_f64 v[10:11], v[4:5], v[14:15]
	v_fma_f64 v[8:9], v[4:5], v[12:13], -v[8:9]
	v_fmac_f64_e32 v[10:11], v[6:7], v[12:13]
	v_add_f64 v[86:87], v[108:109], v[8:9]
	v_add_f64 v[88:89], v[110:111], v[10:11]
	v_mul_f64 v[8:9], v[6:7], v[18:19]
	v_mul_f64 v[10:11], v[4:5], v[18:19]
	v_fma_f64 v[8:9], v[4:5], v[16:17], -v[8:9]
	v_fmac_f64_e32 v[10:11], v[6:7], v[16:17]
	ds_read_b128 v[16:19], v104 offset:3072
	ds_read_b128 v[12:15], v104 offset:3328
	v_add_f64 v[82:83], v[112:113], v[8:9]
	v_mul_f64 v[8:9], v[6:7], v[22:23]
	v_fma_f64 v[8:9], v[4:5], v[20:21], -v[8:9]
	v_mul_f64 v[4:5], v[4:5], v[22:23]
	v_add_f64 v[84:85], v[114:115], v[10:11]
	v_fmac_f64_e32 v[4:5], v[6:7], v[20:21]
	v_add_f64 v[78:79], v[116:117], v[8:9]
	ds_read_b128 v[8:11], v104 offset:3584
	v_add_f64 v[80:81], v[118:119], v[4:5]
	s_waitcnt lgkmcnt(2)
	v_mul_f64 v[4:5], v[2:3], v[18:19]
	v_mul_f64 v[6:7], v[0:1], v[18:19]
	v_fma_f64 v[4:5], v[0:1], v[16:17], -v[4:5]
	v_fmac_f64_e32 v[6:7], v[2:3], v[16:17]
	v_add_f64 v[60:61], v[120:121], v[4:5]
	v_add_f64 v[64:65], v[122:123], v[6:7]
	s_waitcnt lgkmcnt(1)
	v_mul_f64 v[4:5], v[2:3], v[14:15]
	v_mul_f64 v[6:7], v[0:1], v[14:15]
	v_fma_f64 v[4:5], v[0:1], v[12:13], -v[4:5]
	v_fmac_f64_e32 v[6:7], v[2:3], v[12:13]
	v_add_f64 v[38:39], v[38:39], v[4:5]
	;; [unrolled: 7-line block ×3, first 2 shown]
	v_add_f64 v[30:31], v[124:125], v[4:5]
	v_add_f64 v[32:33], v[126:127], v[6:7]
	ds_read_b128 v[4:7], v104 offset:3840
	s_waitcnt lgkmcnt(0)
	v_mul_f64 v[20:21], v[2:3], v[6:7]
	v_fma_f64 v[20:21], v[0:1], v[4:5], -v[20:21]
	v_mul_f64 v[0:1], v[0:1], v[6:7]
	v_fmac_f64_e32 v[0:1], v[2:3], v[4:5]
	v_add_f64 v[22:23], v[130:131], v[0:1]
	ds_read_b128 v[0:3], v105 offset:1072
	v_add_f64 v[20:21], v[128:129], v[20:21]
	s_waitcnt lgkmcnt(0)
	v_mul_f64 v[66:67], v[2:3], v[18:19]
	v_fma_f64 v[66:67], v[0:1], v[16:17], -v[66:67]
	v_add_f64 v[70:71], v[46:47], v[66:67]
	v_mul_f64 v[46:47], v[2:3], v[14:15]
	v_mul_f64 v[68:69], v[0:1], v[18:19]
	v_fma_f64 v[46:47], v[0:1], v[12:13], -v[46:47]
	v_fmac_f64_e32 v[68:69], v[2:3], v[16:17]
	v_add_f64 v[66:67], v[50:51], v[46:47]
	v_mul_f64 v[46:47], v[2:3], v[10:11]
	v_add_f64 v[72:73], v[48:49], v[68:69]
	v_mul_f64 v[48:49], v[0:1], v[14:15]
	v_fma_f64 v[46:47], v[0:1], v[8:9], -v[46:47]
	v_fmac_f64_e32 v[48:49], v[2:3], v[12:13]
	v_add_f64 v[54:55], v[54:55], v[46:47]
	v_mul_f64 v[46:47], v[2:3], v[6:7]
	v_add_f64 v[68:69], v[52:53], v[48:49]
	v_mul_f64 v[48:49], v[0:1], v[10:11]
	v_fma_f64 v[46:47], v[0:1], v[4:5], -v[46:47]
	v_mul_f64 v[0:1], v[0:1], v[6:7]
	v_fmac_f64_e32 v[48:49], v[2:3], v[8:9]
	v_fmac_f64_e32 v[0:1], v[2:3], v[4:5]
	v_add_f64 v[56:57], v[56:57], v[48:49]
	v_add_f64 v[48:49], v[62:63], v[0:1]
	ds_read_b128 v[0:3], v105 offset:2096
	v_add_f64 v[46:47], v[58:59], v[46:47]
	s_waitcnt lgkmcnt(0)
	v_mul_f64 v[50:51], v[2:3], v[18:19]
	v_fma_f64 v[50:51], v[0:1], v[16:17], -v[50:51]
	v_add_f64 v[58:59], v[34:35], v[50:51]
	v_mul_f64 v[34:35], v[2:3], v[14:15]
	v_mul_f64 v[52:53], v[0:1], v[18:19]
	v_fma_f64 v[34:35], v[0:1], v[12:13], -v[34:35]
	v_fmac_f64_e32 v[52:53], v[2:3], v[16:17]
	v_add_f64 v[50:51], v[42:43], v[34:35]
	v_mul_f64 v[34:35], v[2:3], v[10:11]
	v_add_f64 v[62:63], v[36:37], v[52:53]
	v_mul_f64 v[36:37], v[0:1], v[14:15]
	v_fma_f64 v[34:35], v[0:1], v[8:9], -v[34:35]
	v_fmac_f64_e32 v[36:37], v[2:3], v[12:13]
	v_add_f64 v[42:43], v[90:91], v[34:35]
	v_mul_f64 v[34:35], v[2:3], v[6:7]
	v_add_f64 v[52:53], v[44:45], v[36:37]
	v_mul_f64 v[36:37], v[0:1], v[10:11]
	v_fma_f64 v[34:35], v[0:1], v[4:5], -v[34:35]
	v_mul_f64 v[0:1], v[0:1], v[6:7]
	v_fmac_f64_e32 v[36:37], v[2:3], v[8:9]
	v_fmac_f64_e32 v[0:1], v[2:3], v[4:5]
	v_add_f64 v[44:45], v[92:93], v[36:37]
	v_add_f64 v[36:37], v[96:97], v[0:1]
	ds_read_b128 v[0:3], v105 offset:3120
	v_add_f64 v[34:35], v[94:95], v[34:35]
	s_waitcnt lgkmcnt(0)
	s_barrier
	v_mul_f64 v[90:91], v[2:3], v[18:19]
	v_mul_f64 v[18:19], v[0:1], v[18:19]
	v_fma_f64 v[90:91], v[0:1], v[16:17], -v[90:91]
	v_fmac_f64_e32 v[18:19], v[2:3], v[16:17]
	v_mul_f64 v[16:17], v[2:3], v[14:15]
	v_mul_f64 v[14:15], v[0:1], v[14:15]
	v_fma_f64 v[16:17], v[0:1], v[12:13], -v[16:17]
	v_fmac_f64_e32 v[14:15], v[2:3], v[12:13]
	v_mul_f64 v[12:13], v[2:3], v[10:11]
	v_mul_f64 v[10:11], v[0:1], v[10:11]
	v_fma_f64 v[12:13], v[0:1], v[8:9], -v[12:13]
	v_fmac_f64_e32 v[10:11], v[2:3], v[8:9]
	v_mul_f64 v[8:9], v[2:3], v[6:7]
	v_fma_f64 v[8:9], v[0:1], v[4:5], -v[8:9]
	v_mul_f64 v[0:1], v[0:1], v[6:7]
	v_fmac_f64_e32 v[0:1], v[2:3], v[4:5]
	v_add_f64 v[74:75], v[74:75], v[90:91]
	v_add_f64 v[76:77], v[76:77], v[18:19]
	;; [unrolled: 1-line block ×8, first 2 shown]
	s_cbranch_vccnz .LBB125_2
	s_branch .LBB125_4
.LBB125_3:
	v_pk_mov_b32 v[60:61], 0, 0
	v_pk_mov_b32 v[64:65], 0, 0
	;; [unrolled: 1-line block ×32, first 2 shown]
.LBB125_4:
	s_load_dwordx2 s[4:5], s[4:5], 0x90
	v_mov_b32_e32 v0, s3
	v_add_co_u32_e32 v6, vcc, s2, v101
	v_addc_co_u32_e32 v7, vcc, 0, v0, vcc
	s_waitcnt lgkmcnt(0)
	s_mul_i32 s3, s8, s5
	s_mul_hi_u32 s5, s8, s4
	s_mul_i32 s4, s8, s4
	s_add_i32 s5, s5, s3
	s_lshl_b64 s[4:5], s[4:5], 4
	s_add_u32 s4, s24, s4
	v_cmp_neq_f64_e64 s[6:7], s[14:15], 0
	v_cmp_neq_f64_e64 s[10:11], s[16:17], 0
	v_mov_b32_e32 v1, s1
	v_add_co_u32_e32 v0, vcc, s0, v100
	s_addc_u32 s5, s25, s5
	s_or_b64 s[6:7], s[6:7], s[10:11]
	v_addc_co_u32_e32 v1, vcc, 0, v1, vcc
	s_mov_b64 s[2:3], 0
	s_and_b64 vcc, exec, s[6:7]
	s_cbranch_vccnz .LBB125_6
; %bb.5:
	v_mul_lo_u32 v4, v7, s26
	v_mul_lo_u32 v5, v6, s27
	v_mad_u64_u32 v[2:3], s[0:1], v6, s26, 0
	v_add3_u32 v3, v3, v5, v4
	v_lshlrev_b64 v[2:3], 4, v[2:3]
	v_mov_b32_e32 v4, s5
	v_add_co_u32_e32 v26, vcc, s4, v2
	v_addc_co_u32_e32 v27, vcc, v4, v3, vcc
	v_lshlrev_b64 v[24:25], 4, v[0:1]
	v_mul_f64 v[2:3], s[40:41], v[64:65]
	v_mul_f64 v[4:5], s[38:39], v[64:65]
	v_add_co_u32_e32 v24, vcc, v26, v24
	v_fma_f64 v[2:3], s[38:39], v[60:61], -v[2:3]
	v_fmac_f64_e32 v[4:5], s[40:41], v[60:61]
	v_addc_co_u32_e32 v25, vcc, v27, v25, vcc
	global_store_dwordx4 v[24:25], v[2:5], off
	s_lshl_b64 s[0:1], s[26:27], 8
	v_mul_f64 v[2:3], s[40:41], v[40:41]
	v_mul_f64 v[4:5], s[38:39], v[40:41]
	v_fma_f64 v[2:3], s[38:39], v[38:39], -v[2:3]
	v_fmac_f64_e32 v[4:5], s[40:41], v[38:39]
	global_store_dwordx4 v[24:25], v[2:5], off offset:256
	v_mov_b32_e32 v26, s1
	v_mul_f64 v[2:3], s[40:41], v[32:33]
	v_mul_f64 v[4:5], s[38:39], v[32:33]
	v_fma_f64 v[2:3], s[38:39], v[30:31], -v[2:3]
	v_fmac_f64_e32 v[4:5], s[40:41], v[30:31]
	global_store_dwordx4 v[24:25], v[2:5], off offset:512
	s_nop 0
	v_mul_f64 v[2:3], s[40:41], v[22:23]
	v_mul_f64 v[4:5], s[38:39], v[22:23]
	v_fma_f64 v[2:3], s[38:39], v[20:21], -v[2:3]
	v_fmac_f64_e32 v[4:5], s[40:41], v[20:21]
	global_store_dwordx4 v[24:25], v[2:5], off offset:768
	v_add_co_u32_e32 v24, vcc, s0, v24
	v_mul_f64 v[2:3], s[40:41], v[72:73]
	v_mul_f64 v[4:5], s[38:39], v[72:73]
	v_fma_f64 v[2:3], s[38:39], v[70:71], -v[2:3]
	v_fmac_f64_e32 v[4:5], s[40:41], v[70:71]
	v_addc_co_u32_e32 v25, vcc, v25, v26, vcc
	global_store_dwordx4 v[24:25], v[2:5], off
	s_nop 0
	v_mul_f64 v[2:3], s[40:41], v[68:69]
	v_mul_f64 v[4:5], s[38:39], v[68:69]
	v_fma_f64 v[2:3], s[38:39], v[66:67], -v[2:3]
	v_fmac_f64_e32 v[4:5], s[40:41], v[66:67]
	global_store_dwordx4 v[24:25], v[2:5], off offset:256
	s_nop 0
	v_mul_f64 v[2:3], s[40:41], v[56:57]
	v_mul_f64 v[4:5], s[38:39], v[56:57]
	v_fma_f64 v[2:3], s[38:39], v[54:55], -v[2:3]
	v_fmac_f64_e32 v[4:5], s[40:41], v[54:55]
	global_store_dwordx4 v[24:25], v[2:5], off offset:512
	s_nop 0
	v_mul_f64 v[2:3], s[40:41], v[48:49]
	v_mul_f64 v[4:5], s[38:39], v[48:49]
	v_fma_f64 v[2:3], s[38:39], v[46:47], -v[2:3]
	v_fmac_f64_e32 v[4:5], s[40:41], v[46:47]
	global_store_dwordx4 v[24:25], v[2:5], off offset:768
	v_add_co_u32_e32 v24, vcc, s0, v24
	v_mul_f64 v[2:3], s[40:41], v[62:63]
	v_mul_f64 v[4:5], s[38:39], v[62:63]
	v_fma_f64 v[2:3], s[38:39], v[58:59], -v[2:3]
	v_fmac_f64_e32 v[4:5], s[40:41], v[58:59]
	v_addc_co_u32_e32 v25, vcc, v25, v26, vcc
	global_store_dwordx4 v[24:25], v[2:5], off
	s_nop 0
	v_mul_f64 v[2:3], s[40:41], v[52:53]
	v_mul_f64 v[4:5], s[38:39], v[52:53]
	v_fma_f64 v[2:3], s[38:39], v[50:51], -v[2:3]
	v_fmac_f64_e32 v[4:5], s[40:41], v[50:51]
	global_store_dwordx4 v[24:25], v[2:5], off offset:256
	s_nop 0
	;; [unrolled: 25-line block ×3, first 2 shown]
	v_mul_f64 v[2:3], s[40:41], v[14:15]
	v_mul_f64 v[4:5], s[38:39], v[14:15]
	v_fma_f64 v[2:3], s[38:39], v[12:13], -v[2:3]
	v_fmac_f64_e32 v[4:5], s[40:41], v[12:13]
	global_store_dwordx4 v[24:25], v[2:5], off offset:512
	s_nop 0
	v_mul_f64 v[2:3], s[40:41], v[8:9]
	v_fma_f64 v[26:27], s[38:39], v[10:11], -v[2:3]
	v_mul_f64 v[4:5], s[38:39], v[8:9]
	v_add_co_u32_e32 v2, vcc, 0x300, v24
	v_fmac_f64_e32 v[4:5], s[40:41], v[10:11]
	v_addc_co_u32_e32 v3, vcc, 0, v25, vcc
	global_store_dwordx2 v[24:25], v[26:27], off offset:768
	s_andn2_b64 vcc, exec, s[2:3]
	s_cbranch_vccz .LBB125_7
	s_branch .LBB125_8
.LBB125_6:
                                        ; implicit-def: $vgpr4_vgpr5
                                        ; implicit-def: $vgpr2_vgpr3
.LBB125_7:
	s_mul_i32 s0, s8, s23
	s_mul_hi_u32 s1, s8, s22
	s_add_i32 s1, s1, s0
	s_mul_i32 s0, s8, s22
	s_lshl_b64 s[0:1], s[0:1], 4
	s_add_u32 s2, s18, s0
	s_addc_u32 s3, s19, s1
	v_mul_lo_u32 v4, v7, s20
	v_mul_lo_u32 v5, v6, s21
	v_mad_u64_u32 v[2:3], s[0:1], v6, s20, 0
	v_add3_u32 v3, v3, v5, v4
	v_lshlrev_b64 v[2:3], 4, v[2:3]
	v_mov_b32_e32 v4, s3
	v_add_co_u32_e32 v2, vcc, s2, v2
	v_addc_co_u32_e32 v3, vcc, v4, v3, vcc
	v_lshlrev_b64 v[4:5], 4, v[0:1]
	v_add_co_u32_e32 v24, vcc, v2, v4
	v_addc_co_u32_e32 v25, vcc, v3, v5, vcc
	global_load_dwordx4 v[0:3], v[24:25], off
	v_mul_lo_u32 v78, v7, s26
	v_mul_lo_u32 v79, v6, s27
	v_mad_u64_u32 v[6:7], s[0:1], v6, s26, 0
	v_add3_u32 v7, v7, v79, v78
	v_lshlrev_b64 v[6:7], 4, v[6:7]
	v_mov_b32_e32 v80, s5
	v_add_co_u32_e32 v6, vcc, s4, v6
	v_addc_co_u32_e32 v7, vcc, v80, v7, vcc
	v_add_co_u32_e32 v4, vcc, v6, v4
	v_mul_f64 v[26:27], s[40:41], v[64:65]
	v_mul_f64 v[28:29], s[38:39], v[64:65]
	v_addc_co_u32_e32 v5, vcc, v7, v5, vcc
	v_fma_f64 v[26:27], s[38:39], v[60:61], -v[26:27]
	v_fmac_f64_e32 v[28:29], s[40:41], v[60:61]
	s_lshl_b64 s[0:1], s[20:21], 8
	s_lshl_b64 s[2:3], s[26:27], 8
	s_waitcnt vmcnt(0)
	v_mul_f64 v[6:7], s[16:17], v[2:3]
	v_mul_f64 v[2:3], s[14:15], v[2:3]
	v_fma_f64 v[6:7], s[14:15], v[0:1], -v[6:7]
	v_fmac_f64_e32 v[2:3], s[16:17], v[0:1]
	v_add_f64 v[0:1], v[26:27], v[6:7]
	v_add_f64 v[2:3], v[28:29], v[2:3]
	global_store_dwordx4 v[4:5], v[0:3], off
	global_load_dwordx4 v[0:3], v[24:25], off offset:256
	v_mul_f64 v[6:7], s[40:41], v[40:41]
	v_mul_f64 v[26:27], s[38:39], v[40:41]
	v_fma_f64 v[6:7], s[38:39], v[38:39], -v[6:7]
	v_fmac_f64_e32 v[26:27], s[40:41], v[38:39]
	s_waitcnt vmcnt(0)
	v_mul_f64 v[28:29], s[16:17], v[2:3]
	v_mul_f64 v[2:3], s[14:15], v[2:3]
	v_fma_f64 v[28:29], s[14:15], v[0:1], -v[28:29]
	v_fmac_f64_e32 v[2:3], s[16:17], v[0:1]
	v_add_f64 v[0:1], v[6:7], v[28:29]
	v_add_f64 v[2:3], v[26:27], v[2:3]
	global_store_dwordx4 v[4:5], v[0:3], off offset:256
	global_load_dwordx4 v[0:3], v[24:25], off offset:512
	v_mul_f64 v[6:7], s[40:41], v[32:33]
	v_mul_f64 v[26:27], s[38:39], v[32:33]
	v_fma_f64 v[6:7], s[38:39], v[30:31], -v[6:7]
	v_fmac_f64_e32 v[26:27], s[40:41], v[30:31]
	s_waitcnt vmcnt(0)
	v_mul_f64 v[28:29], s[16:17], v[2:3]
	v_mul_f64 v[2:3], s[14:15], v[2:3]
	v_fma_f64 v[28:29], s[14:15], v[0:1], -v[28:29]
	v_fmac_f64_e32 v[2:3], s[16:17], v[0:1]
	v_add_f64 v[0:1], v[6:7], v[28:29]
	v_add_f64 v[2:3], v[26:27], v[2:3]
	global_store_dwordx4 v[4:5], v[0:3], off offset:512
	global_load_dwordx4 v[0:3], v[24:25], off offset:768
	v_mul_f64 v[6:7], s[40:41], v[22:23]
	v_mul_f64 v[22:23], s[38:39], v[22:23]
	v_fma_f64 v[6:7], s[38:39], v[20:21], -v[6:7]
	v_fmac_f64_e32 v[22:23], s[40:41], v[20:21]
	v_mov_b32_e32 v26, s1
	v_add_co_u32_e32 v20, vcc, s0, v24
	v_addc_co_u32_e32 v21, vcc, v25, v26, vcc
	v_mov_b32_e32 v27, s3
	s_waitcnt vmcnt(0)
	v_mul_f64 v[24:25], s[16:17], v[2:3]
	v_mul_f64 v[2:3], s[14:15], v[2:3]
	v_fma_f64 v[24:25], s[14:15], v[0:1], -v[24:25]
	v_fmac_f64_e32 v[2:3], s[16:17], v[0:1]
	v_add_f64 v[0:1], v[6:7], v[24:25]
	v_add_f64 v[2:3], v[22:23], v[2:3]
	global_store_dwordx4 v[4:5], v[0:3], off offset:768
	global_load_dwordx4 v[0:3], v[20:21], off
	v_mul_f64 v[6:7], s[40:41], v[72:73]
	v_mul_f64 v[22:23], s[38:39], v[72:73]
	v_fma_f64 v[6:7], s[38:39], v[70:71], -v[6:7]
	v_fmac_f64_e32 v[22:23], s[40:41], v[70:71]
	v_add_co_u32_e32 v4, vcc, s2, v4
	v_addc_co_u32_e32 v5, vcc, v5, v27, vcc
	s_waitcnt vmcnt(0)
	v_mul_f64 v[24:25], s[16:17], v[2:3]
	v_mul_f64 v[2:3], s[14:15], v[2:3]
	v_fma_f64 v[24:25], s[14:15], v[0:1], -v[24:25]
	v_fmac_f64_e32 v[2:3], s[16:17], v[0:1]
	v_add_f64 v[0:1], v[6:7], v[24:25]
	v_add_f64 v[2:3], v[22:23], v[2:3]
	global_store_dwordx4 v[4:5], v[0:3], off
	global_load_dwordx4 v[0:3], v[20:21], off offset:256
	v_mul_f64 v[6:7], s[40:41], v[68:69]
	v_mul_f64 v[22:23], s[38:39], v[68:69]
	v_fma_f64 v[6:7], s[38:39], v[66:67], -v[6:7]
	v_fmac_f64_e32 v[22:23], s[40:41], v[66:67]
	s_waitcnt vmcnt(0)
	v_mul_f64 v[24:25], s[16:17], v[2:3]
	v_mul_f64 v[2:3], s[14:15], v[2:3]
	v_fma_f64 v[24:25], s[14:15], v[0:1], -v[24:25]
	v_fmac_f64_e32 v[2:3], s[16:17], v[0:1]
	v_add_f64 v[0:1], v[6:7], v[24:25]
	v_add_f64 v[2:3], v[22:23], v[2:3]
	global_store_dwordx4 v[4:5], v[0:3], off offset:256
	global_load_dwordx4 v[0:3], v[20:21], off offset:512
	v_mul_f64 v[6:7], s[40:41], v[56:57]
	v_mul_f64 v[22:23], s[38:39], v[56:57]
	v_fma_f64 v[6:7], s[38:39], v[54:55], -v[6:7]
	v_fmac_f64_e32 v[22:23], s[40:41], v[54:55]
	s_waitcnt vmcnt(0)
	v_mul_f64 v[24:25], s[16:17], v[2:3]
	v_mul_f64 v[2:3], s[14:15], v[2:3]
	v_fma_f64 v[24:25], s[14:15], v[0:1], -v[24:25]
	v_fmac_f64_e32 v[2:3], s[16:17], v[0:1]
	v_add_f64 v[0:1], v[6:7], v[24:25]
	v_add_f64 v[2:3], v[22:23], v[2:3]
	global_store_dwordx4 v[4:5], v[0:3], off offset:512
	global_load_dwordx4 v[0:3], v[20:21], off offset:768
	v_mul_f64 v[6:7], s[40:41], v[48:49]
	v_mul_f64 v[22:23], s[38:39], v[48:49]
	v_fma_f64 v[6:7], s[38:39], v[46:47], -v[6:7]
	v_fmac_f64_e32 v[22:23], s[40:41], v[46:47]
	v_add_co_u32_e32 v20, vcc, s0, v20
	v_addc_co_u32_e32 v21, vcc, v21, v26, vcc
	s_waitcnt vmcnt(0)
	v_mul_f64 v[24:25], s[16:17], v[2:3]
	v_mul_f64 v[2:3], s[14:15], v[2:3]
	v_fma_f64 v[24:25], s[14:15], v[0:1], -v[24:25]
	v_fmac_f64_e32 v[2:3], s[16:17], v[0:1]
	v_add_f64 v[0:1], v[6:7], v[24:25]
	v_add_f64 v[2:3], v[22:23], v[2:3]
	global_store_dwordx4 v[4:5], v[0:3], off offset:768
	global_load_dwordx4 v[0:3], v[20:21], off
	v_mul_f64 v[6:7], s[40:41], v[62:63]
	v_mul_f64 v[22:23], s[38:39], v[62:63]
	v_fma_f64 v[6:7], s[38:39], v[58:59], -v[6:7]
	v_fmac_f64_e32 v[22:23], s[40:41], v[58:59]
	v_add_co_u32_e32 v4, vcc, s2, v4
	v_addc_co_u32_e32 v5, vcc, v5, v27, vcc
	s_waitcnt vmcnt(0)
	v_mul_f64 v[24:25], s[16:17], v[2:3]
	v_mul_f64 v[2:3], s[14:15], v[2:3]
	v_fma_f64 v[24:25], s[14:15], v[0:1], -v[24:25]
	v_fmac_f64_e32 v[2:3], s[16:17], v[0:1]
	v_add_f64 v[0:1], v[6:7], v[24:25]
	v_add_f64 v[2:3], v[22:23], v[2:3]
	global_store_dwordx4 v[4:5], v[0:3], off
	global_load_dwordx4 v[0:3], v[20:21], off offset:256
	v_mul_f64 v[6:7], s[40:41], v[52:53]
	v_mul_f64 v[22:23], s[38:39], v[52:53]
	v_fma_f64 v[6:7], s[38:39], v[50:51], -v[6:7]
	v_fmac_f64_e32 v[22:23], s[40:41], v[50:51]
	s_waitcnt vmcnt(0)
	v_mul_f64 v[24:25], s[16:17], v[2:3]
	v_mul_f64 v[2:3], s[14:15], v[2:3]
	v_fma_f64 v[24:25], s[14:15], v[0:1], -v[24:25]
	v_fmac_f64_e32 v[2:3], s[16:17], v[0:1]
	v_add_f64 v[0:1], v[6:7], v[24:25]
	v_add_f64 v[2:3], v[22:23], v[2:3]
	global_store_dwordx4 v[4:5], v[0:3], off offset:256
	global_load_dwordx4 v[0:3], v[20:21], off offset:512
	v_mul_f64 v[6:7], s[40:41], v[44:45]
	v_mul_f64 v[22:23], s[38:39], v[44:45]
	v_fma_f64 v[6:7], s[38:39], v[42:43], -v[6:7]
	v_fmac_f64_e32 v[22:23], s[40:41], v[42:43]
	s_waitcnt vmcnt(0)
	v_mul_f64 v[24:25], s[16:17], v[2:3]
	v_mul_f64 v[2:3], s[14:15], v[2:3]
	v_fma_f64 v[24:25], s[14:15], v[0:1], -v[24:25]
	v_fmac_f64_e32 v[2:3], s[16:17], v[0:1]
	v_add_f64 v[0:1], v[6:7], v[24:25]
	v_add_f64 v[2:3], v[22:23], v[2:3]
	global_store_dwordx4 v[4:5], v[0:3], off offset:512
	global_load_dwordx4 v[0:3], v[20:21], off offset:768
	v_mul_f64 v[6:7], s[40:41], v[36:37]
	v_mul_f64 v[22:23], s[38:39], v[36:37]
	v_fma_f64 v[6:7], s[38:39], v[34:35], -v[6:7]
	v_fmac_f64_e32 v[22:23], s[40:41], v[34:35]
	v_add_co_u32_e32 v20, vcc, s0, v20
	v_addc_co_u32_e32 v21, vcc, v21, v26, vcc
	s_waitcnt vmcnt(0)
	v_mul_f64 v[24:25], s[16:17], v[2:3]
	v_mul_f64 v[2:3], s[14:15], v[2:3]
	v_fma_f64 v[24:25], s[14:15], v[0:1], -v[24:25]
	v_fmac_f64_e32 v[2:3], s[16:17], v[0:1]
	v_add_f64 v[0:1], v[6:7], v[24:25]
	v_add_f64 v[2:3], v[22:23], v[2:3]
	global_store_dwordx4 v[4:5], v[0:3], off offset:768
	global_load_dwordx4 v[0:3], v[20:21], off
	v_add_co_u32_e32 v24, vcc, s2, v4
	v_mul_f64 v[6:7], s[40:41], v[76:77]
	v_mul_f64 v[22:23], s[38:39], v[76:77]
	v_addc_co_u32_e32 v25, vcc, v5, v27, vcc
	v_fma_f64 v[6:7], s[38:39], v[74:75], -v[6:7]
	v_fmac_f64_e32 v[22:23], s[40:41], v[74:75]
	s_waitcnt vmcnt(0)
	v_mul_f64 v[4:5], s[16:17], v[2:3]
	v_mul_f64 v[2:3], s[14:15], v[2:3]
	v_fma_f64 v[4:5], s[14:15], v[0:1], -v[4:5]
	v_fmac_f64_e32 v[2:3], s[16:17], v[0:1]
	v_add_f64 v[0:1], v[6:7], v[4:5]
	v_add_f64 v[2:3], v[22:23], v[2:3]
	global_store_dwordx4 v[24:25], v[0:3], off
	global_load_dwordx4 v[0:3], v[20:21], off offset:256
	v_mul_f64 v[4:5], s[40:41], v[18:19]
	v_mul_f64 v[6:7], s[38:39], v[18:19]
	v_fma_f64 v[4:5], s[38:39], v[16:17], -v[4:5]
	v_fmac_f64_e32 v[6:7], s[40:41], v[16:17]
	s_waitcnt vmcnt(0)
	v_mul_f64 v[16:17], s[16:17], v[2:3]
	v_mul_f64 v[2:3], s[14:15], v[2:3]
	v_fma_f64 v[16:17], s[14:15], v[0:1], -v[16:17]
	v_fmac_f64_e32 v[2:3], s[16:17], v[0:1]
	v_add_f64 v[0:1], v[4:5], v[16:17]
	v_add_f64 v[2:3], v[6:7], v[2:3]
	global_store_dwordx4 v[24:25], v[0:3], off offset:256
	global_load_dwordx4 v[0:3], v[20:21], off offset:512
	v_mul_f64 v[4:5], s[40:41], v[14:15]
	v_mul_f64 v[6:7], s[38:39], v[14:15]
	v_fma_f64 v[4:5], s[38:39], v[12:13], -v[4:5]
	v_fmac_f64_e32 v[6:7], s[40:41], v[12:13]
	s_waitcnt vmcnt(0)
	v_mul_f64 v[12:13], s[16:17], v[2:3]
	v_mul_f64 v[2:3], s[14:15], v[2:3]
	v_fma_f64 v[12:13], s[14:15], v[0:1], -v[12:13]
	v_fmac_f64_e32 v[2:3], s[16:17], v[0:1]
	v_add_f64 v[0:1], v[4:5], v[12:13]
	v_add_f64 v[2:3], v[6:7], v[2:3]
	global_store_dwordx4 v[24:25], v[0:3], off offset:512
	global_load_dwordx4 v[4:7], v[20:21], off offset:768
	v_mul_f64 v[0:1], s[40:41], v[8:9]
	v_mul_f64 v[8:9], s[38:39], v[8:9]
	v_fma_f64 v[0:1], s[38:39], v[10:11], -v[0:1]
	v_fmac_f64_e32 v[8:9], s[40:41], v[10:11]
	v_add_co_u32_e32 v2, vcc, 0x300, v24
	v_addc_co_u32_e32 v3, vcc, 0, v25, vcc
	s_waitcnt vmcnt(0)
	v_mul_f64 v[10:11], s[16:17], v[6:7]
	v_mul_f64 v[6:7], s[14:15], v[6:7]
	v_fma_f64 v[10:11], s[14:15], v[4:5], -v[10:11]
	v_fmac_f64_e32 v[6:7], s[16:17], v[4:5]
	v_add_f64 v[0:1], v[0:1], v[10:11]
	v_add_f64 v[4:5], v[8:9], v[6:7]
	global_store_dwordx2 v[24:25], v[0:1], off offset:768
.LBB125_8:
	global_store_dwordx2 v[2:3], v[4:5], off offset:8
	s_endpgm
	.section	.rodata,"a",@progbits
	.p2align	6, 0x0
	.amdhsa_kernel _ZN12_GLOBAL__N_127rocblas_gemm_batched_kernelI19rocblas_complex_numIdELi16ELi16ELi64ELi64ELi4ELi64ELi4ELi4ELi64ELc78ELc67EKS2_S3_S2_EEvlllT_PT11_llS6_llS4_PT12_llPT13_lli
		.amdhsa_group_segment_fixed_size 8192
		.amdhsa_private_segment_fixed_size 0
		.amdhsa_kernarg_size 156
		.amdhsa_user_sgpr_count 6
		.amdhsa_user_sgpr_private_segment_buffer 1
		.amdhsa_user_sgpr_dispatch_ptr 0
		.amdhsa_user_sgpr_queue_ptr 0
		.amdhsa_user_sgpr_kernarg_segment_ptr 1
		.amdhsa_user_sgpr_dispatch_id 0
		.amdhsa_user_sgpr_flat_scratch_init 0
		.amdhsa_user_sgpr_kernarg_preload_length 0
		.amdhsa_user_sgpr_kernarg_preload_offset 0
		.amdhsa_user_sgpr_private_segment_size 0
		.amdhsa_uses_dynamic_stack 0
		.amdhsa_system_sgpr_private_segment_wavefront_offset 0
		.amdhsa_system_sgpr_workgroup_id_x 1
		.amdhsa_system_sgpr_workgroup_id_y 1
		.amdhsa_system_sgpr_workgroup_id_z 1
		.amdhsa_system_sgpr_workgroup_info 0
		.amdhsa_system_vgpr_workitem_id 1
		.amdhsa_next_free_vgpr 136
		.amdhsa_next_free_sgpr 52
		.amdhsa_accum_offset 136
		.amdhsa_reserve_vcc 1
		.amdhsa_reserve_flat_scratch 0
		.amdhsa_float_round_mode_32 0
		.amdhsa_float_round_mode_16_64 0
		.amdhsa_float_denorm_mode_32 3
		.amdhsa_float_denorm_mode_16_64 3
		.amdhsa_dx10_clamp 1
		.amdhsa_ieee_mode 1
		.amdhsa_fp16_overflow 0
		.amdhsa_tg_split 0
		.amdhsa_exception_fp_ieee_invalid_op 0
		.amdhsa_exception_fp_denorm_src 0
		.amdhsa_exception_fp_ieee_div_zero 0
		.amdhsa_exception_fp_ieee_overflow 0
		.amdhsa_exception_fp_ieee_underflow 0
		.amdhsa_exception_fp_ieee_inexact 0
		.amdhsa_exception_int_div_zero 0
	.end_amdhsa_kernel
	.section	.text._ZN12_GLOBAL__N_127rocblas_gemm_batched_kernelI19rocblas_complex_numIdELi16ELi16ELi64ELi64ELi4ELi64ELi4ELi4ELi64ELc78ELc67EKS2_S3_S2_EEvlllT_PT11_llS6_llS4_PT12_llPT13_lli,"axG",@progbits,_ZN12_GLOBAL__N_127rocblas_gemm_batched_kernelI19rocblas_complex_numIdELi16ELi16ELi64ELi64ELi4ELi64ELi4ELi4ELi64ELc78ELc67EKS2_S3_S2_EEvlllT_PT11_llS6_llS4_PT12_llPT13_lli,comdat
.Lfunc_end125:
	.size	_ZN12_GLOBAL__N_127rocblas_gemm_batched_kernelI19rocblas_complex_numIdELi16ELi16ELi64ELi64ELi4ELi64ELi4ELi4ELi64ELc78ELc67EKS2_S3_S2_EEvlllT_PT11_llS6_llS4_PT12_llPT13_lli, .Lfunc_end125-_ZN12_GLOBAL__N_127rocblas_gemm_batched_kernelI19rocblas_complex_numIdELi16ELi16ELi64ELi64ELi4ELi64ELi4ELi4ELi64ELc78ELc67EKS2_S3_S2_EEvlllT_PT11_llS6_llS4_PT12_llPT13_lli
                                        ; -- End function
	.section	.AMDGPU.csdata,"",@progbits
; Kernel info:
; codeLenInByte = 6704
; NumSgprs: 56
; NumVgprs: 136
; NumAgprs: 0
; TotalNumVgprs: 136
; ScratchSize: 0
; MemoryBound: 0
; FloatMode: 240
; IeeeMode: 1
; LDSByteSize: 8192 bytes/workgroup (compile time only)
; SGPRBlocks: 6
; VGPRBlocks: 16
; NumSGPRsForWavesPerEU: 56
; NumVGPRsForWavesPerEU: 136
; AccumOffset: 136
; Occupancy: 3
; WaveLimiterHint : 1
; COMPUTE_PGM_RSRC2:SCRATCH_EN: 0
; COMPUTE_PGM_RSRC2:USER_SGPR: 6
; COMPUTE_PGM_RSRC2:TRAP_HANDLER: 0
; COMPUTE_PGM_RSRC2:TGID_X_EN: 1
; COMPUTE_PGM_RSRC2:TGID_Y_EN: 1
; COMPUTE_PGM_RSRC2:TGID_Z_EN: 1
; COMPUTE_PGM_RSRC2:TIDIG_COMP_CNT: 1
; COMPUTE_PGM_RSRC3_GFX90A:ACCUM_OFFSET: 33
; COMPUTE_PGM_RSRC3_GFX90A:TG_SPLIT: 0
	.section	.text._ZN12_GLOBAL__N_127rocblas_gemm_batched_kernelI19rocblas_complex_numIdELi16ELi16ELi64ELi64ELi4ELi64ELi4ELi4ELi64ELc84ELc67EKS2_S3_S2_EEvlllT_PT11_llS6_llS4_PT12_llPT13_lli,"axG",@progbits,_ZN12_GLOBAL__N_127rocblas_gemm_batched_kernelI19rocblas_complex_numIdELi16ELi16ELi64ELi64ELi4ELi64ELi4ELi4ELi64ELc84ELc67EKS2_S3_S2_EEvlllT_PT11_llS6_llS4_PT12_llPT13_lli,comdat
	.globl	_ZN12_GLOBAL__N_127rocblas_gemm_batched_kernelI19rocblas_complex_numIdELi16ELi16ELi64ELi64ELi4ELi64ELi4ELi4ELi64ELc84ELc67EKS2_S3_S2_EEvlllT_PT11_llS6_llS4_PT12_llPT13_lli ; -- Begin function _ZN12_GLOBAL__N_127rocblas_gemm_batched_kernelI19rocblas_complex_numIdELi16ELi16ELi64ELi64ELi4ELi64ELi4ELi4ELi64ELc84ELc67EKS2_S3_S2_EEvlllT_PT11_llS6_llS4_PT12_llPT13_lli
	.p2align	8
	.type	_ZN12_GLOBAL__N_127rocblas_gemm_batched_kernelI19rocblas_complex_numIdELi16ELi16ELi64ELi64ELi4ELi64ELi4ELi4ELi64ELc84ELc67EKS2_S3_S2_EEvlllT_PT11_llS6_llS4_PT12_llPT13_lli,@function
_ZN12_GLOBAL__N_127rocblas_gemm_batched_kernelI19rocblas_complex_numIdELi16ELi16ELi64ELi64ELi4ELi64ELi4ELi4ELi64ELc84ELc67EKS2_S3_S2_EEvlllT_PT11_llS6_llS4_PT12_llPT13_lli: ; @_ZN12_GLOBAL__N_127rocblas_gemm_batched_kernelI19rocblas_complex_numIdELi16ELi16ELi64ELi64ELi4ELi64ELi4ELi4ELi64ELc84ELc67EKS2_S3_S2_EEvlllT_PT11_llS6_llS4_PT12_llPT13_lli
; %bb.0:
	s_load_dwordx16 s[36:51], s[4:5], 0x10
	s_load_dwordx16 s[12:27], s[4:5], 0x50
	s_mov_b32 s2, s7
	s_ashr_i32 s7, s6, 31
	s_ashr_i32 s3, s2, 31
	s_waitcnt lgkmcnt(0)
	v_cmp_lt_i64_e64 s[10:11], s[36:37], 1
	v_bfe_u32 v101, v0, 10, 10
	v_and_b32_e32 v100, 0x3ff, v0
	s_lshl_b64 s[0:1], s[6:7], 6
	s_lshl_b64 s[2:3], s[2:3], 6
	s_mov_b64 s[6:7], 0
	s_and_b64 vcc, exec, s[10:11]
	s_cbranch_vccnz .LBB126_3
; %bb.1:
	v_lshl_add_u32 v4, v101, 4, v100
	v_lshrrev_b32_e32 v5, 2, v4
	v_mov_b32_e32 v1, s3
	v_add_co_u32_e32 v0, vcc, s2, v5
	v_addc_co_u32_e32 v1, vcc, 0, v1, vcc
	v_and_b32_e32 v6, 3, v100
	v_mad_u64_u32 v[0:1], s[10:11], v6, s50, v[0:1]
	v_mov_b32_e32 v2, v1
	v_mad_u64_u32 v[2:3], s[10:11], v6, s51, v[2:3]
	v_mov_b32_e32 v1, v2
	v_and_b32_e32 v2, 63, v4
	v_lshrrev_b32_e32 v4, 6, v4
	v_lshlrev_b32_e32 v3, 4, v2
	v_lshl_or_b32 v102, v4, 10, v3
	v_lshlrev_b32_e32 v3, 4, v6
	v_lshl_or_b32 v3, v5, 6, v3
	v_add_u32_e32 v103, 0x1000, v3
	v_mov_b32_e32 v3, 0x1000
	v_lshl_add_u32 v105, v101, 6, v3
	v_mov_b32_e32 v3, s1
	v_add_co_u32_e32 v2, vcc, s0, v2
	v_addc_co_u32_e32 v3, vcc, 0, v3, vcc
	v_mul_lo_u32 v5, s45, v2
	v_mul_lo_u32 v6, s44, v3
	v_mad_u64_u32 v[2:3], s[10:11], s44, v2, 0
	s_mul_i32 s9, s47, s8
	s_mul_hi_u32 s10, s46, s8
	v_add3_u32 v3, v3, v6, v5
	s_add_i32 s11, s10, s9
	s_mul_i32 s10, s46, s8
	v_lshlrev_b64 v[2:3], 4, v[2:3]
	s_lshl_b64 s[10:11], s[10:11], 4
	v_mov_b32_e32 v5, s11
	v_add_co_u32_e32 v2, vcc, s10, v2
	v_addc_co_u32_e32 v3, vcc, v3, v5, vcc
	v_lshlrev_b32_e32 v4, 4, v4
	s_mul_i32 s9, s13, s8
	s_mul_hi_u32 s10, s12, s8
	v_add_co_u32_e32 v2, vcc, v2, v4
	s_add_i32 s11, s10, s9
	s_mul_i32 s10, s12, s8
	v_addc_co_u32_e32 v3, vcc, 0, v3, vcc
	s_lshl_b64 s[10:11], s[10:11], 4
	v_mov_b32_e32 v4, s43
	v_add_co_u32_e32 v24, vcc, s42, v2
	s_add_u32 s9, s48, s10
	v_addc_co_u32_e32 v25, vcc, v4, v3, vcc
	v_lshlrev_b64 v[0:1], 4, v[0:1]
	s_addc_u32 s10, s49, s11
	v_mov_b32_e32 v2, s10
	v_add_co_u32_e32 v0, vcc, s9, v0
	v_addc_co_u32_e32 v1, vcc, v2, v1, vcc
	v_add_co_u32_e32 v26, vcc, 8, v0
	s_lshl_b64 s[10:11], s[50:51], 6
	v_lshlrev_b32_e32 v104, 4, v100
	v_addc_co_u32_e32 v27, vcc, 0, v1, vcc
	v_pk_mov_b32 v[8:9], 0, 0
	v_mov_b32_e32 v106, s11
	v_pk_mov_b32 v[28:29], s[36:37], s[36:37] op_sel:[0,1]
	v_pk_mov_b32 v[10:11], 0, 0
	v_pk_mov_b32 v[14:15], 0, 0
	;; [unrolled: 1-line block ×31, first 2 shown]
.LBB126_2:                              ; =>This Inner Loop Header: Depth=1
	global_load_dwordx4 v[0:3], v[24:25], off
	v_add_co_u32_e32 v24, vcc, 64, v24
	v_addc_co_u32_e32 v25, vcc, 0, v25, vcc
	s_add_u32 s6, s6, 4
	s_addc_u32 s7, s7, 0
	s_waitcnt vmcnt(0)
	ds_write2_b64 v102, v[0:1], v[2:3] offset1:1
	global_load_dwordx4 v[0:3], v[26:27], off offset:-8
	v_add_co_u32_e32 v26, vcc, s10, v26
	v_addc_co_u32_e32 v27, vcc, v27, v106, vcc
	v_cmp_lt_i64_e32 vcc, s[6:7], v[28:29]
	s_and_b64 vcc, exec, vcc
	s_waitcnt vmcnt(0)
	v_xor_b32_e32 v3, 0x80000000, v3
	ds_write_b128 v103, v[0:3]
	s_waitcnt lgkmcnt(0)
	s_barrier
	ds_read_b128 v[78:81], v105
	ds_read_b128 v[108:111], v105 offset:16
	ds_read_b128 v[4:7], v105 offset:32
	;; [unrolled: 1-line block ×3, first 2 shown]
	ds_read_b128 v[112:115], v104
	ds_read_b128 v[116:119], v104 offset:256
	s_waitcnt lgkmcnt(1)
	v_mul_f64 v[82:83], v[80:81], v[114:115]
	v_mul_f64 v[84:85], v[78:79], v[114:115]
	v_fma_f64 v[82:83], v[78:79], v[112:113], -v[82:83]
	v_fmac_f64_e32 v[84:85], v[80:81], v[112:113]
	v_add_f64 v[120:121], v[60:61], v[82:83]
	v_add_f64 v[122:123], v[64:65], v[84:85]
	s_waitcnt lgkmcnt(0)
	v_mul_f64 v[60:61], v[80:81], v[118:119]
	v_mul_f64 v[64:65], v[78:79], v[118:119]
	v_fma_f64 v[60:61], v[78:79], v[116:117], -v[60:61]
	v_fmac_f64_e32 v[64:65], v[80:81], v[116:117]
	v_add_f64 v[124:125], v[38:39], v[60:61]
	v_add_f64 v[126:127], v[40:41], v[64:65]
	ds_read_b128 v[38:41], v104 offset:512
	s_waitcnt lgkmcnt(0)
	v_mul_f64 v[60:61], v[80:81], v[40:41]
	v_mul_f64 v[64:65], v[78:79], v[40:41]
	v_fma_f64 v[60:61], v[78:79], v[38:39], -v[60:61]
	v_fmac_f64_e32 v[64:65], v[80:81], v[38:39]
	v_add_f64 v[128:129], v[30:31], v[60:61]
	v_add_f64 v[130:131], v[32:33], v[64:65]
	ds_read_b128 v[30:33], v104 offset:768
	s_waitcnt lgkmcnt(0)
	v_mul_f64 v[60:61], v[80:81], v[32:33]
	v_mul_f64 v[64:65], v[78:79], v[32:33]
	v_fma_f64 v[60:61], v[78:79], v[30:31], -v[60:61]
	v_fmac_f64_e32 v[64:65], v[80:81], v[30:31]
	v_add_f64 v[132:133], v[20:21], v[60:61]
	v_add_f64 v[134:135], v[22:23], v[64:65]
	ds_read_b128 v[20:23], v105 offset:1024
	s_waitcnt lgkmcnt(0)
	v_mul_f64 v[60:61], v[22:23], v[114:115]
	v_fma_f64 v[60:61], v[20:21], v[112:113], -v[60:61]
	v_mul_f64 v[78:79], v[20:21], v[114:115]
	v_add_f64 v[64:65], v[70:71], v[60:61]
	v_mul_f64 v[60:61], v[22:23], v[118:119]
	v_fmac_f64_e32 v[78:79], v[22:23], v[112:113]
	v_fma_f64 v[60:61], v[20:21], v[116:117], -v[60:61]
	v_add_f64 v[70:71], v[72:73], v[78:79]
	v_mul_f64 v[72:73], v[20:21], v[118:119]
	v_add_f64 v[66:67], v[66:67], v[60:61]
	v_mul_f64 v[60:61], v[22:23], v[40:41]
	v_fmac_f64_e32 v[72:73], v[22:23], v[116:117]
	v_fma_f64 v[60:61], v[20:21], v[38:39], -v[60:61]
	v_add_f64 v[68:69], v[68:69], v[72:73]
	v_add_f64 v[72:73], v[54:55], v[60:61]
	v_mul_f64 v[54:55], v[22:23], v[32:33]
	v_mul_f64 v[78:79], v[20:21], v[40:41]
	v_fma_f64 v[54:55], v[20:21], v[30:31], -v[54:55]
	v_mul_f64 v[20:21], v[20:21], v[32:33]
	v_fmac_f64_e32 v[20:21], v[22:23], v[30:31]
	v_fmac_f64_e32 v[78:79], v[22:23], v[38:39]
	v_add_f64 v[98:99], v[48:49], v[20:21]
	ds_read_b128 v[20:23], v105 offset:2048
	v_add_f64 v[96:97], v[46:47], v[54:55]
	v_add_f64 v[94:95], v[56:57], v[78:79]
	s_waitcnt lgkmcnt(0)
	v_mul_f64 v[46:47], v[22:23], v[114:115]
	v_fma_f64 v[46:47], v[20:21], v[112:113], -v[46:47]
	v_add_f64 v[78:79], v[58:59], v[46:47]
	v_mul_f64 v[46:47], v[22:23], v[118:119]
	v_mul_f64 v[48:49], v[20:21], v[114:115]
	v_fma_f64 v[46:47], v[20:21], v[116:117], -v[46:47]
	v_fmac_f64_e32 v[48:49], v[22:23], v[112:113]
	v_add_f64 v[82:83], v[50:51], v[46:47]
	v_mul_f64 v[46:47], v[22:23], v[40:41]
	v_add_f64 v[80:81], v[62:63], v[48:49]
	v_mul_f64 v[48:49], v[20:21], v[118:119]
	v_fma_f64 v[46:47], v[20:21], v[38:39], -v[46:47]
	v_fmac_f64_e32 v[48:49], v[22:23], v[116:117]
	v_add_f64 v[86:87], v[42:43], v[46:47]
	v_mul_f64 v[42:43], v[22:23], v[32:33]
	v_add_f64 v[84:85], v[52:53], v[48:49]
	v_mul_f64 v[48:49], v[20:21], v[40:41]
	v_fma_f64 v[42:43], v[20:21], v[30:31], -v[42:43]
	v_mul_f64 v[20:21], v[20:21], v[32:33]
	v_fmac_f64_e32 v[20:21], v[22:23], v[30:31]
	v_fmac_f64_e32 v[48:49], v[22:23], v[38:39]
	v_add_f64 v[92:93], v[36:37], v[20:21]
	ds_read_b128 v[20:23], v105 offset:3072
	v_add_f64 v[90:91], v[34:35], v[42:43]
	v_add_f64 v[88:89], v[44:45], v[48:49]
	s_waitcnt lgkmcnt(0)
	v_mul_f64 v[34:35], v[22:23], v[114:115]
	v_mul_f64 v[36:37], v[20:21], v[114:115]
	v_fma_f64 v[34:35], v[20:21], v[112:113], -v[34:35]
	v_fmac_f64_e32 v[36:37], v[22:23], v[112:113]
	v_add_f64 v[58:59], v[74:75], v[34:35]
	v_add_f64 v[60:61], v[76:77], v[36:37]
	v_mul_f64 v[34:35], v[22:23], v[118:119]
	v_mul_f64 v[36:37], v[20:21], v[118:119]
	v_fma_f64 v[34:35], v[20:21], v[116:117], -v[34:35]
	v_fmac_f64_e32 v[36:37], v[22:23], v[116:117]
	v_add_f64 v[54:55], v[16:17], v[34:35]
	v_add_f64 v[56:57], v[18:19], v[36:37]
	;; [unrolled: 6-line block ×3, first 2 shown]
	v_mul_f64 v[12:13], v[22:23], v[32:33]
	v_mul_f64 v[14:15], v[20:21], v[32:33]
	v_fma_f64 v[12:13], v[20:21], v[30:31], -v[12:13]
	v_fmac_f64_e32 v[14:15], v[22:23], v[30:31]
	ds_read_b128 v[20:23], v104 offset:1024
	ds_read_b128 v[16:19], v104 offset:1280
	v_add_f64 v[46:47], v[10:11], v[12:13]
	v_add_f64 v[48:49], v[8:9], v[14:15]
	ds_read_b128 v[12:15], v104 offset:1536
	ds_read_b128 v[74:77], v105 offset:1040
	s_waitcnt lgkmcnt(3)
	v_mul_f64 v[8:9], v[110:111], v[22:23]
	v_mul_f64 v[10:11], v[108:109], v[22:23]
	v_fma_f64 v[8:9], v[108:109], v[20:21], -v[8:9]
	v_fmac_f64_e32 v[10:11], v[110:111], v[20:21]
	v_add_f64 v[42:43], v[120:121], v[8:9]
	v_add_f64 v[44:45], v[122:123], v[10:11]
	s_waitcnt lgkmcnt(2)
	v_mul_f64 v[8:9], v[110:111], v[18:19]
	v_mul_f64 v[10:11], v[108:109], v[18:19]
	v_fma_f64 v[8:9], v[108:109], v[16:17], -v[8:9]
	v_fmac_f64_e32 v[10:11], v[110:111], v[16:17]
	v_add_f64 v[38:39], v[124:125], v[8:9]
	v_add_f64 v[40:41], v[126:127], v[10:11]
	;; [unrolled: 7-line block ×3, first 2 shown]
	ds_read_b128 v[8:11], v104 offset:1792
	s_waitcnt lgkmcnt(1)
	v_mul_f64 v[62:63], v[76:77], v[22:23]
	v_fma_f64 v[62:63], v[74:75], v[20:21], -v[62:63]
	v_add_f64 v[62:63], v[64:65], v[62:63]
	s_waitcnt lgkmcnt(0)
	v_mul_f64 v[30:31], v[110:111], v[10:11]
	v_fma_f64 v[30:31], v[108:109], v[8:9], -v[30:31]
	v_mul_f64 v[32:33], v[108:109], v[10:11]
	v_mul_f64 v[108:109], v[74:75], v[22:23]
	v_fmac_f64_e32 v[108:109], v[76:77], v[20:21]
	v_add_f64 v[64:65], v[70:71], v[108:109]
	v_mul_f64 v[70:71], v[76:77], v[18:19]
	v_mul_f64 v[108:109], v[74:75], v[18:19]
	v_fma_f64 v[70:71], v[74:75], v[16:17], -v[70:71]
	v_fmac_f64_e32 v[108:109], v[76:77], v[16:17]
	v_add_f64 v[66:67], v[66:67], v[70:71]
	v_add_f64 v[68:69], v[68:69], v[108:109]
	v_mul_f64 v[70:71], v[76:77], v[14:15]
	v_mul_f64 v[108:109], v[74:75], v[14:15]
	v_fma_f64 v[70:71], v[74:75], v[12:13], -v[70:71]
	v_fmac_f64_e32 v[108:109], v[76:77], v[12:13]
	v_add_f64 v[70:71], v[72:73], v[70:71]
	v_add_f64 v[72:73], v[94:95], v[108:109]
	v_mul_f64 v[94:95], v[76:77], v[10:11]
	v_fma_f64 v[94:95], v[74:75], v[8:9], -v[94:95]
	v_mul_f64 v[108:109], v[74:75], v[10:11]
	v_add_f64 v[74:75], v[96:97], v[94:95]
	ds_read_b128 v[94:97], v105 offset:2064
	v_fmac_f64_e32 v[108:109], v[76:77], v[8:9]
	v_add_f64 v[76:77], v[98:99], v[108:109]
	v_fmac_f64_e32 v[32:33], v[110:111], v[8:9]
	v_add_f64 v[32:33], v[134:135], v[32:33]
	s_waitcnt lgkmcnt(0)
	v_mul_f64 v[98:99], v[96:97], v[22:23]
	v_mul_f64 v[108:109], v[94:95], v[22:23]
	v_fma_f64 v[98:99], v[94:95], v[20:21], -v[98:99]
	v_fmac_f64_e32 v[108:109], v[96:97], v[20:21]
	v_add_f64 v[78:79], v[78:79], v[98:99]
	v_add_f64 v[80:81], v[80:81], v[108:109]
	v_mul_f64 v[98:99], v[96:97], v[18:19]
	v_mul_f64 v[108:109], v[94:95], v[18:19]
	v_fma_f64 v[98:99], v[94:95], v[16:17], -v[98:99]
	v_fmac_f64_e32 v[108:109], v[96:97], v[16:17]
	v_add_f64 v[82:83], v[82:83], v[98:99]
	v_add_f64 v[84:85], v[84:85], v[108:109]
	;; [unrolled: 6-line block ×4, first 2 shown]
	ds_read_b128 v[90:93], v105 offset:3088
	v_add_f64 v[30:31], v[132:133], v[30:31]
	s_waitcnt lgkmcnt(0)
	v_mul_f64 v[98:99], v[92:93], v[22:23]
	v_mul_f64 v[22:23], v[90:91], v[22:23]
	v_fma_f64 v[98:99], v[90:91], v[20:21], -v[98:99]
	v_fmac_f64_e32 v[22:23], v[92:93], v[20:21]
	v_mul_f64 v[20:21], v[92:93], v[18:19]
	v_mul_f64 v[18:19], v[90:91], v[18:19]
	v_fma_f64 v[20:21], v[90:91], v[16:17], -v[20:21]
	v_fmac_f64_e32 v[18:19], v[92:93], v[16:17]
	;; [unrolled: 4-line block ×3, first 2 shown]
	v_mul_f64 v[12:13], v[92:93], v[10:11]
	v_mul_f64 v[10:11], v[90:91], v[10:11]
	v_fmac_f64_e32 v[10:11], v[92:93], v[8:9]
	v_fma_f64 v[12:13], v[90:91], v[8:9], -v[12:13]
	v_add_f64 v[118:119], v[48:49], v[10:11]
	ds_read_b128 v[8:11], v104 offset:2048
	v_add_f64 v[114:115], v[52:53], v[14:15]
	v_add_f64 v[116:117], v[46:47], v[12:13]
	;; [unrolled: 1-line block ×4, first 2 shown]
	s_waitcnt lgkmcnt(0)
	v_mul_f64 v[12:13], v[6:7], v[10:11]
	v_mul_f64 v[14:15], v[4:5], v[10:11]
	v_fma_f64 v[12:13], v[4:5], v[8:9], -v[12:13]
	v_fmac_f64_e32 v[14:15], v[6:7], v[8:9]
	v_add_f64 v[120:121], v[42:43], v[12:13]
	v_add_f64 v[122:123], v[44:45], v[14:15]
	ds_read_b128 v[12:15], v104 offset:2304
	v_add_f64 v[60:61], v[60:61], v[22:23]
	v_add_f64 v[108:109], v[54:55], v[20:21]
	v_add_f64 v[98:99], v[58:59], v[98:99]
	s_waitcnt lgkmcnt(0)
	v_mul_f64 v[16:17], v[6:7], v[14:15]
	v_mul_f64 v[18:19], v[4:5], v[14:15]
	v_fma_f64 v[16:17], v[4:5], v[12:13], -v[16:17]
	v_fmac_f64_e32 v[18:19], v[6:7], v[12:13]
	v_add_f64 v[38:39], v[38:39], v[16:17]
	v_add_f64 v[40:41], v[40:41], v[18:19]
	ds_read_b128 v[16:19], v104 offset:2560
	s_waitcnt lgkmcnt(0)
	v_mul_f64 v[20:21], v[6:7], v[18:19]
	v_mul_f64 v[22:23], v[4:5], v[18:19]
	v_fma_f64 v[20:21], v[4:5], v[16:17], -v[20:21]
	v_fmac_f64_e32 v[22:23], v[6:7], v[16:17]
	v_add_f64 v[124:125], v[34:35], v[20:21]
	v_add_f64 v[126:127], v[36:37], v[22:23]
	ds_read_b128 v[20:23], v104 offset:2816
	s_waitcnt lgkmcnt(0)
	v_mul_f64 v[34:35], v[6:7], v[22:23]
	v_fma_f64 v[34:35], v[4:5], v[20:21], -v[34:35]
	v_mul_f64 v[4:5], v[4:5], v[22:23]
	v_fmac_f64_e32 v[4:5], v[6:7], v[20:21]
	v_add_f64 v[130:131], v[32:33], v[4:5]
	ds_read_b128 v[4:7], v105 offset:1056
	v_add_f64 v[128:129], v[30:31], v[34:35]
	s_waitcnt lgkmcnt(0)
	v_mul_f64 v[30:31], v[6:7], v[10:11]
	v_fma_f64 v[30:31], v[4:5], v[8:9], -v[30:31]
	v_add_f64 v[46:47], v[62:63], v[30:31]
	v_mul_f64 v[30:31], v[6:7], v[14:15]
	v_mul_f64 v[32:33], v[4:5], v[10:11]
	v_fma_f64 v[30:31], v[4:5], v[12:13], -v[30:31]
	v_fmac_f64_e32 v[32:33], v[6:7], v[8:9]
	v_add_f64 v[50:51], v[66:67], v[30:31]
	v_mul_f64 v[30:31], v[6:7], v[18:19]
	v_add_f64 v[48:49], v[64:65], v[32:33]
	v_mul_f64 v[32:33], v[4:5], v[14:15]
	v_fma_f64 v[30:31], v[4:5], v[16:17], -v[30:31]
	v_fmac_f64_e32 v[32:33], v[6:7], v[12:13]
	v_add_f64 v[54:55], v[70:71], v[30:31]
	v_mul_f64 v[30:31], v[6:7], v[22:23]
	v_add_f64 v[52:53], v[68:69], v[32:33]
	v_mul_f64 v[32:33], v[4:5], v[18:19]
	v_fma_f64 v[30:31], v[4:5], v[20:21], -v[30:31]
	v_mul_f64 v[4:5], v[4:5], v[22:23]
	v_fmac_f64_e32 v[4:5], v[6:7], v[20:21]
	v_fmac_f64_e32 v[32:33], v[6:7], v[16:17]
	v_add_f64 v[62:63], v[76:77], v[4:5]
	ds_read_b128 v[4:7], v105 offset:2080
	v_add_f64 v[58:59], v[74:75], v[30:31]
	v_add_f64 v[56:57], v[72:73], v[32:33]
	s_waitcnt lgkmcnt(0)
	v_mul_f64 v[30:31], v[6:7], v[10:11]
	v_fma_f64 v[30:31], v[4:5], v[8:9], -v[30:31]
	v_add_f64 v[34:35], v[78:79], v[30:31]
	v_mul_f64 v[30:31], v[6:7], v[14:15]
	v_mul_f64 v[32:33], v[4:5], v[10:11]
	v_fma_f64 v[30:31], v[4:5], v[12:13], -v[30:31]
	v_fmac_f64_e32 v[32:33], v[6:7], v[8:9]
	v_add_f64 v[42:43], v[82:83], v[30:31]
	v_mul_f64 v[30:31], v[6:7], v[18:19]
	v_add_f64 v[36:37], v[80:81], v[32:33]
	v_mul_f64 v[32:33], v[4:5], v[14:15]
	v_fma_f64 v[30:31], v[4:5], v[16:17], -v[30:31]
	v_fmac_f64_e32 v[32:33], v[6:7], v[12:13]
	v_add_f64 v[90:91], v[86:87], v[30:31]
	v_mul_f64 v[30:31], v[6:7], v[22:23]
	v_add_f64 v[44:45], v[84:85], v[32:33]
	v_mul_f64 v[32:33], v[4:5], v[18:19]
	v_fma_f64 v[30:31], v[4:5], v[20:21], -v[30:31]
	v_mul_f64 v[4:5], v[4:5], v[22:23]
	v_fmac_f64_e32 v[4:5], v[6:7], v[20:21]
	v_fmac_f64_e32 v[32:33], v[6:7], v[16:17]
	v_add_f64 v[96:97], v[96:97], v[4:5]
	ds_read_b128 v[4:7], v105 offset:3104
	v_add_f64 v[94:95], v[94:95], v[30:31]
	v_add_f64 v[92:93], v[88:89], v[32:33]
	s_waitcnt lgkmcnt(0)
	v_mul_f64 v[30:31], v[6:7], v[10:11]
	v_mul_f64 v[10:11], v[4:5], v[10:11]
	v_fmac_f64_e32 v[10:11], v[6:7], v[8:9]
	v_fma_f64 v[30:31], v[4:5], v[8:9], -v[30:31]
	v_add_f64 v[76:77], v[60:61], v[10:11]
	v_mul_f64 v[8:9], v[6:7], v[14:15]
	v_mul_f64 v[10:11], v[4:5], v[14:15]
	v_fma_f64 v[8:9], v[4:5], v[12:13], -v[8:9]
	v_fmac_f64_e32 v[10:11], v[6:7], v[12:13]
	v_add_f64 v[86:87], v[108:109], v[8:9]
	v_add_f64 v[88:89], v[110:111], v[10:11]
	v_mul_f64 v[8:9], v[6:7], v[18:19]
	v_mul_f64 v[10:11], v[4:5], v[18:19]
	v_fma_f64 v[8:9], v[4:5], v[16:17], -v[8:9]
	v_fmac_f64_e32 v[10:11], v[6:7], v[16:17]
	ds_read_b128 v[16:19], v104 offset:3072
	ds_read_b128 v[12:15], v104 offset:3328
	v_add_f64 v[82:83], v[112:113], v[8:9]
	v_mul_f64 v[8:9], v[6:7], v[22:23]
	v_fma_f64 v[8:9], v[4:5], v[20:21], -v[8:9]
	v_mul_f64 v[4:5], v[4:5], v[22:23]
	v_add_f64 v[84:85], v[114:115], v[10:11]
	v_fmac_f64_e32 v[4:5], v[6:7], v[20:21]
	v_add_f64 v[78:79], v[116:117], v[8:9]
	ds_read_b128 v[8:11], v104 offset:3584
	v_add_f64 v[80:81], v[118:119], v[4:5]
	s_waitcnt lgkmcnt(2)
	v_mul_f64 v[4:5], v[2:3], v[18:19]
	v_mul_f64 v[6:7], v[0:1], v[18:19]
	v_fma_f64 v[4:5], v[0:1], v[16:17], -v[4:5]
	v_fmac_f64_e32 v[6:7], v[2:3], v[16:17]
	v_add_f64 v[60:61], v[120:121], v[4:5]
	v_add_f64 v[64:65], v[122:123], v[6:7]
	s_waitcnt lgkmcnt(1)
	v_mul_f64 v[4:5], v[2:3], v[14:15]
	v_mul_f64 v[6:7], v[0:1], v[14:15]
	v_fma_f64 v[4:5], v[0:1], v[12:13], -v[4:5]
	v_fmac_f64_e32 v[6:7], v[2:3], v[12:13]
	v_add_f64 v[38:39], v[38:39], v[4:5]
	;; [unrolled: 7-line block ×3, first 2 shown]
	v_add_f64 v[30:31], v[124:125], v[4:5]
	v_add_f64 v[32:33], v[126:127], v[6:7]
	ds_read_b128 v[4:7], v104 offset:3840
	s_waitcnt lgkmcnt(0)
	v_mul_f64 v[20:21], v[2:3], v[6:7]
	v_fma_f64 v[20:21], v[0:1], v[4:5], -v[20:21]
	v_mul_f64 v[0:1], v[0:1], v[6:7]
	v_fmac_f64_e32 v[0:1], v[2:3], v[4:5]
	v_add_f64 v[22:23], v[130:131], v[0:1]
	ds_read_b128 v[0:3], v105 offset:1072
	v_add_f64 v[20:21], v[128:129], v[20:21]
	s_waitcnt lgkmcnt(0)
	v_mul_f64 v[66:67], v[2:3], v[18:19]
	v_fma_f64 v[66:67], v[0:1], v[16:17], -v[66:67]
	v_add_f64 v[70:71], v[46:47], v[66:67]
	v_mul_f64 v[46:47], v[2:3], v[14:15]
	v_mul_f64 v[68:69], v[0:1], v[18:19]
	v_fma_f64 v[46:47], v[0:1], v[12:13], -v[46:47]
	v_fmac_f64_e32 v[68:69], v[2:3], v[16:17]
	v_add_f64 v[66:67], v[50:51], v[46:47]
	v_mul_f64 v[46:47], v[2:3], v[10:11]
	v_add_f64 v[72:73], v[48:49], v[68:69]
	v_mul_f64 v[48:49], v[0:1], v[14:15]
	v_fma_f64 v[46:47], v[0:1], v[8:9], -v[46:47]
	v_fmac_f64_e32 v[48:49], v[2:3], v[12:13]
	v_add_f64 v[54:55], v[54:55], v[46:47]
	v_mul_f64 v[46:47], v[2:3], v[6:7]
	v_add_f64 v[68:69], v[52:53], v[48:49]
	v_mul_f64 v[48:49], v[0:1], v[10:11]
	v_fma_f64 v[46:47], v[0:1], v[4:5], -v[46:47]
	v_mul_f64 v[0:1], v[0:1], v[6:7]
	v_fmac_f64_e32 v[48:49], v[2:3], v[8:9]
	v_fmac_f64_e32 v[0:1], v[2:3], v[4:5]
	v_add_f64 v[56:57], v[56:57], v[48:49]
	v_add_f64 v[48:49], v[62:63], v[0:1]
	ds_read_b128 v[0:3], v105 offset:2096
	v_add_f64 v[46:47], v[58:59], v[46:47]
	s_waitcnt lgkmcnt(0)
	v_mul_f64 v[50:51], v[2:3], v[18:19]
	v_fma_f64 v[50:51], v[0:1], v[16:17], -v[50:51]
	v_add_f64 v[58:59], v[34:35], v[50:51]
	v_mul_f64 v[34:35], v[2:3], v[14:15]
	v_mul_f64 v[52:53], v[0:1], v[18:19]
	v_fma_f64 v[34:35], v[0:1], v[12:13], -v[34:35]
	v_fmac_f64_e32 v[52:53], v[2:3], v[16:17]
	v_add_f64 v[50:51], v[42:43], v[34:35]
	v_mul_f64 v[34:35], v[2:3], v[10:11]
	v_add_f64 v[62:63], v[36:37], v[52:53]
	v_mul_f64 v[36:37], v[0:1], v[14:15]
	v_fma_f64 v[34:35], v[0:1], v[8:9], -v[34:35]
	v_fmac_f64_e32 v[36:37], v[2:3], v[12:13]
	v_add_f64 v[42:43], v[90:91], v[34:35]
	v_mul_f64 v[34:35], v[2:3], v[6:7]
	v_add_f64 v[52:53], v[44:45], v[36:37]
	v_mul_f64 v[36:37], v[0:1], v[10:11]
	v_fma_f64 v[34:35], v[0:1], v[4:5], -v[34:35]
	v_mul_f64 v[0:1], v[0:1], v[6:7]
	v_fmac_f64_e32 v[36:37], v[2:3], v[8:9]
	v_fmac_f64_e32 v[0:1], v[2:3], v[4:5]
	v_add_f64 v[44:45], v[92:93], v[36:37]
	v_add_f64 v[36:37], v[96:97], v[0:1]
	ds_read_b128 v[0:3], v105 offset:3120
	v_add_f64 v[34:35], v[94:95], v[34:35]
	s_waitcnt lgkmcnt(0)
	s_barrier
	v_mul_f64 v[90:91], v[2:3], v[18:19]
	v_mul_f64 v[18:19], v[0:1], v[18:19]
	v_fma_f64 v[90:91], v[0:1], v[16:17], -v[90:91]
	v_fmac_f64_e32 v[18:19], v[2:3], v[16:17]
	v_mul_f64 v[16:17], v[2:3], v[14:15]
	v_mul_f64 v[14:15], v[0:1], v[14:15]
	v_fma_f64 v[16:17], v[0:1], v[12:13], -v[16:17]
	v_fmac_f64_e32 v[14:15], v[2:3], v[12:13]
	v_mul_f64 v[12:13], v[2:3], v[10:11]
	v_mul_f64 v[10:11], v[0:1], v[10:11]
	v_fma_f64 v[12:13], v[0:1], v[8:9], -v[12:13]
	v_fmac_f64_e32 v[10:11], v[2:3], v[8:9]
	v_mul_f64 v[8:9], v[2:3], v[6:7]
	v_fma_f64 v[8:9], v[0:1], v[4:5], -v[8:9]
	v_mul_f64 v[0:1], v[0:1], v[6:7]
	v_fmac_f64_e32 v[0:1], v[2:3], v[4:5]
	v_add_f64 v[74:75], v[74:75], v[90:91]
	v_add_f64 v[76:77], v[76:77], v[18:19]
	;; [unrolled: 1-line block ×8, first 2 shown]
	s_cbranch_vccnz .LBB126_2
	s_branch .LBB126_4
.LBB126_3:
	v_pk_mov_b32 v[60:61], 0, 0
	v_pk_mov_b32 v[64:65], 0, 0
	;; [unrolled: 1-line block ×32, first 2 shown]
.LBB126_4:
	s_load_dwordx2 s[4:5], s[4:5], 0x90
	v_mov_b32_e32 v0, s3
	v_add_co_u32_e32 v6, vcc, s2, v101
	v_addc_co_u32_e32 v7, vcc, 0, v0, vcc
	s_waitcnt lgkmcnt(0)
	s_mul_i32 s3, s8, s5
	s_mul_hi_u32 s5, s8, s4
	s_mul_i32 s4, s8, s4
	s_add_i32 s5, s5, s3
	s_lshl_b64 s[4:5], s[4:5], 4
	s_add_u32 s4, s24, s4
	v_cmp_neq_f64_e64 s[6:7], s[14:15], 0
	v_cmp_neq_f64_e64 s[10:11], s[16:17], 0
	v_mov_b32_e32 v1, s1
	v_add_co_u32_e32 v0, vcc, s0, v100
	s_addc_u32 s5, s25, s5
	s_or_b64 s[6:7], s[6:7], s[10:11]
	v_addc_co_u32_e32 v1, vcc, 0, v1, vcc
	s_mov_b64 s[2:3], 0
	s_and_b64 vcc, exec, s[6:7]
	s_cbranch_vccnz .LBB126_6
; %bb.5:
	v_mul_lo_u32 v4, v7, s26
	v_mul_lo_u32 v5, v6, s27
	v_mad_u64_u32 v[2:3], s[0:1], v6, s26, 0
	v_add3_u32 v3, v3, v5, v4
	v_lshlrev_b64 v[2:3], 4, v[2:3]
	v_mov_b32_e32 v4, s5
	v_add_co_u32_e32 v26, vcc, s4, v2
	v_addc_co_u32_e32 v27, vcc, v4, v3, vcc
	v_lshlrev_b64 v[24:25], 4, v[0:1]
	v_mul_f64 v[2:3], s[40:41], v[64:65]
	v_mul_f64 v[4:5], s[38:39], v[64:65]
	v_add_co_u32_e32 v24, vcc, v26, v24
	v_fma_f64 v[2:3], s[38:39], v[60:61], -v[2:3]
	v_fmac_f64_e32 v[4:5], s[40:41], v[60:61]
	v_addc_co_u32_e32 v25, vcc, v27, v25, vcc
	global_store_dwordx4 v[24:25], v[2:5], off
	s_lshl_b64 s[0:1], s[26:27], 8
	v_mul_f64 v[2:3], s[40:41], v[40:41]
	v_mul_f64 v[4:5], s[38:39], v[40:41]
	v_fma_f64 v[2:3], s[38:39], v[38:39], -v[2:3]
	v_fmac_f64_e32 v[4:5], s[40:41], v[38:39]
	global_store_dwordx4 v[24:25], v[2:5], off offset:256
	v_mov_b32_e32 v26, s1
	v_mul_f64 v[2:3], s[40:41], v[32:33]
	v_mul_f64 v[4:5], s[38:39], v[32:33]
	v_fma_f64 v[2:3], s[38:39], v[30:31], -v[2:3]
	v_fmac_f64_e32 v[4:5], s[40:41], v[30:31]
	global_store_dwordx4 v[24:25], v[2:5], off offset:512
	s_nop 0
	v_mul_f64 v[2:3], s[40:41], v[22:23]
	v_mul_f64 v[4:5], s[38:39], v[22:23]
	v_fma_f64 v[2:3], s[38:39], v[20:21], -v[2:3]
	v_fmac_f64_e32 v[4:5], s[40:41], v[20:21]
	global_store_dwordx4 v[24:25], v[2:5], off offset:768
	v_add_co_u32_e32 v24, vcc, s0, v24
	v_mul_f64 v[2:3], s[40:41], v[72:73]
	v_mul_f64 v[4:5], s[38:39], v[72:73]
	v_fma_f64 v[2:3], s[38:39], v[70:71], -v[2:3]
	v_fmac_f64_e32 v[4:5], s[40:41], v[70:71]
	v_addc_co_u32_e32 v25, vcc, v25, v26, vcc
	global_store_dwordx4 v[24:25], v[2:5], off
	s_nop 0
	v_mul_f64 v[2:3], s[40:41], v[68:69]
	v_mul_f64 v[4:5], s[38:39], v[68:69]
	v_fma_f64 v[2:3], s[38:39], v[66:67], -v[2:3]
	v_fmac_f64_e32 v[4:5], s[40:41], v[66:67]
	global_store_dwordx4 v[24:25], v[2:5], off offset:256
	s_nop 0
	v_mul_f64 v[2:3], s[40:41], v[56:57]
	v_mul_f64 v[4:5], s[38:39], v[56:57]
	v_fma_f64 v[2:3], s[38:39], v[54:55], -v[2:3]
	v_fmac_f64_e32 v[4:5], s[40:41], v[54:55]
	global_store_dwordx4 v[24:25], v[2:5], off offset:512
	s_nop 0
	v_mul_f64 v[2:3], s[40:41], v[48:49]
	v_mul_f64 v[4:5], s[38:39], v[48:49]
	v_fma_f64 v[2:3], s[38:39], v[46:47], -v[2:3]
	v_fmac_f64_e32 v[4:5], s[40:41], v[46:47]
	global_store_dwordx4 v[24:25], v[2:5], off offset:768
	v_add_co_u32_e32 v24, vcc, s0, v24
	v_mul_f64 v[2:3], s[40:41], v[62:63]
	v_mul_f64 v[4:5], s[38:39], v[62:63]
	v_fma_f64 v[2:3], s[38:39], v[58:59], -v[2:3]
	v_fmac_f64_e32 v[4:5], s[40:41], v[58:59]
	v_addc_co_u32_e32 v25, vcc, v25, v26, vcc
	global_store_dwordx4 v[24:25], v[2:5], off
	s_nop 0
	v_mul_f64 v[2:3], s[40:41], v[52:53]
	v_mul_f64 v[4:5], s[38:39], v[52:53]
	v_fma_f64 v[2:3], s[38:39], v[50:51], -v[2:3]
	v_fmac_f64_e32 v[4:5], s[40:41], v[50:51]
	global_store_dwordx4 v[24:25], v[2:5], off offset:256
	s_nop 0
	;; [unrolled: 25-line block ×3, first 2 shown]
	v_mul_f64 v[2:3], s[40:41], v[14:15]
	v_mul_f64 v[4:5], s[38:39], v[14:15]
	v_fma_f64 v[2:3], s[38:39], v[12:13], -v[2:3]
	v_fmac_f64_e32 v[4:5], s[40:41], v[12:13]
	global_store_dwordx4 v[24:25], v[2:5], off offset:512
	s_nop 0
	v_mul_f64 v[2:3], s[40:41], v[8:9]
	v_fma_f64 v[26:27], s[38:39], v[10:11], -v[2:3]
	v_mul_f64 v[4:5], s[38:39], v[8:9]
	v_add_co_u32_e32 v2, vcc, 0x300, v24
	v_fmac_f64_e32 v[4:5], s[40:41], v[10:11]
	v_addc_co_u32_e32 v3, vcc, 0, v25, vcc
	global_store_dwordx2 v[24:25], v[26:27], off offset:768
	s_andn2_b64 vcc, exec, s[2:3]
	s_cbranch_vccz .LBB126_7
	s_branch .LBB126_8
.LBB126_6:
                                        ; implicit-def: $vgpr4_vgpr5
                                        ; implicit-def: $vgpr2_vgpr3
.LBB126_7:
	s_mul_i32 s0, s8, s23
	s_mul_hi_u32 s1, s8, s22
	s_add_i32 s1, s1, s0
	s_mul_i32 s0, s8, s22
	s_lshl_b64 s[0:1], s[0:1], 4
	s_add_u32 s2, s18, s0
	s_addc_u32 s3, s19, s1
	v_mul_lo_u32 v4, v7, s20
	v_mul_lo_u32 v5, v6, s21
	v_mad_u64_u32 v[2:3], s[0:1], v6, s20, 0
	v_add3_u32 v3, v3, v5, v4
	v_lshlrev_b64 v[2:3], 4, v[2:3]
	v_mov_b32_e32 v4, s3
	v_add_co_u32_e32 v2, vcc, s2, v2
	v_addc_co_u32_e32 v3, vcc, v4, v3, vcc
	v_lshlrev_b64 v[4:5], 4, v[0:1]
	v_add_co_u32_e32 v24, vcc, v2, v4
	v_addc_co_u32_e32 v25, vcc, v3, v5, vcc
	global_load_dwordx4 v[0:3], v[24:25], off
	v_mul_lo_u32 v78, v7, s26
	v_mul_lo_u32 v79, v6, s27
	v_mad_u64_u32 v[6:7], s[0:1], v6, s26, 0
	v_add3_u32 v7, v7, v79, v78
	v_lshlrev_b64 v[6:7], 4, v[6:7]
	v_mov_b32_e32 v80, s5
	v_add_co_u32_e32 v6, vcc, s4, v6
	v_addc_co_u32_e32 v7, vcc, v80, v7, vcc
	v_add_co_u32_e32 v4, vcc, v6, v4
	v_mul_f64 v[26:27], s[40:41], v[64:65]
	v_mul_f64 v[28:29], s[38:39], v[64:65]
	v_addc_co_u32_e32 v5, vcc, v7, v5, vcc
	v_fma_f64 v[26:27], s[38:39], v[60:61], -v[26:27]
	v_fmac_f64_e32 v[28:29], s[40:41], v[60:61]
	s_lshl_b64 s[0:1], s[20:21], 8
	s_lshl_b64 s[2:3], s[26:27], 8
	s_waitcnt vmcnt(0)
	v_mul_f64 v[6:7], s[16:17], v[2:3]
	v_mul_f64 v[2:3], s[14:15], v[2:3]
	v_fma_f64 v[6:7], s[14:15], v[0:1], -v[6:7]
	v_fmac_f64_e32 v[2:3], s[16:17], v[0:1]
	v_add_f64 v[0:1], v[26:27], v[6:7]
	v_add_f64 v[2:3], v[28:29], v[2:3]
	global_store_dwordx4 v[4:5], v[0:3], off
	global_load_dwordx4 v[0:3], v[24:25], off offset:256
	v_mul_f64 v[6:7], s[40:41], v[40:41]
	v_mul_f64 v[26:27], s[38:39], v[40:41]
	v_fma_f64 v[6:7], s[38:39], v[38:39], -v[6:7]
	v_fmac_f64_e32 v[26:27], s[40:41], v[38:39]
	s_waitcnt vmcnt(0)
	v_mul_f64 v[28:29], s[16:17], v[2:3]
	v_mul_f64 v[2:3], s[14:15], v[2:3]
	v_fma_f64 v[28:29], s[14:15], v[0:1], -v[28:29]
	v_fmac_f64_e32 v[2:3], s[16:17], v[0:1]
	v_add_f64 v[0:1], v[6:7], v[28:29]
	v_add_f64 v[2:3], v[26:27], v[2:3]
	global_store_dwordx4 v[4:5], v[0:3], off offset:256
	global_load_dwordx4 v[0:3], v[24:25], off offset:512
	v_mul_f64 v[6:7], s[40:41], v[32:33]
	v_mul_f64 v[26:27], s[38:39], v[32:33]
	v_fma_f64 v[6:7], s[38:39], v[30:31], -v[6:7]
	v_fmac_f64_e32 v[26:27], s[40:41], v[30:31]
	s_waitcnt vmcnt(0)
	v_mul_f64 v[28:29], s[16:17], v[2:3]
	v_mul_f64 v[2:3], s[14:15], v[2:3]
	v_fma_f64 v[28:29], s[14:15], v[0:1], -v[28:29]
	v_fmac_f64_e32 v[2:3], s[16:17], v[0:1]
	v_add_f64 v[0:1], v[6:7], v[28:29]
	v_add_f64 v[2:3], v[26:27], v[2:3]
	global_store_dwordx4 v[4:5], v[0:3], off offset:512
	global_load_dwordx4 v[0:3], v[24:25], off offset:768
	v_mul_f64 v[6:7], s[40:41], v[22:23]
	v_mul_f64 v[22:23], s[38:39], v[22:23]
	v_fma_f64 v[6:7], s[38:39], v[20:21], -v[6:7]
	v_fmac_f64_e32 v[22:23], s[40:41], v[20:21]
	v_mov_b32_e32 v26, s1
	v_add_co_u32_e32 v20, vcc, s0, v24
	v_addc_co_u32_e32 v21, vcc, v25, v26, vcc
	v_mov_b32_e32 v27, s3
	s_waitcnt vmcnt(0)
	v_mul_f64 v[24:25], s[16:17], v[2:3]
	v_mul_f64 v[2:3], s[14:15], v[2:3]
	v_fma_f64 v[24:25], s[14:15], v[0:1], -v[24:25]
	v_fmac_f64_e32 v[2:3], s[16:17], v[0:1]
	v_add_f64 v[0:1], v[6:7], v[24:25]
	v_add_f64 v[2:3], v[22:23], v[2:3]
	global_store_dwordx4 v[4:5], v[0:3], off offset:768
	global_load_dwordx4 v[0:3], v[20:21], off
	v_mul_f64 v[6:7], s[40:41], v[72:73]
	v_mul_f64 v[22:23], s[38:39], v[72:73]
	v_fma_f64 v[6:7], s[38:39], v[70:71], -v[6:7]
	v_fmac_f64_e32 v[22:23], s[40:41], v[70:71]
	v_add_co_u32_e32 v4, vcc, s2, v4
	v_addc_co_u32_e32 v5, vcc, v5, v27, vcc
	s_waitcnt vmcnt(0)
	v_mul_f64 v[24:25], s[16:17], v[2:3]
	v_mul_f64 v[2:3], s[14:15], v[2:3]
	v_fma_f64 v[24:25], s[14:15], v[0:1], -v[24:25]
	v_fmac_f64_e32 v[2:3], s[16:17], v[0:1]
	v_add_f64 v[0:1], v[6:7], v[24:25]
	v_add_f64 v[2:3], v[22:23], v[2:3]
	global_store_dwordx4 v[4:5], v[0:3], off
	global_load_dwordx4 v[0:3], v[20:21], off offset:256
	v_mul_f64 v[6:7], s[40:41], v[68:69]
	v_mul_f64 v[22:23], s[38:39], v[68:69]
	v_fma_f64 v[6:7], s[38:39], v[66:67], -v[6:7]
	v_fmac_f64_e32 v[22:23], s[40:41], v[66:67]
	s_waitcnt vmcnt(0)
	v_mul_f64 v[24:25], s[16:17], v[2:3]
	v_mul_f64 v[2:3], s[14:15], v[2:3]
	v_fma_f64 v[24:25], s[14:15], v[0:1], -v[24:25]
	v_fmac_f64_e32 v[2:3], s[16:17], v[0:1]
	v_add_f64 v[0:1], v[6:7], v[24:25]
	v_add_f64 v[2:3], v[22:23], v[2:3]
	global_store_dwordx4 v[4:5], v[0:3], off offset:256
	global_load_dwordx4 v[0:3], v[20:21], off offset:512
	v_mul_f64 v[6:7], s[40:41], v[56:57]
	v_mul_f64 v[22:23], s[38:39], v[56:57]
	v_fma_f64 v[6:7], s[38:39], v[54:55], -v[6:7]
	v_fmac_f64_e32 v[22:23], s[40:41], v[54:55]
	s_waitcnt vmcnt(0)
	v_mul_f64 v[24:25], s[16:17], v[2:3]
	v_mul_f64 v[2:3], s[14:15], v[2:3]
	v_fma_f64 v[24:25], s[14:15], v[0:1], -v[24:25]
	v_fmac_f64_e32 v[2:3], s[16:17], v[0:1]
	v_add_f64 v[0:1], v[6:7], v[24:25]
	v_add_f64 v[2:3], v[22:23], v[2:3]
	global_store_dwordx4 v[4:5], v[0:3], off offset:512
	global_load_dwordx4 v[0:3], v[20:21], off offset:768
	v_mul_f64 v[6:7], s[40:41], v[48:49]
	v_mul_f64 v[22:23], s[38:39], v[48:49]
	v_fma_f64 v[6:7], s[38:39], v[46:47], -v[6:7]
	v_fmac_f64_e32 v[22:23], s[40:41], v[46:47]
	v_add_co_u32_e32 v20, vcc, s0, v20
	v_addc_co_u32_e32 v21, vcc, v21, v26, vcc
	s_waitcnt vmcnt(0)
	v_mul_f64 v[24:25], s[16:17], v[2:3]
	v_mul_f64 v[2:3], s[14:15], v[2:3]
	v_fma_f64 v[24:25], s[14:15], v[0:1], -v[24:25]
	v_fmac_f64_e32 v[2:3], s[16:17], v[0:1]
	v_add_f64 v[0:1], v[6:7], v[24:25]
	v_add_f64 v[2:3], v[22:23], v[2:3]
	global_store_dwordx4 v[4:5], v[0:3], off offset:768
	global_load_dwordx4 v[0:3], v[20:21], off
	v_mul_f64 v[6:7], s[40:41], v[62:63]
	v_mul_f64 v[22:23], s[38:39], v[62:63]
	v_fma_f64 v[6:7], s[38:39], v[58:59], -v[6:7]
	v_fmac_f64_e32 v[22:23], s[40:41], v[58:59]
	v_add_co_u32_e32 v4, vcc, s2, v4
	v_addc_co_u32_e32 v5, vcc, v5, v27, vcc
	s_waitcnt vmcnt(0)
	v_mul_f64 v[24:25], s[16:17], v[2:3]
	v_mul_f64 v[2:3], s[14:15], v[2:3]
	v_fma_f64 v[24:25], s[14:15], v[0:1], -v[24:25]
	v_fmac_f64_e32 v[2:3], s[16:17], v[0:1]
	v_add_f64 v[0:1], v[6:7], v[24:25]
	v_add_f64 v[2:3], v[22:23], v[2:3]
	global_store_dwordx4 v[4:5], v[0:3], off
	global_load_dwordx4 v[0:3], v[20:21], off offset:256
	v_mul_f64 v[6:7], s[40:41], v[52:53]
	v_mul_f64 v[22:23], s[38:39], v[52:53]
	v_fma_f64 v[6:7], s[38:39], v[50:51], -v[6:7]
	v_fmac_f64_e32 v[22:23], s[40:41], v[50:51]
	s_waitcnt vmcnt(0)
	v_mul_f64 v[24:25], s[16:17], v[2:3]
	v_mul_f64 v[2:3], s[14:15], v[2:3]
	v_fma_f64 v[24:25], s[14:15], v[0:1], -v[24:25]
	v_fmac_f64_e32 v[2:3], s[16:17], v[0:1]
	v_add_f64 v[0:1], v[6:7], v[24:25]
	v_add_f64 v[2:3], v[22:23], v[2:3]
	global_store_dwordx4 v[4:5], v[0:3], off offset:256
	global_load_dwordx4 v[0:3], v[20:21], off offset:512
	v_mul_f64 v[6:7], s[40:41], v[44:45]
	v_mul_f64 v[22:23], s[38:39], v[44:45]
	v_fma_f64 v[6:7], s[38:39], v[42:43], -v[6:7]
	v_fmac_f64_e32 v[22:23], s[40:41], v[42:43]
	s_waitcnt vmcnt(0)
	v_mul_f64 v[24:25], s[16:17], v[2:3]
	v_mul_f64 v[2:3], s[14:15], v[2:3]
	v_fma_f64 v[24:25], s[14:15], v[0:1], -v[24:25]
	v_fmac_f64_e32 v[2:3], s[16:17], v[0:1]
	v_add_f64 v[0:1], v[6:7], v[24:25]
	v_add_f64 v[2:3], v[22:23], v[2:3]
	global_store_dwordx4 v[4:5], v[0:3], off offset:512
	global_load_dwordx4 v[0:3], v[20:21], off offset:768
	v_mul_f64 v[6:7], s[40:41], v[36:37]
	v_mul_f64 v[22:23], s[38:39], v[36:37]
	v_fma_f64 v[6:7], s[38:39], v[34:35], -v[6:7]
	v_fmac_f64_e32 v[22:23], s[40:41], v[34:35]
	v_add_co_u32_e32 v20, vcc, s0, v20
	v_addc_co_u32_e32 v21, vcc, v21, v26, vcc
	s_waitcnt vmcnt(0)
	v_mul_f64 v[24:25], s[16:17], v[2:3]
	v_mul_f64 v[2:3], s[14:15], v[2:3]
	v_fma_f64 v[24:25], s[14:15], v[0:1], -v[24:25]
	v_fmac_f64_e32 v[2:3], s[16:17], v[0:1]
	v_add_f64 v[0:1], v[6:7], v[24:25]
	v_add_f64 v[2:3], v[22:23], v[2:3]
	global_store_dwordx4 v[4:5], v[0:3], off offset:768
	global_load_dwordx4 v[0:3], v[20:21], off
	v_add_co_u32_e32 v24, vcc, s2, v4
	v_mul_f64 v[6:7], s[40:41], v[76:77]
	v_mul_f64 v[22:23], s[38:39], v[76:77]
	v_addc_co_u32_e32 v25, vcc, v5, v27, vcc
	v_fma_f64 v[6:7], s[38:39], v[74:75], -v[6:7]
	v_fmac_f64_e32 v[22:23], s[40:41], v[74:75]
	s_waitcnt vmcnt(0)
	v_mul_f64 v[4:5], s[16:17], v[2:3]
	v_mul_f64 v[2:3], s[14:15], v[2:3]
	v_fma_f64 v[4:5], s[14:15], v[0:1], -v[4:5]
	v_fmac_f64_e32 v[2:3], s[16:17], v[0:1]
	v_add_f64 v[0:1], v[6:7], v[4:5]
	v_add_f64 v[2:3], v[22:23], v[2:3]
	global_store_dwordx4 v[24:25], v[0:3], off
	global_load_dwordx4 v[0:3], v[20:21], off offset:256
	v_mul_f64 v[4:5], s[40:41], v[18:19]
	v_mul_f64 v[6:7], s[38:39], v[18:19]
	v_fma_f64 v[4:5], s[38:39], v[16:17], -v[4:5]
	v_fmac_f64_e32 v[6:7], s[40:41], v[16:17]
	s_waitcnt vmcnt(0)
	v_mul_f64 v[16:17], s[16:17], v[2:3]
	v_mul_f64 v[2:3], s[14:15], v[2:3]
	v_fma_f64 v[16:17], s[14:15], v[0:1], -v[16:17]
	v_fmac_f64_e32 v[2:3], s[16:17], v[0:1]
	v_add_f64 v[0:1], v[4:5], v[16:17]
	v_add_f64 v[2:3], v[6:7], v[2:3]
	global_store_dwordx4 v[24:25], v[0:3], off offset:256
	global_load_dwordx4 v[0:3], v[20:21], off offset:512
	v_mul_f64 v[4:5], s[40:41], v[14:15]
	v_mul_f64 v[6:7], s[38:39], v[14:15]
	v_fma_f64 v[4:5], s[38:39], v[12:13], -v[4:5]
	v_fmac_f64_e32 v[6:7], s[40:41], v[12:13]
	s_waitcnt vmcnt(0)
	v_mul_f64 v[12:13], s[16:17], v[2:3]
	v_mul_f64 v[2:3], s[14:15], v[2:3]
	v_fma_f64 v[12:13], s[14:15], v[0:1], -v[12:13]
	v_fmac_f64_e32 v[2:3], s[16:17], v[0:1]
	v_add_f64 v[0:1], v[4:5], v[12:13]
	v_add_f64 v[2:3], v[6:7], v[2:3]
	global_store_dwordx4 v[24:25], v[0:3], off offset:512
	global_load_dwordx4 v[4:7], v[20:21], off offset:768
	v_mul_f64 v[0:1], s[40:41], v[8:9]
	v_mul_f64 v[8:9], s[38:39], v[8:9]
	v_fma_f64 v[0:1], s[38:39], v[10:11], -v[0:1]
	v_fmac_f64_e32 v[8:9], s[40:41], v[10:11]
	v_add_co_u32_e32 v2, vcc, 0x300, v24
	v_addc_co_u32_e32 v3, vcc, 0, v25, vcc
	s_waitcnt vmcnt(0)
	v_mul_f64 v[10:11], s[16:17], v[6:7]
	v_mul_f64 v[6:7], s[14:15], v[6:7]
	v_fma_f64 v[10:11], s[14:15], v[4:5], -v[10:11]
	v_fmac_f64_e32 v[6:7], s[16:17], v[4:5]
	v_add_f64 v[0:1], v[0:1], v[10:11]
	v_add_f64 v[4:5], v[8:9], v[6:7]
	global_store_dwordx2 v[24:25], v[0:1], off offset:768
.LBB126_8:
	global_store_dwordx2 v[2:3], v[4:5], off offset:8
	s_endpgm
	.section	.rodata,"a",@progbits
	.p2align	6, 0x0
	.amdhsa_kernel _ZN12_GLOBAL__N_127rocblas_gemm_batched_kernelI19rocblas_complex_numIdELi16ELi16ELi64ELi64ELi4ELi64ELi4ELi4ELi64ELc84ELc67EKS2_S3_S2_EEvlllT_PT11_llS6_llS4_PT12_llPT13_lli
		.amdhsa_group_segment_fixed_size 8192
		.amdhsa_private_segment_fixed_size 0
		.amdhsa_kernarg_size 156
		.amdhsa_user_sgpr_count 6
		.amdhsa_user_sgpr_private_segment_buffer 1
		.amdhsa_user_sgpr_dispatch_ptr 0
		.amdhsa_user_sgpr_queue_ptr 0
		.amdhsa_user_sgpr_kernarg_segment_ptr 1
		.amdhsa_user_sgpr_dispatch_id 0
		.amdhsa_user_sgpr_flat_scratch_init 0
		.amdhsa_user_sgpr_kernarg_preload_length 0
		.amdhsa_user_sgpr_kernarg_preload_offset 0
		.amdhsa_user_sgpr_private_segment_size 0
		.amdhsa_uses_dynamic_stack 0
		.amdhsa_system_sgpr_private_segment_wavefront_offset 0
		.amdhsa_system_sgpr_workgroup_id_x 1
		.amdhsa_system_sgpr_workgroup_id_y 1
		.amdhsa_system_sgpr_workgroup_id_z 1
		.amdhsa_system_sgpr_workgroup_info 0
		.amdhsa_system_vgpr_workitem_id 1
		.amdhsa_next_free_vgpr 136
		.amdhsa_next_free_sgpr 52
		.amdhsa_accum_offset 136
		.amdhsa_reserve_vcc 1
		.amdhsa_reserve_flat_scratch 0
		.amdhsa_float_round_mode_32 0
		.amdhsa_float_round_mode_16_64 0
		.amdhsa_float_denorm_mode_32 3
		.amdhsa_float_denorm_mode_16_64 3
		.amdhsa_dx10_clamp 1
		.amdhsa_ieee_mode 1
		.amdhsa_fp16_overflow 0
		.amdhsa_tg_split 0
		.amdhsa_exception_fp_ieee_invalid_op 0
		.amdhsa_exception_fp_denorm_src 0
		.amdhsa_exception_fp_ieee_div_zero 0
		.amdhsa_exception_fp_ieee_overflow 0
		.amdhsa_exception_fp_ieee_underflow 0
		.amdhsa_exception_fp_ieee_inexact 0
		.amdhsa_exception_int_div_zero 0
	.end_amdhsa_kernel
	.section	.text._ZN12_GLOBAL__N_127rocblas_gemm_batched_kernelI19rocblas_complex_numIdELi16ELi16ELi64ELi64ELi4ELi64ELi4ELi4ELi64ELc84ELc67EKS2_S3_S2_EEvlllT_PT11_llS6_llS4_PT12_llPT13_lli,"axG",@progbits,_ZN12_GLOBAL__N_127rocblas_gemm_batched_kernelI19rocblas_complex_numIdELi16ELi16ELi64ELi64ELi4ELi64ELi4ELi4ELi64ELc84ELc67EKS2_S3_S2_EEvlllT_PT11_llS6_llS4_PT12_llPT13_lli,comdat
.Lfunc_end126:
	.size	_ZN12_GLOBAL__N_127rocblas_gemm_batched_kernelI19rocblas_complex_numIdELi16ELi16ELi64ELi64ELi4ELi64ELi4ELi4ELi64ELc84ELc67EKS2_S3_S2_EEvlllT_PT11_llS6_llS4_PT12_llPT13_lli, .Lfunc_end126-_ZN12_GLOBAL__N_127rocblas_gemm_batched_kernelI19rocblas_complex_numIdELi16ELi16ELi64ELi64ELi4ELi64ELi4ELi4ELi64ELc84ELc67EKS2_S3_S2_EEvlllT_PT11_llS6_llS4_PT12_llPT13_lli
                                        ; -- End function
	.section	.AMDGPU.csdata,"",@progbits
; Kernel info:
; codeLenInByte = 6716
; NumSgprs: 56
; NumVgprs: 136
; NumAgprs: 0
; TotalNumVgprs: 136
; ScratchSize: 0
; MemoryBound: 0
; FloatMode: 240
; IeeeMode: 1
; LDSByteSize: 8192 bytes/workgroup (compile time only)
; SGPRBlocks: 6
; VGPRBlocks: 16
; NumSGPRsForWavesPerEU: 56
; NumVGPRsForWavesPerEU: 136
; AccumOffset: 136
; Occupancy: 3
; WaveLimiterHint : 1
; COMPUTE_PGM_RSRC2:SCRATCH_EN: 0
; COMPUTE_PGM_RSRC2:USER_SGPR: 6
; COMPUTE_PGM_RSRC2:TRAP_HANDLER: 0
; COMPUTE_PGM_RSRC2:TGID_X_EN: 1
; COMPUTE_PGM_RSRC2:TGID_Y_EN: 1
; COMPUTE_PGM_RSRC2:TGID_Z_EN: 1
; COMPUTE_PGM_RSRC2:TIDIG_COMP_CNT: 1
; COMPUTE_PGM_RSRC3_GFX90A:ACCUM_OFFSET: 33
; COMPUTE_PGM_RSRC3_GFX90A:TG_SPLIT: 0
	.section	.text._ZN12_GLOBAL__N_127rocblas_gemm_batched_kernelI19rocblas_complex_numIdELi16ELi16ELi32ELi32ELi8ELi32ELi8ELi8ELi32ELc78ELc78EKS2_S3_S2_EEvlllT_PT11_llS6_llS4_PT12_llPT13_lli,"axG",@progbits,_ZN12_GLOBAL__N_127rocblas_gemm_batched_kernelI19rocblas_complex_numIdELi16ELi16ELi32ELi32ELi8ELi32ELi8ELi8ELi32ELc78ELc78EKS2_S3_S2_EEvlllT_PT11_llS6_llS4_PT12_llPT13_lli,comdat
	.globl	_ZN12_GLOBAL__N_127rocblas_gemm_batched_kernelI19rocblas_complex_numIdELi16ELi16ELi32ELi32ELi8ELi32ELi8ELi8ELi32ELc78ELc78EKS2_S3_S2_EEvlllT_PT11_llS6_llS4_PT12_llPT13_lli ; -- Begin function _ZN12_GLOBAL__N_127rocblas_gemm_batched_kernelI19rocblas_complex_numIdELi16ELi16ELi32ELi32ELi8ELi32ELi8ELi8ELi32ELc78ELc78EKS2_S3_S2_EEvlllT_PT11_llS6_llS4_PT12_llPT13_lli
	.p2align	8
	.type	_ZN12_GLOBAL__N_127rocblas_gemm_batched_kernelI19rocblas_complex_numIdELi16ELi16ELi32ELi32ELi8ELi32ELi8ELi8ELi32ELc78ELc78EKS2_S3_S2_EEvlllT_PT11_llS6_llS4_PT12_llPT13_lli,@function
_ZN12_GLOBAL__N_127rocblas_gemm_batched_kernelI19rocblas_complex_numIdELi16ELi16ELi32ELi32ELi8ELi32ELi8ELi8ELi32ELc78ELc78EKS2_S3_S2_EEvlllT_PT11_llS6_llS4_PT12_llPT13_lli: ; @_ZN12_GLOBAL__N_127rocblas_gemm_batched_kernelI19rocblas_complex_numIdELi16ELi16ELi32ELi32ELi8ELi32ELi8ELi8ELi32ELc78ELc78EKS2_S3_S2_EEvlllT_PT11_llS6_llS4_PT12_llPT13_lli
; %bb.0:
	s_load_dwordx16 s[36:51], s[4:5], 0x10
	s_load_dwordx16 s[12:27], s[4:5], 0x50
	s_mov_b32 s2, s7
	s_ashr_i32 s7, s6, 31
	s_ashr_i32 s3, s2, 31
	s_waitcnt lgkmcnt(0)
	v_cmp_lt_i64_e64 s[10:11], s[36:37], 1
	v_bfe_u32 v27, v0, 10, 10
	v_and_b32_e32 v26, 0x3ff, v0
	s_lshl_b64 s[0:1], s[6:7], 5
	s_lshl_b64 s[2:3], s[2:3], 5
	s_mov_b64 s[6:7], 0
	s_and_b64 vcc, exec, s[10:11]
	s_cbranch_vccnz .LBB127_3
; %bb.1:
	v_lshl_add_u32 v0, v27, 4, v26
	v_lshrrev_b32_e32 v1, 3, v0
	v_mov_b32_e32 v2, s3
	v_add_co_u32_e32 v6, vcc, s2, v1
	v_addc_co_u32_e32 v7, vcc, 0, v2, vcc
	v_and_b32_e32 v2, 7, v26
	v_and_b32_e32 v4, 31, v0
	v_lshrrev_b32_e32 v3, 5, v0
	v_lshlrev_b32_e32 v0, 4, v4
	v_lshlrev_b32_e32 v8, 4, v2
	v_lshl_or_b32 v28, v3, 9, v0
	v_lshl_or_b32 v0, v1, 7, v8
	v_add_u32_e32 v29, 0x1000, v0
	v_mov_b32_e32 v0, 0x1000
	v_lshl_add_u32 v31, v27, 7, v0
	v_pk_mov_b32 v[0:1], s[0:1], s[0:1] op_sel:[0,1]
	v_mad_u64_u32 v[0:1], s[28:29], v3, s44, v[0:1]
	s_mul_i32 s9, s47, s8
	s_mul_hi_u32 s10, s46, s8
	v_mov_b32_e32 v2, v1
	s_add_i32 s11, s10, s9
	s_mul_i32 s10, s46, s8
	v_mad_u64_u32 v[2:3], s[28:29], v3, s45, v[2:3]
	s_lshl_b64 s[10:11], s[10:11], 4
	v_mov_b32_e32 v1, v2
	v_add_co_u32_e32 v0, vcc, v0, v4
	v_addc_co_u32_e32 v1, vcc, 0, v1, vcc
	s_add_u32 s9, s42, s10
	v_lshlrev_b64 v[0:1], 4, v[0:1]
	s_addc_u32 s10, s43, s11
	v_mov_b32_e32 v2, s10
	v_add_co_u32_e32 v4, vcc, s9, v0
	v_addc_co_u32_e32 v5, vcc, v2, v1, vcc
	v_mul_lo_u32 v2, s51, v6
	v_mul_lo_u32 v3, s50, v7
	v_mad_u64_u32 v[0:1], s[28:29], s50, v6, 0
	s_mul_i32 s9, s13, s8
	s_mul_hi_u32 s13, s12, s8
	v_add3_u32 v1, v1, v3, v2
	s_add_i32 s13, s13, s9
	s_mul_i32 s12, s12, s8
	v_lshlrev_b64 v[0:1], 4, v[0:1]
	s_lshl_b64 s[12:13], s[12:13], 4
	v_mov_b32_e32 v2, s13
	v_add_co_u32_e32 v0, vcc, s12, v0
	v_addc_co_u32_e32 v1, vcc, v1, v2, vcc
	v_add_co_u32_e32 v0, vcc, v0, v8
	v_addc_co_u32_e32 v1, vcc, 0, v1, vcc
	s_lshl_b64 s[10:11], s[44:45], 7
	v_mov_b32_e32 v2, s49
	v_add_co_u32_e32 v6, vcc, s48, v0
	v_lshlrev_b32_e32 v30, 4, v26
	v_addc_co_u32_e32 v7, vcc, v2, v1, vcc
	v_pk_mov_b32 v[10:11], 0, 0
	v_mov_b32_e32 v32, s11
	v_pk_mov_b32 v[8:9], s[36:37], s[36:37] op_sel:[0,1]
	v_pk_mov_b32 v[12:13], 0, 0
	v_pk_mov_b32 v[20:21], 0, 0
	;; [unrolled: 1-line block ×7, first 2 shown]
.LBB127_2:                              ; =>This Inner Loop Header: Depth=1
	global_load_dwordx4 v[0:3], v[4:5], off
	v_add_co_u32_e32 v4, vcc, s10, v4
	v_addc_co_u32_e32 v5, vcc, v5, v32, vcc
	s_add_u32 s6, s6, 8
	s_addc_u32 s7, s7, 0
	s_waitcnt vmcnt(0)
	ds_write2_b64 v28, v[0:1], v[2:3] offset1:1
	global_load_dwordx4 v[0:3], v[6:7], off
	v_add_co_u32_e32 v6, vcc, 0x80, v6
	v_addc_co_u32_e32 v7, vcc, 0, v7, vcc
	v_cmp_lt_i64_e32 vcc, s[6:7], v[8:9]
	s_and_b64 vcc, exec, vcc
	s_waitcnt vmcnt(0)
	ds_write2_b64 v29, v[0:1], v[2:3] offset1:1
	s_waitcnt lgkmcnt(0)
	s_barrier
	ds_read_b128 v[34:37], v31
	ds_read_b128 v[38:41], v31 offset:16
	ds_read_b128 v[42:45], v31 offset:32
	ds_read_b128 v[0:3], v31 offset:48
	ds_read_b128 v[46:49], v30
	s_waitcnt lgkmcnt(0)
	v_mul_f64 v[50:51], v[36:37], v[48:49]
	v_mul_f64 v[52:53], v[34:35], v[48:49]
	v_fma_f64 v[50:51], v[34:35], v[46:47], -v[50:51]
	v_fmac_f64_e32 v[52:53], v[36:37], v[46:47]
	v_add_f64 v[50:51], v[22:23], v[50:51]
	v_add_f64 v[52:53], v[24:25], v[52:53]
	ds_read_b128 v[22:25], v30 offset:256
	s_waitcnt lgkmcnt(0)
	v_mul_f64 v[54:55], v[36:37], v[24:25]
	v_fma_f64 v[54:55], v[34:35], v[22:23], -v[54:55]
	v_mul_f64 v[34:35], v[34:35], v[24:25]
	v_fmac_f64_e32 v[34:35], v[36:37], v[22:23]
	v_add_f64 v[36:37], v[14:15], v[54:55]
	v_add_f64 v[34:35], v[16:17], v[34:35]
	ds_read_b128 v[14:17], v31 offset:2048
	s_waitcnt lgkmcnt(0)
	v_mul_f64 v[54:55], v[16:17], v[48:49]
	v_fma_f64 v[54:55], v[14:15], v[46:47], -v[54:55]
	v_mul_f64 v[48:49], v[14:15], v[48:49]
	v_fmac_f64_e32 v[48:49], v[16:17], v[46:47]
	v_add_f64 v[46:47], v[18:19], v[54:55]
	v_mul_f64 v[18:19], v[16:17], v[24:25]
	v_fma_f64 v[18:19], v[14:15], v[22:23], -v[18:19]
	v_mul_f64 v[14:15], v[14:15], v[24:25]
	v_fmac_f64_e32 v[14:15], v[16:17], v[22:23]
	v_add_f64 v[22:23], v[12:13], v[18:19]
	v_add_f64 v[24:25], v[10:11], v[14:15]
	ds_read_b128 v[10:13], v30 offset:512
	v_add_f64 v[48:49], v[20:21], v[48:49]
	s_waitcnt lgkmcnt(0)
	v_mul_f64 v[14:15], v[40:41], v[12:13]
	v_mul_f64 v[16:17], v[38:39], v[12:13]
	v_fma_f64 v[14:15], v[38:39], v[10:11], -v[14:15]
	v_fmac_f64_e32 v[16:17], v[40:41], v[10:11]
	v_add_f64 v[50:51], v[50:51], v[14:15]
	v_add_f64 v[52:53], v[52:53], v[16:17]
	ds_read_b128 v[14:17], v30 offset:768
	s_waitcnt lgkmcnt(0)
	v_mul_f64 v[18:19], v[40:41], v[16:17]
	v_mul_f64 v[20:21], v[38:39], v[16:17]
	v_fma_f64 v[18:19], v[38:39], v[14:15], -v[18:19]
	v_fmac_f64_e32 v[20:21], v[40:41], v[14:15]
	v_add_f64 v[36:37], v[36:37], v[18:19]
	v_add_f64 v[34:35], v[34:35], v[20:21]
	ds_read_b128 v[18:21], v31 offset:2064
	s_waitcnt lgkmcnt(0)
	v_mul_f64 v[38:39], v[20:21], v[12:13]
	v_mul_f64 v[12:13], v[18:19], v[12:13]
	v_fmac_f64_e32 v[12:13], v[20:21], v[10:11]
	v_fma_f64 v[38:39], v[18:19], v[10:11], -v[38:39]
	v_add_f64 v[40:41], v[48:49], v[12:13]
	v_mul_f64 v[10:11], v[20:21], v[16:17]
	v_mul_f64 v[12:13], v[18:19], v[16:17]
	v_fma_f64 v[10:11], v[18:19], v[14:15], -v[10:11]
	v_fmac_f64_e32 v[12:13], v[20:21], v[14:15]
	v_add_f64 v[22:23], v[22:23], v[10:11]
	v_add_f64 v[24:25], v[24:25], v[12:13]
	ds_read_b128 v[10:13], v30 offset:1024
	v_add_f64 v[38:39], v[46:47], v[38:39]
	s_waitcnt lgkmcnt(0)
	v_mul_f64 v[14:15], v[44:45], v[12:13]
	v_mul_f64 v[16:17], v[42:43], v[12:13]
	v_fma_f64 v[14:15], v[42:43], v[10:11], -v[14:15]
	v_fmac_f64_e32 v[16:17], v[44:45], v[10:11]
	v_add_f64 v[46:47], v[50:51], v[14:15]
	v_add_f64 v[48:49], v[52:53], v[16:17]
	ds_read_b128 v[14:17], v30 offset:1280
	s_waitcnt lgkmcnt(0)
	v_mul_f64 v[18:19], v[44:45], v[16:17]
	v_mul_f64 v[20:21], v[42:43], v[16:17]
	v_fma_f64 v[18:19], v[42:43], v[14:15], -v[18:19]
	v_fmac_f64_e32 v[20:21], v[44:45], v[14:15]
	v_add_f64 v[36:37], v[36:37], v[18:19]
	v_add_f64 v[34:35], v[34:35], v[20:21]
	ds_read_b128 v[18:21], v31 offset:2080
	s_waitcnt lgkmcnt(0)
	v_mul_f64 v[42:43], v[20:21], v[12:13]
	v_mul_f64 v[12:13], v[18:19], v[12:13]
	v_fmac_f64_e32 v[12:13], v[20:21], v[10:11]
	v_fma_f64 v[42:43], v[18:19], v[10:11], -v[42:43]
	v_add_f64 v[40:41], v[40:41], v[12:13]
	v_mul_f64 v[10:11], v[20:21], v[16:17]
	v_mul_f64 v[12:13], v[18:19], v[16:17]
	v_fma_f64 v[10:11], v[18:19], v[14:15], -v[10:11]
	v_fmac_f64_e32 v[12:13], v[20:21], v[14:15]
	v_add_f64 v[18:19], v[22:23], v[10:11]
	v_add_f64 v[20:21], v[24:25], v[12:13]
	ds_read_b128 v[10:13], v30 offset:1536
	v_add_f64 v[38:39], v[38:39], v[42:43]
	s_waitcnt lgkmcnt(0)
	v_mul_f64 v[14:15], v[2:3], v[12:13]
	v_mul_f64 v[16:17], v[0:1], v[12:13]
	v_fma_f64 v[14:15], v[0:1], v[10:11], -v[14:15]
	v_fmac_f64_e32 v[16:17], v[2:3], v[10:11]
	v_add_f64 v[22:23], v[46:47], v[14:15]
	v_add_f64 v[24:25], v[48:49], v[16:17]
	ds_read_b128 v[14:17], v30 offset:1792
	s_waitcnt lgkmcnt(0)
	v_mul_f64 v[42:43], v[2:3], v[16:17]
	v_fma_f64 v[42:43], v[0:1], v[14:15], -v[42:43]
	v_mul_f64 v[0:1], v[0:1], v[16:17]
	v_fmac_f64_e32 v[0:1], v[2:3], v[14:15]
	v_add_f64 v[34:35], v[34:35], v[0:1]
	ds_read_b128 v[0:3], v31 offset:2096
	v_add_f64 v[36:37], v[36:37], v[42:43]
	s_waitcnt lgkmcnt(0)
	v_mul_f64 v[42:43], v[2:3], v[12:13]
	v_mul_f64 v[12:13], v[0:1], v[12:13]
	v_fma_f64 v[42:43], v[0:1], v[10:11], -v[42:43]
	v_fmac_f64_e32 v[12:13], v[2:3], v[10:11]
	v_mul_f64 v[10:11], v[2:3], v[16:17]
	v_fma_f64 v[10:11], v[0:1], v[14:15], -v[10:11]
	v_mul_f64 v[0:1], v[0:1], v[16:17]
	v_fmac_f64_e32 v[0:1], v[2:3], v[14:15]
	v_add_f64 v[40:41], v[40:41], v[12:13]
	v_add_f64 v[18:19], v[18:19], v[10:11]
	v_add_f64 v[20:21], v[20:21], v[0:1]
	ds_read_b128 v[0:3], v31 offset:64
	ds_read_b128 v[10:13], v30 offset:2048
	v_add_f64 v[38:39], v[38:39], v[42:43]
	s_waitcnt lgkmcnt(0)
	v_mul_f64 v[14:15], v[2:3], v[12:13]
	v_mul_f64 v[16:17], v[0:1], v[12:13]
	v_fma_f64 v[14:15], v[0:1], v[10:11], -v[14:15]
	v_fmac_f64_e32 v[16:17], v[2:3], v[10:11]
	v_add_f64 v[22:23], v[22:23], v[14:15]
	v_add_f64 v[24:25], v[24:25], v[16:17]
	ds_read_b128 v[14:17], v30 offset:2304
	s_waitcnt lgkmcnt(0)
	v_mul_f64 v[42:43], v[2:3], v[16:17]
	v_fma_f64 v[42:43], v[0:1], v[14:15], -v[42:43]
	v_mul_f64 v[0:1], v[0:1], v[16:17]
	v_fmac_f64_e32 v[0:1], v[2:3], v[14:15]
	v_add_f64 v[34:35], v[34:35], v[0:1]
	ds_read_b128 v[0:3], v31 offset:2112
	v_add_f64 v[36:37], v[36:37], v[42:43]
	s_waitcnt lgkmcnt(0)
	v_mul_f64 v[42:43], v[2:3], v[12:13]
	v_mul_f64 v[12:13], v[0:1], v[12:13]
	v_fma_f64 v[42:43], v[0:1], v[10:11], -v[42:43]
	v_fmac_f64_e32 v[12:13], v[2:3], v[10:11]
	v_mul_f64 v[10:11], v[2:3], v[16:17]
	v_fma_f64 v[10:11], v[0:1], v[14:15], -v[10:11]
	v_mul_f64 v[0:1], v[0:1], v[16:17]
	v_fmac_f64_e32 v[0:1], v[2:3], v[14:15]
	v_add_f64 v[40:41], v[40:41], v[12:13]
	v_add_f64 v[18:19], v[18:19], v[10:11]
	v_add_f64 v[20:21], v[20:21], v[0:1]
	ds_read_b128 v[0:3], v31 offset:80
	;; [unrolled: 31-line block ×4, first 2 shown]
	ds_read_b128 v[10:13], v30 offset:3584
	v_add_f64 v[38:39], v[38:39], v[34:35]
	ds_read_b128 v[34:37], v30 offset:3840
	s_waitcnt lgkmcnt(1)
	v_mul_f64 v[14:15], v[2:3], v[12:13]
	v_fma_f64 v[14:15], v[0:1], v[10:11], -v[14:15]
	v_add_f64 v[22:23], v[22:23], v[14:15]
	s_waitcnt lgkmcnt(0)
	v_mul_f64 v[14:15], v[2:3], v[36:37]
	v_mul_f64 v[16:17], v[0:1], v[12:13]
	v_fma_f64 v[14:15], v[0:1], v[34:35], -v[14:15]
	v_mul_f64 v[0:1], v[0:1], v[36:37]
	v_fmac_f64_e32 v[16:17], v[2:3], v[10:11]
	v_fmac_f64_e32 v[0:1], v[2:3], v[34:35]
	v_add_f64 v[24:25], v[24:25], v[16:17]
	v_add_f64 v[16:17], v[44:45], v[0:1]
	ds_read_b128 v[0:3], v31 offset:2160
	v_add_f64 v[14:15], v[42:43], v[14:15]
	s_waitcnt lgkmcnt(0)
	s_barrier
	v_mul_f64 v[18:19], v[2:3], v[12:13]
	v_mul_f64 v[12:13], v[0:1], v[12:13]
	v_fma_f64 v[18:19], v[0:1], v[10:11], -v[18:19]
	v_fmac_f64_e32 v[12:13], v[2:3], v[10:11]
	v_mul_f64 v[10:11], v[2:3], v[36:37]
	v_fma_f64 v[10:11], v[0:1], v[34:35], -v[10:11]
	v_mul_f64 v[0:1], v[0:1], v[36:37]
	v_fmac_f64_e32 v[0:1], v[2:3], v[34:35]
	v_add_f64 v[18:19], v[38:39], v[18:19]
	v_add_f64 v[20:21], v[40:41], v[12:13]
	;; [unrolled: 1-line block ×4, first 2 shown]
	s_cbranch_vccnz .LBB127_2
	s_branch .LBB127_4
.LBB127_3:
	v_pk_mov_b32 v[22:23], 0, 0
	v_pk_mov_b32 v[24:25], 0, 0
	;; [unrolled: 1-line block ×8, first 2 shown]
.LBB127_4:
	s_load_dwordx2 s[4:5], s[4:5], 0x90
	v_mov_b32_e32 v0, s3
	v_add_co_u32_e32 v6, vcc, s2, v27
	v_addc_co_u32_e32 v7, vcc, 0, v0, vcc
	s_waitcnt lgkmcnt(0)
	s_mul_i32 s3, s8, s5
	s_mul_hi_u32 s5, s8, s4
	s_mul_i32 s4, s8, s4
	s_add_i32 s5, s5, s3
	s_lshl_b64 s[4:5], s[4:5], 4
	s_add_u32 s4, s24, s4
	v_cmp_neq_f64_e64 s[6:7], s[14:15], 0
	v_cmp_neq_f64_e64 s[10:11], s[16:17], 0
	v_mov_b32_e32 v1, s1
	v_add_co_u32_e32 v0, vcc, s0, v26
	s_addc_u32 s5, s25, s5
	s_or_b64 s[6:7], s[6:7], s[10:11]
	v_addc_co_u32_e32 v1, vcc, 0, v1, vcc
	s_mov_b64 s[2:3], 0
	s_and_b64 vcc, exec, s[6:7]
	s_cbranch_vccnz .LBB127_6
; %bb.5:
	v_mul_lo_u32 v4, v7, s26
	v_mul_lo_u32 v5, v6, s27
	v_mad_u64_u32 v[2:3], s[0:1], v6, s26, 0
	v_add3_u32 v3, v3, v5, v4
	v_lshlrev_b64 v[2:3], 4, v[2:3]
	v_mov_b32_e32 v4, s5
	v_add_co_u32_e32 v26, vcc, s4, v2
	v_addc_co_u32_e32 v27, vcc, v4, v3, vcc
	v_lshlrev_b64 v[8:9], 4, v[0:1]
	v_mul_f64 v[2:3], s[40:41], v[24:25]
	v_mul_f64 v[4:5], s[38:39], v[24:25]
	v_add_co_u32_e32 v8, vcc, v26, v8
	v_fma_f64 v[2:3], s[38:39], v[22:23], -v[2:3]
	v_fmac_f64_e32 v[4:5], s[40:41], v[22:23]
	v_addc_co_u32_e32 v9, vcc, v27, v9, vcc
	global_store_dwordx4 v[8:9], v[2:5], off
	s_lshl_b64 s[0:1], s[26:27], 8
	v_mul_f64 v[2:3], s[40:41], v[16:17]
	v_mul_f64 v[4:5], s[38:39], v[16:17]
	v_fma_f64 v[2:3], s[38:39], v[14:15], -v[2:3]
	v_fmac_f64_e32 v[4:5], s[40:41], v[14:15]
	global_store_dwordx4 v[8:9], v[2:5], off offset:256
	v_mov_b32_e32 v26, s1
	v_mul_f64 v[2:3], s[40:41], v[20:21]
	v_mul_f64 v[4:5], s[38:39], v[20:21]
	v_add_co_u32_e32 v8, vcc, s0, v8
	v_fma_f64 v[2:3], s[38:39], v[18:19], -v[2:3]
	v_fmac_f64_e32 v[4:5], s[40:41], v[18:19]
	v_addc_co_u32_e32 v9, vcc, v9, v26, vcc
	global_store_dwordx4 v[8:9], v[2:5], off
	s_nop 0
	v_mul_f64 v[2:3], s[40:41], v[10:11]
	v_fma_f64 v[26:27], s[38:39], v[12:13], -v[2:3]
	v_mul_f64 v[4:5], s[38:39], v[10:11]
	v_add_co_u32_e32 v2, vcc, 0x100, v8
	v_fmac_f64_e32 v[4:5], s[40:41], v[12:13]
	v_addc_co_u32_e32 v3, vcc, 0, v9, vcc
	global_store_dwordx2 v[8:9], v[26:27], off offset:256
	s_andn2_b64 vcc, exec, s[2:3]
	s_cbranch_vccz .LBB127_7
	s_branch .LBB127_8
.LBB127_6:
                                        ; implicit-def: $vgpr4_vgpr5
                                        ; implicit-def: $vgpr2_vgpr3
.LBB127_7:
	s_mul_i32 s0, s8, s23
	s_mul_hi_u32 s1, s8, s22
	s_add_i32 s1, s1, s0
	s_mul_i32 s0, s8, s22
	s_lshl_b64 s[0:1], s[0:1], 4
	s_add_u32 s2, s18, s0
	s_addc_u32 s3, s19, s1
	v_mul_lo_u32 v4, v7, s20
	v_mul_lo_u32 v5, v6, s21
	v_mad_u64_u32 v[2:3], s[0:1], v6, s20, 0
	v_add3_u32 v3, v3, v5, v4
	v_lshlrev_b64 v[2:3], 4, v[2:3]
	v_mov_b32_e32 v4, s3
	v_add_co_u32_e32 v2, vcc, s2, v2
	v_addc_co_u32_e32 v3, vcc, v4, v3, vcc
	v_lshlrev_b64 v[4:5], 4, v[0:1]
	v_add_co_u32_e32 v8, vcc, v2, v4
	v_addc_co_u32_e32 v9, vcc, v3, v5, vcc
	global_load_dwordx4 v[0:3], v[8:9], off
	v_mul_lo_u32 v28, v7, s26
	v_mul_lo_u32 v29, v6, s27
	v_mad_u64_u32 v[6:7], s[0:1], v6, s26, 0
	v_add3_u32 v7, v7, v29, v28
	v_lshlrev_b64 v[6:7], 4, v[6:7]
	v_mov_b32_e32 v30, s5
	v_add_co_u32_e32 v6, vcc, s4, v6
	v_addc_co_u32_e32 v7, vcc, v30, v7, vcc
	v_add_co_u32_e32 v4, vcc, v6, v4
	v_mul_f64 v[26:27], s[40:41], v[24:25]
	v_mul_f64 v[24:25], s[38:39], v[24:25]
	v_addc_co_u32_e32 v5, vcc, v7, v5, vcc
	v_fma_f64 v[26:27], s[38:39], v[22:23], -v[26:27]
	v_fmac_f64_e32 v[24:25], s[40:41], v[22:23]
	s_lshl_b64 s[0:1], s[20:21], 8
	s_waitcnt vmcnt(0)
	v_mul_f64 v[6:7], s[16:17], v[2:3]
	v_mul_f64 v[2:3], s[14:15], v[2:3]
	v_fma_f64 v[6:7], s[14:15], v[0:1], -v[6:7]
	v_fmac_f64_e32 v[2:3], s[16:17], v[0:1]
	v_add_f64 v[0:1], v[26:27], v[6:7]
	v_add_f64 v[2:3], v[24:25], v[2:3]
	global_store_dwordx4 v[4:5], v[0:3], off
	global_load_dwordx4 v[0:3], v[8:9], off offset:256
	v_mul_f64 v[6:7], s[40:41], v[16:17]
	v_mul_f64 v[16:17], s[38:39], v[16:17]
	v_fma_f64 v[6:7], s[38:39], v[14:15], -v[6:7]
	v_fmac_f64_e32 v[16:17], s[40:41], v[14:15]
	v_mov_b32_e32 v14, s1
	v_add_co_u32_e32 v8, vcc, s0, v8
	v_addc_co_u32_e32 v9, vcc, v9, v14, vcc
	s_lshl_b64 s[0:1], s[26:27], 8
	s_waitcnt vmcnt(0)
	v_mul_f64 v[14:15], s[16:17], v[2:3]
	v_mul_f64 v[2:3], s[14:15], v[2:3]
	v_fma_f64 v[14:15], s[14:15], v[0:1], -v[14:15]
	v_fmac_f64_e32 v[2:3], s[16:17], v[0:1]
	v_add_f64 v[0:1], v[6:7], v[14:15]
	v_add_f64 v[2:3], v[16:17], v[2:3]
	global_store_dwordx4 v[4:5], v[0:3], off offset:256
	global_load_dwordx4 v[0:3], v[8:9], off
	v_mov_b32_e32 v17, s1
	v_add_co_u32_e32 v16, vcc, s0, v4
	v_mul_f64 v[6:7], s[40:41], v[20:21]
	v_mul_f64 v[14:15], s[38:39], v[20:21]
	v_addc_co_u32_e32 v17, vcc, v5, v17, vcc
	v_fma_f64 v[6:7], s[38:39], v[18:19], -v[6:7]
	v_fmac_f64_e32 v[14:15], s[40:41], v[18:19]
	s_waitcnt vmcnt(0)
	v_mul_f64 v[4:5], s[16:17], v[2:3]
	v_mul_f64 v[2:3], s[14:15], v[2:3]
	v_fma_f64 v[4:5], s[14:15], v[0:1], -v[4:5]
	v_fmac_f64_e32 v[2:3], s[16:17], v[0:1]
	v_add_f64 v[0:1], v[6:7], v[4:5]
	v_add_f64 v[2:3], v[14:15], v[2:3]
	global_store_dwordx4 v[16:17], v[0:3], off
	global_load_dwordx4 v[4:7], v[8:9], off offset:256
	v_mul_f64 v[0:1], s[40:41], v[10:11]
	v_mul_f64 v[8:9], s[38:39], v[10:11]
	v_fma_f64 v[0:1], s[38:39], v[12:13], -v[0:1]
	v_fmac_f64_e32 v[8:9], s[40:41], v[12:13]
	v_add_co_u32_e32 v2, vcc, 0x100, v16
	v_addc_co_u32_e32 v3, vcc, 0, v17, vcc
	s_waitcnt vmcnt(0)
	v_mul_f64 v[10:11], s[16:17], v[6:7]
	v_mul_f64 v[6:7], s[14:15], v[6:7]
	v_fma_f64 v[10:11], s[14:15], v[4:5], -v[10:11]
	v_fmac_f64_e32 v[6:7], s[16:17], v[4:5]
	v_add_f64 v[0:1], v[0:1], v[10:11]
	v_add_f64 v[4:5], v[8:9], v[6:7]
	global_store_dwordx2 v[16:17], v[0:1], off offset:256
.LBB127_8:
	global_store_dwordx2 v[2:3], v[4:5], off offset:8
	s_endpgm
	.section	.rodata,"a",@progbits
	.p2align	6, 0x0
	.amdhsa_kernel _ZN12_GLOBAL__N_127rocblas_gemm_batched_kernelI19rocblas_complex_numIdELi16ELi16ELi32ELi32ELi8ELi32ELi8ELi8ELi32ELc78ELc78EKS2_S3_S2_EEvlllT_PT11_llS6_llS4_PT12_llPT13_lli
		.amdhsa_group_segment_fixed_size 8192
		.amdhsa_private_segment_fixed_size 0
		.amdhsa_kernarg_size 156
		.amdhsa_user_sgpr_count 6
		.amdhsa_user_sgpr_private_segment_buffer 1
		.amdhsa_user_sgpr_dispatch_ptr 0
		.amdhsa_user_sgpr_queue_ptr 0
		.amdhsa_user_sgpr_kernarg_segment_ptr 1
		.amdhsa_user_sgpr_dispatch_id 0
		.amdhsa_user_sgpr_flat_scratch_init 0
		.amdhsa_user_sgpr_kernarg_preload_length 0
		.amdhsa_user_sgpr_kernarg_preload_offset 0
		.amdhsa_user_sgpr_private_segment_size 0
		.amdhsa_uses_dynamic_stack 0
		.amdhsa_system_sgpr_private_segment_wavefront_offset 0
		.amdhsa_system_sgpr_workgroup_id_x 1
		.amdhsa_system_sgpr_workgroup_id_y 1
		.amdhsa_system_sgpr_workgroup_id_z 1
		.amdhsa_system_sgpr_workgroup_info 0
		.amdhsa_system_vgpr_workitem_id 1
		.amdhsa_next_free_vgpr 56
		.amdhsa_next_free_sgpr 52
		.amdhsa_accum_offset 56
		.amdhsa_reserve_vcc 1
		.amdhsa_reserve_flat_scratch 0
		.amdhsa_float_round_mode_32 0
		.amdhsa_float_round_mode_16_64 0
		.amdhsa_float_denorm_mode_32 3
		.amdhsa_float_denorm_mode_16_64 3
		.amdhsa_dx10_clamp 1
		.amdhsa_ieee_mode 1
		.amdhsa_fp16_overflow 0
		.amdhsa_tg_split 0
		.amdhsa_exception_fp_ieee_invalid_op 0
		.amdhsa_exception_fp_denorm_src 0
		.amdhsa_exception_fp_ieee_div_zero 0
		.amdhsa_exception_fp_ieee_overflow 0
		.amdhsa_exception_fp_ieee_underflow 0
		.amdhsa_exception_fp_ieee_inexact 0
		.amdhsa_exception_int_div_zero 0
	.end_amdhsa_kernel
	.section	.text._ZN12_GLOBAL__N_127rocblas_gemm_batched_kernelI19rocblas_complex_numIdELi16ELi16ELi32ELi32ELi8ELi32ELi8ELi8ELi32ELc78ELc78EKS2_S3_S2_EEvlllT_PT11_llS6_llS4_PT12_llPT13_lli,"axG",@progbits,_ZN12_GLOBAL__N_127rocblas_gemm_batched_kernelI19rocblas_complex_numIdELi16ELi16ELi32ELi32ELi8ELi32ELi8ELi8ELi32ELc78ELc78EKS2_S3_S2_EEvlllT_PT11_llS6_llS4_PT12_llPT13_lli,comdat
.Lfunc_end127:
	.size	_ZN12_GLOBAL__N_127rocblas_gemm_batched_kernelI19rocblas_complex_numIdELi16ELi16ELi32ELi32ELi8ELi32ELi8ELi8ELi32ELc78ELc78EKS2_S3_S2_EEvlllT_PT11_llS6_llS4_PT12_llPT13_lli, .Lfunc_end127-_ZN12_GLOBAL__N_127rocblas_gemm_batched_kernelI19rocblas_complex_numIdELi16ELi16ELi32ELi32ELi8ELi32ELi8ELi8ELi32ELc78ELc78EKS2_S3_S2_EEvlllT_PT11_llS6_llS4_PT12_llPT13_lli
                                        ; -- End function
	.section	.AMDGPU.csdata,"",@progbits
; Kernel info:
; codeLenInByte = 3276
; NumSgprs: 56
; NumVgprs: 56
; NumAgprs: 0
; TotalNumVgprs: 56
; ScratchSize: 0
; MemoryBound: 0
; FloatMode: 240
; IeeeMode: 1
; LDSByteSize: 8192 bytes/workgroup (compile time only)
; SGPRBlocks: 6
; VGPRBlocks: 6
; NumSGPRsForWavesPerEU: 56
; NumVGPRsForWavesPerEU: 56
; AccumOffset: 56
; Occupancy: 8
; WaveLimiterHint : 1
; COMPUTE_PGM_RSRC2:SCRATCH_EN: 0
; COMPUTE_PGM_RSRC2:USER_SGPR: 6
; COMPUTE_PGM_RSRC2:TRAP_HANDLER: 0
; COMPUTE_PGM_RSRC2:TGID_X_EN: 1
; COMPUTE_PGM_RSRC2:TGID_Y_EN: 1
; COMPUTE_PGM_RSRC2:TGID_Z_EN: 1
; COMPUTE_PGM_RSRC2:TIDIG_COMP_CNT: 1
; COMPUTE_PGM_RSRC3_GFX90A:ACCUM_OFFSET: 13
; COMPUTE_PGM_RSRC3_GFX90A:TG_SPLIT: 0
	.section	.text._ZN12_GLOBAL__N_127rocblas_gemm_batched_kernelI19rocblas_complex_numIdELi16ELi16ELi32ELi32ELi8ELi32ELi8ELi8ELi32ELc84ELc78EKS2_S3_S2_EEvlllT_PT11_llS6_llS4_PT12_llPT13_lli,"axG",@progbits,_ZN12_GLOBAL__N_127rocblas_gemm_batched_kernelI19rocblas_complex_numIdELi16ELi16ELi32ELi32ELi8ELi32ELi8ELi8ELi32ELc84ELc78EKS2_S3_S2_EEvlllT_PT11_llS6_llS4_PT12_llPT13_lli,comdat
	.globl	_ZN12_GLOBAL__N_127rocblas_gemm_batched_kernelI19rocblas_complex_numIdELi16ELi16ELi32ELi32ELi8ELi32ELi8ELi8ELi32ELc84ELc78EKS2_S3_S2_EEvlllT_PT11_llS6_llS4_PT12_llPT13_lli ; -- Begin function _ZN12_GLOBAL__N_127rocblas_gemm_batched_kernelI19rocblas_complex_numIdELi16ELi16ELi32ELi32ELi8ELi32ELi8ELi8ELi32ELc84ELc78EKS2_S3_S2_EEvlllT_PT11_llS6_llS4_PT12_llPT13_lli
	.p2align	8
	.type	_ZN12_GLOBAL__N_127rocblas_gemm_batched_kernelI19rocblas_complex_numIdELi16ELi16ELi32ELi32ELi8ELi32ELi8ELi8ELi32ELc84ELc78EKS2_S3_S2_EEvlllT_PT11_llS6_llS4_PT12_llPT13_lli,@function
_ZN12_GLOBAL__N_127rocblas_gemm_batched_kernelI19rocblas_complex_numIdELi16ELi16ELi32ELi32ELi8ELi32ELi8ELi8ELi32ELc84ELc78EKS2_S3_S2_EEvlllT_PT11_llS6_llS4_PT12_llPT13_lli: ; @_ZN12_GLOBAL__N_127rocblas_gemm_batched_kernelI19rocblas_complex_numIdELi16ELi16ELi32ELi32ELi8ELi32ELi8ELi8ELi32ELc84ELc78EKS2_S3_S2_EEvlllT_PT11_llS6_llS4_PT12_llPT13_lli
; %bb.0:
	s_load_dwordx16 s[36:51], s[4:5], 0x10
	s_load_dwordx16 s[12:27], s[4:5], 0x50
	s_mov_b32 s2, s7
	s_ashr_i32 s7, s6, 31
	s_ashr_i32 s3, s2, 31
	s_waitcnt lgkmcnt(0)
	v_cmp_lt_i64_e64 s[10:11], s[36:37], 1
	v_bfe_u32 v27, v0, 10, 10
	v_and_b32_e32 v26, 0x3ff, v0
	s_lshl_b64 s[0:1], s[6:7], 5
	s_lshl_b64 s[2:3], s[2:3], 5
	s_mov_b64 s[6:7], 0
	s_and_b64 vcc, exec, s[10:11]
	s_cbranch_vccnz .LBB128_3
; %bb.1:
	v_lshl_add_u32 v0, v27, 4, v26
	v_and_b32_e32 v4, 7, v26
	v_and_b32_e32 v5, 31, v0
	v_lshrrev_b32_e32 v1, 3, v0
	v_lshrrev_b32_e32 v6, 5, v0
	v_lshlrev_b32_e32 v0, 4, v5
	v_lshlrev_b32_e32 v7, 4, v4
	v_mov_b32_e32 v2, s3
	v_add_co_u32_e32 v3, vcc, s2, v1
	v_lshl_or_b32 v28, v6, 9, v0
	v_lshl_or_b32 v0, v1, 7, v7
	v_addc_co_u32_e32 v2, vcc, 0, v2, vcc
	v_add_u32_e32 v29, 0x1000, v0
	v_mov_b32_e32 v0, 0x1000
	v_lshl_add_u32 v31, v27, 7, v0
	v_mov_b32_e32 v0, s1
	v_add_co_u32_e32 v1, vcc, s0, v5
	v_addc_co_u32_e32 v0, vcc, 0, v0, vcc
	v_mul_lo_u32 v4, s45, v1
	v_mul_lo_u32 v5, s44, v0
	v_mad_u64_u32 v[0:1], s[10:11], s44, v1, 0
	s_mul_i32 s9, s47, s8
	s_mul_hi_u32 s10, s46, s8
	v_add3_u32 v1, v1, v5, v4
	s_add_i32 s11, s10, s9
	s_mul_i32 s10, s46, s8
	v_lshlrev_b64 v[0:1], 4, v[0:1]
	s_lshl_b64 s[10:11], s[10:11], 4
	v_mov_b32_e32 v4, s11
	v_add_co_u32_e32 v0, vcc, s10, v0
	v_addc_co_u32_e32 v1, vcc, v1, v4, vcc
	v_lshlrev_b32_e32 v4, 4, v6
	v_add_co_u32_e32 v0, vcc, v0, v4
	v_addc_co_u32_e32 v1, vcc, 0, v1, vcc
	v_mov_b32_e32 v5, s43
	v_add_co_u32_e32 v4, vcc, s42, v0
	v_addc_co_u32_e32 v5, vcc, v5, v1, vcc
	v_mad_u64_u32 v[0:1], s[10:11], s50, v3, 0
	v_mul_lo_u32 v6, s51, v3
	v_mul_lo_u32 v2, s50, v2
	s_mul_i32 s9, s13, s8
	s_mul_hi_u32 s10, s12, s8
	v_add3_u32 v1, v1, v2, v6
	s_add_i32 s11, s10, s9
	s_mul_i32 s10, s12, s8
	v_lshlrev_b64 v[0:1], 4, v[0:1]
	s_lshl_b64 s[10:11], s[10:11], 4
	v_mov_b32_e32 v2, s11
	v_add_co_u32_e32 v0, vcc, s10, v0
	v_addc_co_u32_e32 v1, vcc, v1, v2, vcc
	v_add_co_u32_e32 v0, vcc, v0, v7
	v_addc_co_u32_e32 v1, vcc, 0, v1, vcc
	v_mov_b32_e32 v2, s49
	v_add_co_u32_e32 v6, vcc, s48, v0
	v_lshlrev_b32_e32 v30, 4, v26
	v_addc_co_u32_e32 v7, vcc, v2, v1, vcc
	v_pk_mov_b32 v[10:11], 0, 0
	v_pk_mov_b32 v[8:9], s[36:37], s[36:37] op_sel:[0,1]
	v_pk_mov_b32 v[12:13], 0, 0
	v_pk_mov_b32 v[20:21], 0, 0
	;; [unrolled: 1-line block ×7, first 2 shown]
.LBB128_2:                              ; =>This Inner Loop Header: Depth=1
	global_load_dwordx4 v[0:3], v[4:5], off
	v_add_co_u32_e32 v4, vcc, 0x80, v4
	v_addc_co_u32_e32 v5, vcc, 0, v5, vcc
	s_add_u32 s6, s6, 8
	s_addc_u32 s7, s7, 0
	s_waitcnt vmcnt(0)
	ds_write2_b64 v28, v[0:1], v[2:3] offset1:1
	global_load_dwordx4 v[0:3], v[6:7], off
	v_add_co_u32_e32 v6, vcc, 0x80, v6
	v_addc_co_u32_e32 v7, vcc, 0, v7, vcc
	v_cmp_lt_i64_e32 vcc, s[6:7], v[8:9]
	s_and_b64 vcc, exec, vcc
	s_waitcnt vmcnt(0)
	ds_write2_b64 v29, v[0:1], v[2:3] offset1:1
	s_waitcnt lgkmcnt(0)
	s_barrier
	ds_read_b128 v[32:35], v31
	ds_read_b128 v[36:39], v31 offset:16
	ds_read_b128 v[40:43], v31 offset:32
	;; [unrolled: 1-line block ×3, first 2 shown]
	ds_read_b128 v[44:47], v30
	s_waitcnt lgkmcnt(0)
	v_mul_f64 v[48:49], v[34:35], v[46:47]
	v_mul_f64 v[50:51], v[32:33], v[46:47]
	v_fma_f64 v[48:49], v[32:33], v[44:45], -v[48:49]
	v_fmac_f64_e32 v[50:51], v[34:35], v[44:45]
	v_add_f64 v[48:49], v[22:23], v[48:49]
	v_add_f64 v[50:51], v[24:25], v[50:51]
	ds_read_b128 v[22:25], v30 offset:256
	s_waitcnt lgkmcnt(0)
	v_mul_f64 v[52:53], v[34:35], v[24:25]
	v_fma_f64 v[52:53], v[32:33], v[22:23], -v[52:53]
	v_mul_f64 v[32:33], v[32:33], v[24:25]
	v_fmac_f64_e32 v[32:33], v[34:35], v[22:23]
	v_add_f64 v[34:35], v[14:15], v[52:53]
	v_add_f64 v[32:33], v[16:17], v[32:33]
	ds_read_b128 v[14:17], v31 offset:2048
	s_waitcnt lgkmcnt(0)
	v_mul_f64 v[52:53], v[16:17], v[46:47]
	v_fma_f64 v[52:53], v[14:15], v[44:45], -v[52:53]
	v_mul_f64 v[46:47], v[14:15], v[46:47]
	v_fmac_f64_e32 v[46:47], v[16:17], v[44:45]
	v_add_f64 v[44:45], v[18:19], v[52:53]
	v_mul_f64 v[18:19], v[16:17], v[24:25]
	v_fma_f64 v[18:19], v[14:15], v[22:23], -v[18:19]
	v_mul_f64 v[14:15], v[14:15], v[24:25]
	v_fmac_f64_e32 v[14:15], v[16:17], v[22:23]
	v_add_f64 v[22:23], v[12:13], v[18:19]
	v_add_f64 v[24:25], v[10:11], v[14:15]
	ds_read_b128 v[10:13], v30 offset:512
	v_add_f64 v[46:47], v[20:21], v[46:47]
	s_waitcnt lgkmcnt(0)
	v_mul_f64 v[14:15], v[38:39], v[12:13]
	v_mul_f64 v[16:17], v[36:37], v[12:13]
	v_fma_f64 v[14:15], v[36:37], v[10:11], -v[14:15]
	v_fmac_f64_e32 v[16:17], v[38:39], v[10:11]
	v_add_f64 v[48:49], v[48:49], v[14:15]
	v_add_f64 v[50:51], v[50:51], v[16:17]
	ds_read_b128 v[14:17], v30 offset:768
	s_waitcnt lgkmcnt(0)
	v_mul_f64 v[18:19], v[38:39], v[16:17]
	v_mul_f64 v[20:21], v[36:37], v[16:17]
	v_fma_f64 v[18:19], v[36:37], v[14:15], -v[18:19]
	v_fmac_f64_e32 v[20:21], v[38:39], v[14:15]
	v_add_f64 v[34:35], v[34:35], v[18:19]
	v_add_f64 v[32:33], v[32:33], v[20:21]
	ds_read_b128 v[18:21], v31 offset:2064
	s_waitcnt lgkmcnt(0)
	v_mul_f64 v[36:37], v[20:21], v[12:13]
	v_mul_f64 v[12:13], v[18:19], v[12:13]
	v_fmac_f64_e32 v[12:13], v[20:21], v[10:11]
	v_fma_f64 v[36:37], v[18:19], v[10:11], -v[36:37]
	v_add_f64 v[38:39], v[46:47], v[12:13]
	v_mul_f64 v[10:11], v[20:21], v[16:17]
	v_mul_f64 v[12:13], v[18:19], v[16:17]
	v_fma_f64 v[10:11], v[18:19], v[14:15], -v[10:11]
	v_fmac_f64_e32 v[12:13], v[20:21], v[14:15]
	v_add_f64 v[22:23], v[22:23], v[10:11]
	v_add_f64 v[24:25], v[24:25], v[12:13]
	ds_read_b128 v[10:13], v30 offset:1024
	v_add_f64 v[36:37], v[44:45], v[36:37]
	s_waitcnt lgkmcnt(0)
	v_mul_f64 v[14:15], v[42:43], v[12:13]
	v_mul_f64 v[16:17], v[40:41], v[12:13]
	v_fma_f64 v[14:15], v[40:41], v[10:11], -v[14:15]
	v_fmac_f64_e32 v[16:17], v[42:43], v[10:11]
	v_add_f64 v[44:45], v[48:49], v[14:15]
	v_add_f64 v[46:47], v[50:51], v[16:17]
	ds_read_b128 v[14:17], v30 offset:1280
	s_waitcnt lgkmcnt(0)
	v_mul_f64 v[18:19], v[42:43], v[16:17]
	v_mul_f64 v[20:21], v[40:41], v[16:17]
	v_fma_f64 v[18:19], v[40:41], v[14:15], -v[18:19]
	v_fmac_f64_e32 v[20:21], v[42:43], v[14:15]
	v_add_f64 v[34:35], v[34:35], v[18:19]
	v_add_f64 v[32:33], v[32:33], v[20:21]
	ds_read_b128 v[18:21], v31 offset:2080
	s_waitcnt lgkmcnt(0)
	v_mul_f64 v[40:41], v[20:21], v[12:13]
	v_mul_f64 v[12:13], v[18:19], v[12:13]
	v_fmac_f64_e32 v[12:13], v[20:21], v[10:11]
	v_fma_f64 v[40:41], v[18:19], v[10:11], -v[40:41]
	v_add_f64 v[38:39], v[38:39], v[12:13]
	v_mul_f64 v[10:11], v[20:21], v[16:17]
	v_mul_f64 v[12:13], v[18:19], v[16:17]
	v_fma_f64 v[10:11], v[18:19], v[14:15], -v[10:11]
	v_fmac_f64_e32 v[12:13], v[20:21], v[14:15]
	v_add_f64 v[18:19], v[22:23], v[10:11]
	v_add_f64 v[20:21], v[24:25], v[12:13]
	ds_read_b128 v[10:13], v30 offset:1536
	v_add_f64 v[36:37], v[36:37], v[40:41]
	s_waitcnt lgkmcnt(0)
	v_mul_f64 v[14:15], v[2:3], v[12:13]
	v_mul_f64 v[16:17], v[0:1], v[12:13]
	v_fma_f64 v[14:15], v[0:1], v[10:11], -v[14:15]
	v_fmac_f64_e32 v[16:17], v[2:3], v[10:11]
	v_add_f64 v[22:23], v[44:45], v[14:15]
	v_add_f64 v[24:25], v[46:47], v[16:17]
	ds_read_b128 v[14:17], v30 offset:1792
	s_waitcnt lgkmcnt(0)
	v_mul_f64 v[40:41], v[2:3], v[16:17]
	v_fma_f64 v[40:41], v[0:1], v[14:15], -v[40:41]
	v_mul_f64 v[0:1], v[0:1], v[16:17]
	v_fmac_f64_e32 v[0:1], v[2:3], v[14:15]
	v_add_f64 v[32:33], v[32:33], v[0:1]
	ds_read_b128 v[0:3], v31 offset:2096
	v_add_f64 v[34:35], v[34:35], v[40:41]
	s_waitcnt lgkmcnt(0)
	v_mul_f64 v[40:41], v[2:3], v[12:13]
	v_mul_f64 v[12:13], v[0:1], v[12:13]
	v_fma_f64 v[40:41], v[0:1], v[10:11], -v[40:41]
	v_fmac_f64_e32 v[12:13], v[2:3], v[10:11]
	v_mul_f64 v[10:11], v[2:3], v[16:17]
	v_fma_f64 v[10:11], v[0:1], v[14:15], -v[10:11]
	v_mul_f64 v[0:1], v[0:1], v[16:17]
	v_fmac_f64_e32 v[0:1], v[2:3], v[14:15]
	v_add_f64 v[38:39], v[38:39], v[12:13]
	v_add_f64 v[18:19], v[18:19], v[10:11]
	v_add_f64 v[20:21], v[20:21], v[0:1]
	ds_read_b128 v[0:3], v31 offset:64
	ds_read_b128 v[10:13], v30 offset:2048
	v_add_f64 v[36:37], v[36:37], v[40:41]
	s_waitcnt lgkmcnt(0)
	v_mul_f64 v[14:15], v[2:3], v[12:13]
	v_mul_f64 v[16:17], v[0:1], v[12:13]
	v_fma_f64 v[14:15], v[0:1], v[10:11], -v[14:15]
	v_fmac_f64_e32 v[16:17], v[2:3], v[10:11]
	v_add_f64 v[22:23], v[22:23], v[14:15]
	v_add_f64 v[24:25], v[24:25], v[16:17]
	ds_read_b128 v[14:17], v30 offset:2304
	s_waitcnt lgkmcnt(0)
	v_mul_f64 v[40:41], v[2:3], v[16:17]
	v_fma_f64 v[40:41], v[0:1], v[14:15], -v[40:41]
	v_mul_f64 v[0:1], v[0:1], v[16:17]
	v_fmac_f64_e32 v[0:1], v[2:3], v[14:15]
	v_add_f64 v[32:33], v[32:33], v[0:1]
	ds_read_b128 v[0:3], v31 offset:2112
	v_add_f64 v[34:35], v[34:35], v[40:41]
	s_waitcnt lgkmcnt(0)
	v_mul_f64 v[40:41], v[2:3], v[12:13]
	v_mul_f64 v[12:13], v[0:1], v[12:13]
	v_fma_f64 v[40:41], v[0:1], v[10:11], -v[40:41]
	v_fmac_f64_e32 v[12:13], v[2:3], v[10:11]
	v_mul_f64 v[10:11], v[2:3], v[16:17]
	v_fma_f64 v[10:11], v[0:1], v[14:15], -v[10:11]
	v_mul_f64 v[0:1], v[0:1], v[16:17]
	v_fmac_f64_e32 v[0:1], v[2:3], v[14:15]
	v_add_f64 v[38:39], v[38:39], v[12:13]
	v_add_f64 v[18:19], v[18:19], v[10:11]
	v_add_f64 v[20:21], v[20:21], v[0:1]
	ds_read_b128 v[0:3], v31 offset:80
	;; [unrolled: 31-line block ×4, first 2 shown]
	ds_read_b128 v[10:13], v30 offset:3584
	v_add_f64 v[36:37], v[36:37], v[32:33]
	ds_read_b128 v[32:35], v30 offset:3840
	s_waitcnt lgkmcnt(1)
	v_mul_f64 v[14:15], v[2:3], v[12:13]
	v_fma_f64 v[14:15], v[0:1], v[10:11], -v[14:15]
	v_add_f64 v[22:23], v[22:23], v[14:15]
	s_waitcnt lgkmcnt(0)
	v_mul_f64 v[14:15], v[2:3], v[34:35]
	v_mul_f64 v[16:17], v[0:1], v[12:13]
	v_fma_f64 v[14:15], v[0:1], v[32:33], -v[14:15]
	v_mul_f64 v[0:1], v[0:1], v[34:35]
	v_fmac_f64_e32 v[16:17], v[2:3], v[10:11]
	v_fmac_f64_e32 v[0:1], v[2:3], v[32:33]
	v_add_f64 v[24:25], v[24:25], v[16:17]
	v_add_f64 v[16:17], v[42:43], v[0:1]
	ds_read_b128 v[0:3], v31 offset:2160
	v_add_f64 v[14:15], v[40:41], v[14:15]
	s_waitcnt lgkmcnt(0)
	s_barrier
	v_mul_f64 v[18:19], v[2:3], v[12:13]
	v_mul_f64 v[12:13], v[0:1], v[12:13]
	v_fma_f64 v[18:19], v[0:1], v[10:11], -v[18:19]
	v_fmac_f64_e32 v[12:13], v[2:3], v[10:11]
	v_mul_f64 v[10:11], v[2:3], v[34:35]
	v_fma_f64 v[10:11], v[0:1], v[32:33], -v[10:11]
	v_mul_f64 v[0:1], v[0:1], v[34:35]
	v_fmac_f64_e32 v[0:1], v[2:3], v[32:33]
	v_add_f64 v[18:19], v[36:37], v[18:19]
	v_add_f64 v[20:21], v[38:39], v[12:13]
	;; [unrolled: 1-line block ×4, first 2 shown]
	s_cbranch_vccnz .LBB128_2
	s_branch .LBB128_4
.LBB128_3:
	v_pk_mov_b32 v[22:23], 0, 0
	v_pk_mov_b32 v[24:25], 0, 0
	;; [unrolled: 1-line block ×8, first 2 shown]
.LBB128_4:
	s_load_dwordx2 s[4:5], s[4:5], 0x90
	v_mov_b32_e32 v0, s3
	v_add_co_u32_e32 v6, vcc, s2, v27
	v_addc_co_u32_e32 v7, vcc, 0, v0, vcc
	s_waitcnt lgkmcnt(0)
	s_mul_i32 s3, s8, s5
	s_mul_hi_u32 s5, s8, s4
	s_mul_i32 s4, s8, s4
	s_add_i32 s5, s5, s3
	s_lshl_b64 s[4:5], s[4:5], 4
	s_add_u32 s4, s24, s4
	v_cmp_neq_f64_e64 s[6:7], s[14:15], 0
	v_cmp_neq_f64_e64 s[10:11], s[16:17], 0
	v_mov_b32_e32 v1, s1
	v_add_co_u32_e32 v0, vcc, s0, v26
	s_addc_u32 s5, s25, s5
	s_or_b64 s[6:7], s[6:7], s[10:11]
	v_addc_co_u32_e32 v1, vcc, 0, v1, vcc
	s_mov_b64 s[2:3], 0
	s_and_b64 vcc, exec, s[6:7]
	s_cbranch_vccnz .LBB128_6
; %bb.5:
	v_mul_lo_u32 v4, v7, s26
	v_mul_lo_u32 v5, v6, s27
	v_mad_u64_u32 v[2:3], s[0:1], v6, s26, 0
	v_add3_u32 v3, v3, v5, v4
	v_lshlrev_b64 v[2:3], 4, v[2:3]
	v_mov_b32_e32 v4, s5
	v_add_co_u32_e32 v26, vcc, s4, v2
	v_addc_co_u32_e32 v27, vcc, v4, v3, vcc
	v_lshlrev_b64 v[8:9], 4, v[0:1]
	v_mul_f64 v[2:3], s[40:41], v[24:25]
	v_mul_f64 v[4:5], s[38:39], v[24:25]
	v_add_co_u32_e32 v8, vcc, v26, v8
	v_fma_f64 v[2:3], s[38:39], v[22:23], -v[2:3]
	v_fmac_f64_e32 v[4:5], s[40:41], v[22:23]
	v_addc_co_u32_e32 v9, vcc, v27, v9, vcc
	global_store_dwordx4 v[8:9], v[2:5], off
	s_lshl_b64 s[0:1], s[26:27], 8
	v_mul_f64 v[2:3], s[40:41], v[16:17]
	v_mul_f64 v[4:5], s[38:39], v[16:17]
	v_fma_f64 v[2:3], s[38:39], v[14:15], -v[2:3]
	v_fmac_f64_e32 v[4:5], s[40:41], v[14:15]
	global_store_dwordx4 v[8:9], v[2:5], off offset:256
	v_mov_b32_e32 v26, s1
	v_mul_f64 v[2:3], s[40:41], v[20:21]
	v_mul_f64 v[4:5], s[38:39], v[20:21]
	v_add_co_u32_e32 v8, vcc, s0, v8
	v_fma_f64 v[2:3], s[38:39], v[18:19], -v[2:3]
	v_fmac_f64_e32 v[4:5], s[40:41], v[18:19]
	v_addc_co_u32_e32 v9, vcc, v9, v26, vcc
	global_store_dwordx4 v[8:9], v[2:5], off
	s_nop 0
	v_mul_f64 v[2:3], s[40:41], v[10:11]
	v_fma_f64 v[26:27], s[38:39], v[12:13], -v[2:3]
	v_mul_f64 v[4:5], s[38:39], v[10:11]
	v_add_co_u32_e32 v2, vcc, 0x100, v8
	v_fmac_f64_e32 v[4:5], s[40:41], v[12:13]
	v_addc_co_u32_e32 v3, vcc, 0, v9, vcc
	global_store_dwordx2 v[8:9], v[26:27], off offset:256
	s_andn2_b64 vcc, exec, s[2:3]
	s_cbranch_vccz .LBB128_7
	s_branch .LBB128_8
.LBB128_6:
                                        ; implicit-def: $vgpr4_vgpr5
                                        ; implicit-def: $vgpr2_vgpr3
.LBB128_7:
	s_mul_i32 s0, s8, s23
	s_mul_hi_u32 s1, s8, s22
	s_add_i32 s1, s1, s0
	s_mul_i32 s0, s8, s22
	s_lshl_b64 s[0:1], s[0:1], 4
	s_add_u32 s2, s18, s0
	s_addc_u32 s3, s19, s1
	v_mul_lo_u32 v4, v7, s20
	v_mul_lo_u32 v5, v6, s21
	v_mad_u64_u32 v[2:3], s[0:1], v6, s20, 0
	v_add3_u32 v3, v3, v5, v4
	v_lshlrev_b64 v[2:3], 4, v[2:3]
	v_mov_b32_e32 v4, s3
	v_add_co_u32_e32 v2, vcc, s2, v2
	v_addc_co_u32_e32 v3, vcc, v4, v3, vcc
	v_lshlrev_b64 v[4:5], 4, v[0:1]
	v_add_co_u32_e32 v8, vcc, v2, v4
	v_addc_co_u32_e32 v9, vcc, v3, v5, vcc
	global_load_dwordx4 v[0:3], v[8:9], off
	v_mul_lo_u32 v28, v7, s26
	v_mul_lo_u32 v29, v6, s27
	v_mad_u64_u32 v[6:7], s[0:1], v6, s26, 0
	v_add3_u32 v7, v7, v29, v28
	v_lshlrev_b64 v[6:7], 4, v[6:7]
	v_mov_b32_e32 v30, s5
	v_add_co_u32_e32 v6, vcc, s4, v6
	v_addc_co_u32_e32 v7, vcc, v30, v7, vcc
	v_add_co_u32_e32 v4, vcc, v6, v4
	v_mul_f64 v[26:27], s[40:41], v[24:25]
	v_mul_f64 v[24:25], s[38:39], v[24:25]
	v_addc_co_u32_e32 v5, vcc, v7, v5, vcc
	v_fma_f64 v[26:27], s[38:39], v[22:23], -v[26:27]
	v_fmac_f64_e32 v[24:25], s[40:41], v[22:23]
	s_lshl_b64 s[0:1], s[20:21], 8
	s_waitcnt vmcnt(0)
	v_mul_f64 v[6:7], s[16:17], v[2:3]
	v_mul_f64 v[2:3], s[14:15], v[2:3]
	v_fma_f64 v[6:7], s[14:15], v[0:1], -v[6:7]
	v_fmac_f64_e32 v[2:3], s[16:17], v[0:1]
	v_add_f64 v[0:1], v[26:27], v[6:7]
	v_add_f64 v[2:3], v[24:25], v[2:3]
	global_store_dwordx4 v[4:5], v[0:3], off
	global_load_dwordx4 v[0:3], v[8:9], off offset:256
	v_mul_f64 v[6:7], s[40:41], v[16:17]
	v_mul_f64 v[16:17], s[38:39], v[16:17]
	v_fma_f64 v[6:7], s[38:39], v[14:15], -v[6:7]
	v_fmac_f64_e32 v[16:17], s[40:41], v[14:15]
	v_mov_b32_e32 v14, s1
	v_add_co_u32_e32 v8, vcc, s0, v8
	v_addc_co_u32_e32 v9, vcc, v9, v14, vcc
	s_lshl_b64 s[0:1], s[26:27], 8
	s_waitcnt vmcnt(0)
	v_mul_f64 v[14:15], s[16:17], v[2:3]
	v_mul_f64 v[2:3], s[14:15], v[2:3]
	v_fma_f64 v[14:15], s[14:15], v[0:1], -v[14:15]
	v_fmac_f64_e32 v[2:3], s[16:17], v[0:1]
	v_add_f64 v[0:1], v[6:7], v[14:15]
	v_add_f64 v[2:3], v[16:17], v[2:3]
	global_store_dwordx4 v[4:5], v[0:3], off offset:256
	global_load_dwordx4 v[0:3], v[8:9], off
	v_mov_b32_e32 v17, s1
	v_add_co_u32_e32 v16, vcc, s0, v4
	v_mul_f64 v[6:7], s[40:41], v[20:21]
	v_mul_f64 v[14:15], s[38:39], v[20:21]
	v_addc_co_u32_e32 v17, vcc, v5, v17, vcc
	v_fma_f64 v[6:7], s[38:39], v[18:19], -v[6:7]
	v_fmac_f64_e32 v[14:15], s[40:41], v[18:19]
	s_waitcnt vmcnt(0)
	v_mul_f64 v[4:5], s[16:17], v[2:3]
	v_mul_f64 v[2:3], s[14:15], v[2:3]
	v_fma_f64 v[4:5], s[14:15], v[0:1], -v[4:5]
	v_fmac_f64_e32 v[2:3], s[16:17], v[0:1]
	v_add_f64 v[0:1], v[6:7], v[4:5]
	v_add_f64 v[2:3], v[14:15], v[2:3]
	global_store_dwordx4 v[16:17], v[0:3], off
	global_load_dwordx4 v[4:7], v[8:9], off offset:256
	v_mul_f64 v[0:1], s[40:41], v[10:11]
	v_mul_f64 v[8:9], s[38:39], v[10:11]
	v_fma_f64 v[0:1], s[38:39], v[12:13], -v[0:1]
	v_fmac_f64_e32 v[8:9], s[40:41], v[12:13]
	v_add_co_u32_e32 v2, vcc, 0x100, v16
	v_addc_co_u32_e32 v3, vcc, 0, v17, vcc
	s_waitcnt vmcnt(0)
	v_mul_f64 v[10:11], s[16:17], v[6:7]
	v_mul_f64 v[6:7], s[14:15], v[6:7]
	v_fma_f64 v[10:11], s[14:15], v[4:5], -v[10:11]
	v_fmac_f64_e32 v[6:7], s[16:17], v[4:5]
	v_add_f64 v[0:1], v[0:1], v[10:11]
	v_add_f64 v[4:5], v[8:9], v[6:7]
	global_store_dwordx2 v[16:17], v[0:1], off offset:256
.LBB128_8:
	global_store_dwordx2 v[2:3], v[4:5], off offset:8
	s_endpgm
	.section	.rodata,"a",@progbits
	.p2align	6, 0x0
	.amdhsa_kernel _ZN12_GLOBAL__N_127rocblas_gemm_batched_kernelI19rocblas_complex_numIdELi16ELi16ELi32ELi32ELi8ELi32ELi8ELi8ELi32ELc84ELc78EKS2_S3_S2_EEvlllT_PT11_llS6_llS4_PT12_llPT13_lli
		.amdhsa_group_segment_fixed_size 8192
		.amdhsa_private_segment_fixed_size 0
		.amdhsa_kernarg_size 156
		.amdhsa_user_sgpr_count 6
		.amdhsa_user_sgpr_private_segment_buffer 1
		.amdhsa_user_sgpr_dispatch_ptr 0
		.amdhsa_user_sgpr_queue_ptr 0
		.amdhsa_user_sgpr_kernarg_segment_ptr 1
		.amdhsa_user_sgpr_dispatch_id 0
		.amdhsa_user_sgpr_flat_scratch_init 0
		.amdhsa_user_sgpr_kernarg_preload_length 0
		.amdhsa_user_sgpr_kernarg_preload_offset 0
		.amdhsa_user_sgpr_private_segment_size 0
		.amdhsa_uses_dynamic_stack 0
		.amdhsa_system_sgpr_private_segment_wavefront_offset 0
		.amdhsa_system_sgpr_workgroup_id_x 1
		.amdhsa_system_sgpr_workgroup_id_y 1
		.amdhsa_system_sgpr_workgroup_id_z 1
		.amdhsa_system_sgpr_workgroup_info 0
		.amdhsa_system_vgpr_workitem_id 1
		.amdhsa_next_free_vgpr 54
		.amdhsa_next_free_sgpr 52
		.amdhsa_accum_offset 56
		.amdhsa_reserve_vcc 1
		.amdhsa_reserve_flat_scratch 0
		.amdhsa_float_round_mode_32 0
		.amdhsa_float_round_mode_16_64 0
		.amdhsa_float_denorm_mode_32 3
		.amdhsa_float_denorm_mode_16_64 3
		.amdhsa_dx10_clamp 1
		.amdhsa_ieee_mode 1
		.amdhsa_fp16_overflow 0
		.amdhsa_tg_split 0
		.amdhsa_exception_fp_ieee_invalid_op 0
		.amdhsa_exception_fp_denorm_src 0
		.amdhsa_exception_fp_ieee_div_zero 0
		.amdhsa_exception_fp_ieee_overflow 0
		.amdhsa_exception_fp_ieee_underflow 0
		.amdhsa_exception_fp_ieee_inexact 0
		.amdhsa_exception_int_div_zero 0
	.end_amdhsa_kernel
	.section	.text._ZN12_GLOBAL__N_127rocblas_gemm_batched_kernelI19rocblas_complex_numIdELi16ELi16ELi32ELi32ELi8ELi32ELi8ELi8ELi32ELc84ELc78EKS2_S3_S2_EEvlllT_PT11_llS6_llS4_PT12_llPT13_lli,"axG",@progbits,_ZN12_GLOBAL__N_127rocblas_gemm_batched_kernelI19rocblas_complex_numIdELi16ELi16ELi32ELi32ELi8ELi32ELi8ELi8ELi32ELc84ELc78EKS2_S3_S2_EEvlllT_PT11_llS6_llS4_PT12_llPT13_lli,comdat
.Lfunc_end128:
	.size	_ZN12_GLOBAL__N_127rocblas_gemm_batched_kernelI19rocblas_complex_numIdELi16ELi16ELi32ELi32ELi8ELi32ELi8ELi8ELi32ELc84ELc78EKS2_S3_S2_EEvlllT_PT11_llS6_llS4_PT12_llPT13_lli, .Lfunc_end128-_ZN12_GLOBAL__N_127rocblas_gemm_batched_kernelI19rocblas_complex_numIdELi16ELi16ELi32ELi32ELi8ELi32ELi8ELi8ELi32ELc84ELc78EKS2_S3_S2_EEvlllT_PT11_llS6_llS4_PT12_llPT13_lli
                                        ; -- End function
	.section	.AMDGPU.csdata,"",@progbits
; Kernel info:
; codeLenInByte = 3292
; NumSgprs: 56
; NumVgprs: 54
; NumAgprs: 0
; TotalNumVgprs: 54
; ScratchSize: 0
; MemoryBound: 0
; FloatMode: 240
; IeeeMode: 1
; LDSByteSize: 8192 bytes/workgroup (compile time only)
; SGPRBlocks: 6
; VGPRBlocks: 6
; NumSGPRsForWavesPerEU: 56
; NumVGPRsForWavesPerEU: 54
; AccumOffset: 56
; Occupancy: 8
; WaveLimiterHint : 1
; COMPUTE_PGM_RSRC2:SCRATCH_EN: 0
; COMPUTE_PGM_RSRC2:USER_SGPR: 6
; COMPUTE_PGM_RSRC2:TRAP_HANDLER: 0
; COMPUTE_PGM_RSRC2:TGID_X_EN: 1
; COMPUTE_PGM_RSRC2:TGID_Y_EN: 1
; COMPUTE_PGM_RSRC2:TGID_Z_EN: 1
; COMPUTE_PGM_RSRC2:TIDIG_COMP_CNT: 1
; COMPUTE_PGM_RSRC3_GFX90A:ACCUM_OFFSET: 13
; COMPUTE_PGM_RSRC3_GFX90A:TG_SPLIT: 0
	.section	.text._ZN12_GLOBAL__N_127rocblas_gemm_batched_kernelI19rocblas_complex_numIdELi16ELi16ELi32ELi32ELi8ELi32ELi8ELi8ELi32ELc78ELc84EKS2_S3_S2_EEvlllT_PT11_llS6_llS4_PT12_llPT13_lli,"axG",@progbits,_ZN12_GLOBAL__N_127rocblas_gemm_batched_kernelI19rocblas_complex_numIdELi16ELi16ELi32ELi32ELi8ELi32ELi8ELi8ELi32ELc78ELc84EKS2_S3_S2_EEvlllT_PT11_llS6_llS4_PT12_llPT13_lli,comdat
	.globl	_ZN12_GLOBAL__N_127rocblas_gemm_batched_kernelI19rocblas_complex_numIdELi16ELi16ELi32ELi32ELi8ELi32ELi8ELi8ELi32ELc78ELc84EKS2_S3_S2_EEvlllT_PT11_llS6_llS4_PT12_llPT13_lli ; -- Begin function _ZN12_GLOBAL__N_127rocblas_gemm_batched_kernelI19rocblas_complex_numIdELi16ELi16ELi32ELi32ELi8ELi32ELi8ELi8ELi32ELc78ELc84EKS2_S3_S2_EEvlllT_PT11_llS6_llS4_PT12_llPT13_lli
	.p2align	8
	.type	_ZN12_GLOBAL__N_127rocblas_gemm_batched_kernelI19rocblas_complex_numIdELi16ELi16ELi32ELi32ELi8ELi32ELi8ELi8ELi32ELc78ELc84EKS2_S3_S2_EEvlllT_PT11_llS6_llS4_PT12_llPT13_lli,@function
_ZN12_GLOBAL__N_127rocblas_gemm_batched_kernelI19rocblas_complex_numIdELi16ELi16ELi32ELi32ELi8ELi32ELi8ELi8ELi32ELc78ELc84EKS2_S3_S2_EEvlllT_PT11_llS6_llS4_PT12_llPT13_lli: ; @_ZN12_GLOBAL__N_127rocblas_gemm_batched_kernelI19rocblas_complex_numIdELi16ELi16ELi32ELi32ELi8ELi32ELi8ELi8ELi32ELc78ELc84EKS2_S3_S2_EEvlllT_PT11_llS6_llS4_PT12_llPT13_lli
; %bb.0:
	s_load_dwordx16 s[36:51], s[4:5], 0x10
	s_load_dwordx16 s[12:27], s[4:5], 0x50
	s_mov_b32 s2, s7
	s_ashr_i32 s7, s6, 31
	s_ashr_i32 s3, s2, 31
	s_waitcnt lgkmcnt(0)
	v_cmp_lt_i64_e64 s[10:11], s[36:37], 1
	v_bfe_u32 v27, v0, 10, 10
	v_and_b32_e32 v26, 0x3ff, v0
	s_lshl_b64 s[0:1], s[6:7], 5
	s_lshl_b64 s[2:3], s[2:3], 5
	s_mov_b64 s[6:7], 0
	s_and_b64 vcc, exec, s[10:11]
	s_cbranch_vccnz .LBB129_3
; %bb.1:
	v_lshl_add_u32 v4, v27, 4, v26
	v_lshrrev_b32_e32 v5, 3, v4
	v_mov_b32_e32 v1, s3
	v_add_co_u32_e32 v0, vcc, s2, v5
	v_addc_co_u32_e32 v1, vcc, 0, v1, vcc
	v_and_b32_e32 v6, 7, v26
	v_mad_u64_u32 v[0:1], s[10:11], v6, s50, v[0:1]
	v_mov_b32_e32 v2, v1
	v_mad_u64_u32 v[2:3], s[10:11], v6, s51, v[2:3]
	v_and_b32_e32 v7, 31, v4
	v_mov_b32_e32 v1, v2
	v_lshrrev_b32_e32 v8, 5, v4
	v_lshlrev_b32_e32 v2, 4, v7
	v_lshl_or_b32 v28, v8, 9, v2
	v_lshlrev_b32_e32 v2, 4, v6
	v_lshl_or_b32 v2, v5, 7, v2
	v_add_u32_e32 v29, 0x1000, v2
	v_mov_b32_e32 v2, 0x1000
	v_lshl_add_u32 v31, v27, 7, v2
	v_pk_mov_b32 v[2:3], s[0:1], s[0:1] op_sel:[0,1]
	v_mad_u64_u32 v[2:3], s[28:29], v8, s44, v[2:3]
	v_mov_b32_e32 v4, v3
	s_mul_i32 s9, s47, s8
	s_mul_hi_u32 s10, s46, s8
	v_mad_u64_u32 v[4:5], s[28:29], v8, s45, v[4:5]
	s_add_i32 s11, s10, s9
	s_mul_i32 s10, s46, s8
	v_mov_b32_e32 v3, v4
	v_add_co_u32_e32 v2, vcc, v2, v7
	s_lshl_b64 s[10:11], s[10:11], 4
	v_addc_co_u32_e32 v3, vcc, 0, v3, vcc
	v_lshlrev_b64 v[2:3], 4, v[2:3]
	s_add_u32 s9, s42, s10
	v_add_co_u32_e32 v4, vcc, s9, v2
	s_mul_i32 s9, s13, s8
	s_mul_hi_u32 s13, s12, s8
	s_addc_u32 s10, s43, s11
	s_add_i32 s13, s13, s9
	s_mul_i32 s12, s12, s8
	v_mov_b32_e32 v5, s10
	s_lshl_b64 s[10:11], s[44:45], 7
	s_lshl_b64 s[12:13], s[12:13], 4
	s_add_u32 s9, s48, s12
	v_addc_co_u32_e32 v5, vcc, v5, v3, vcc
	v_lshlrev_b64 v[0:1], 4, v[0:1]
	s_addc_u32 s12, s49, s13
	v_mov_b32_e32 v2, s12
	v_add_co_u32_e32 v6, vcc, s9, v0
	s_lshl_b64 s[12:13], s[50:51], 7
	v_lshlrev_b32_e32 v30, 4, v26
	v_addc_co_u32_e32 v7, vcc, v2, v1, vcc
	v_pk_mov_b32 v[10:11], 0, 0
	v_mov_b32_e32 v32, s11
	v_mov_b32_e32 v33, s13
	v_pk_mov_b32 v[8:9], s[36:37], s[36:37] op_sel:[0,1]
	v_pk_mov_b32 v[12:13], 0, 0
	v_pk_mov_b32 v[20:21], 0, 0
	;; [unrolled: 1-line block ×7, first 2 shown]
.LBB129_2:                              ; =>This Inner Loop Header: Depth=1
	global_load_dwordx4 v[0:3], v[4:5], off
	v_add_co_u32_e32 v4, vcc, s10, v4
	v_addc_co_u32_e32 v5, vcc, v5, v32, vcc
	s_add_u32 s6, s6, 8
	s_addc_u32 s7, s7, 0
	s_waitcnt vmcnt(0)
	ds_write2_b64 v28, v[0:1], v[2:3] offset1:1
	global_load_dwordx4 v[0:3], v[6:7], off
	v_add_co_u32_e32 v6, vcc, s12, v6
	v_addc_co_u32_e32 v7, vcc, v7, v33, vcc
	v_cmp_lt_i64_e32 vcc, s[6:7], v[8:9]
	s_and_b64 vcc, exec, vcc
	s_waitcnt vmcnt(0)
	ds_write2_b64 v29, v[0:1], v[2:3] offset1:1
	s_waitcnt lgkmcnt(0)
	s_barrier
	ds_read_b128 v[34:37], v31
	ds_read_b128 v[38:41], v31 offset:16
	ds_read_b128 v[42:45], v31 offset:32
	;; [unrolled: 1-line block ×3, first 2 shown]
	ds_read_b128 v[46:49], v30
	s_waitcnt lgkmcnt(0)
	v_mul_f64 v[50:51], v[36:37], v[48:49]
	v_mul_f64 v[52:53], v[34:35], v[48:49]
	v_fma_f64 v[50:51], v[34:35], v[46:47], -v[50:51]
	v_fmac_f64_e32 v[52:53], v[36:37], v[46:47]
	v_add_f64 v[50:51], v[22:23], v[50:51]
	v_add_f64 v[52:53], v[24:25], v[52:53]
	ds_read_b128 v[22:25], v30 offset:256
	s_waitcnt lgkmcnt(0)
	v_mul_f64 v[54:55], v[36:37], v[24:25]
	v_fma_f64 v[54:55], v[34:35], v[22:23], -v[54:55]
	v_mul_f64 v[34:35], v[34:35], v[24:25]
	v_fmac_f64_e32 v[34:35], v[36:37], v[22:23]
	v_add_f64 v[36:37], v[14:15], v[54:55]
	v_add_f64 v[34:35], v[16:17], v[34:35]
	ds_read_b128 v[14:17], v31 offset:2048
	s_waitcnt lgkmcnt(0)
	v_mul_f64 v[54:55], v[16:17], v[48:49]
	v_fma_f64 v[54:55], v[14:15], v[46:47], -v[54:55]
	v_mul_f64 v[48:49], v[14:15], v[48:49]
	v_fmac_f64_e32 v[48:49], v[16:17], v[46:47]
	v_add_f64 v[46:47], v[18:19], v[54:55]
	v_mul_f64 v[18:19], v[16:17], v[24:25]
	v_fma_f64 v[18:19], v[14:15], v[22:23], -v[18:19]
	v_mul_f64 v[14:15], v[14:15], v[24:25]
	v_fmac_f64_e32 v[14:15], v[16:17], v[22:23]
	v_add_f64 v[22:23], v[12:13], v[18:19]
	v_add_f64 v[24:25], v[10:11], v[14:15]
	ds_read_b128 v[10:13], v30 offset:512
	v_add_f64 v[48:49], v[20:21], v[48:49]
	s_waitcnt lgkmcnt(0)
	v_mul_f64 v[14:15], v[40:41], v[12:13]
	v_mul_f64 v[16:17], v[38:39], v[12:13]
	v_fma_f64 v[14:15], v[38:39], v[10:11], -v[14:15]
	v_fmac_f64_e32 v[16:17], v[40:41], v[10:11]
	v_add_f64 v[50:51], v[50:51], v[14:15]
	v_add_f64 v[52:53], v[52:53], v[16:17]
	ds_read_b128 v[14:17], v30 offset:768
	s_waitcnt lgkmcnt(0)
	v_mul_f64 v[18:19], v[40:41], v[16:17]
	v_mul_f64 v[20:21], v[38:39], v[16:17]
	v_fma_f64 v[18:19], v[38:39], v[14:15], -v[18:19]
	v_fmac_f64_e32 v[20:21], v[40:41], v[14:15]
	v_add_f64 v[36:37], v[36:37], v[18:19]
	v_add_f64 v[34:35], v[34:35], v[20:21]
	ds_read_b128 v[18:21], v31 offset:2064
	s_waitcnt lgkmcnt(0)
	v_mul_f64 v[38:39], v[20:21], v[12:13]
	v_mul_f64 v[12:13], v[18:19], v[12:13]
	v_fmac_f64_e32 v[12:13], v[20:21], v[10:11]
	v_fma_f64 v[38:39], v[18:19], v[10:11], -v[38:39]
	v_add_f64 v[40:41], v[48:49], v[12:13]
	v_mul_f64 v[10:11], v[20:21], v[16:17]
	v_mul_f64 v[12:13], v[18:19], v[16:17]
	v_fma_f64 v[10:11], v[18:19], v[14:15], -v[10:11]
	v_fmac_f64_e32 v[12:13], v[20:21], v[14:15]
	v_add_f64 v[22:23], v[22:23], v[10:11]
	v_add_f64 v[24:25], v[24:25], v[12:13]
	ds_read_b128 v[10:13], v30 offset:1024
	v_add_f64 v[38:39], v[46:47], v[38:39]
	s_waitcnt lgkmcnt(0)
	v_mul_f64 v[14:15], v[44:45], v[12:13]
	v_mul_f64 v[16:17], v[42:43], v[12:13]
	v_fma_f64 v[14:15], v[42:43], v[10:11], -v[14:15]
	v_fmac_f64_e32 v[16:17], v[44:45], v[10:11]
	v_add_f64 v[46:47], v[50:51], v[14:15]
	v_add_f64 v[48:49], v[52:53], v[16:17]
	ds_read_b128 v[14:17], v30 offset:1280
	s_waitcnt lgkmcnt(0)
	v_mul_f64 v[18:19], v[44:45], v[16:17]
	v_mul_f64 v[20:21], v[42:43], v[16:17]
	v_fma_f64 v[18:19], v[42:43], v[14:15], -v[18:19]
	v_fmac_f64_e32 v[20:21], v[44:45], v[14:15]
	v_add_f64 v[36:37], v[36:37], v[18:19]
	v_add_f64 v[34:35], v[34:35], v[20:21]
	ds_read_b128 v[18:21], v31 offset:2080
	s_waitcnt lgkmcnt(0)
	v_mul_f64 v[42:43], v[20:21], v[12:13]
	v_mul_f64 v[12:13], v[18:19], v[12:13]
	v_fmac_f64_e32 v[12:13], v[20:21], v[10:11]
	v_fma_f64 v[42:43], v[18:19], v[10:11], -v[42:43]
	v_add_f64 v[40:41], v[40:41], v[12:13]
	v_mul_f64 v[10:11], v[20:21], v[16:17]
	v_mul_f64 v[12:13], v[18:19], v[16:17]
	v_fma_f64 v[10:11], v[18:19], v[14:15], -v[10:11]
	v_fmac_f64_e32 v[12:13], v[20:21], v[14:15]
	v_add_f64 v[18:19], v[22:23], v[10:11]
	v_add_f64 v[20:21], v[24:25], v[12:13]
	ds_read_b128 v[10:13], v30 offset:1536
	v_add_f64 v[38:39], v[38:39], v[42:43]
	s_waitcnt lgkmcnt(0)
	v_mul_f64 v[14:15], v[2:3], v[12:13]
	v_mul_f64 v[16:17], v[0:1], v[12:13]
	v_fma_f64 v[14:15], v[0:1], v[10:11], -v[14:15]
	v_fmac_f64_e32 v[16:17], v[2:3], v[10:11]
	v_add_f64 v[22:23], v[46:47], v[14:15]
	v_add_f64 v[24:25], v[48:49], v[16:17]
	ds_read_b128 v[14:17], v30 offset:1792
	s_waitcnt lgkmcnt(0)
	v_mul_f64 v[42:43], v[2:3], v[16:17]
	v_fma_f64 v[42:43], v[0:1], v[14:15], -v[42:43]
	v_mul_f64 v[0:1], v[0:1], v[16:17]
	v_fmac_f64_e32 v[0:1], v[2:3], v[14:15]
	v_add_f64 v[34:35], v[34:35], v[0:1]
	ds_read_b128 v[0:3], v31 offset:2096
	v_add_f64 v[36:37], v[36:37], v[42:43]
	s_waitcnt lgkmcnt(0)
	v_mul_f64 v[42:43], v[2:3], v[12:13]
	v_mul_f64 v[12:13], v[0:1], v[12:13]
	v_fma_f64 v[42:43], v[0:1], v[10:11], -v[42:43]
	v_fmac_f64_e32 v[12:13], v[2:3], v[10:11]
	v_mul_f64 v[10:11], v[2:3], v[16:17]
	v_fma_f64 v[10:11], v[0:1], v[14:15], -v[10:11]
	v_mul_f64 v[0:1], v[0:1], v[16:17]
	v_fmac_f64_e32 v[0:1], v[2:3], v[14:15]
	v_add_f64 v[40:41], v[40:41], v[12:13]
	v_add_f64 v[18:19], v[18:19], v[10:11]
	v_add_f64 v[20:21], v[20:21], v[0:1]
	ds_read_b128 v[0:3], v31 offset:64
	ds_read_b128 v[10:13], v30 offset:2048
	v_add_f64 v[38:39], v[38:39], v[42:43]
	s_waitcnt lgkmcnt(0)
	v_mul_f64 v[14:15], v[2:3], v[12:13]
	v_mul_f64 v[16:17], v[0:1], v[12:13]
	v_fma_f64 v[14:15], v[0:1], v[10:11], -v[14:15]
	v_fmac_f64_e32 v[16:17], v[2:3], v[10:11]
	v_add_f64 v[22:23], v[22:23], v[14:15]
	v_add_f64 v[24:25], v[24:25], v[16:17]
	ds_read_b128 v[14:17], v30 offset:2304
	s_waitcnt lgkmcnt(0)
	v_mul_f64 v[42:43], v[2:3], v[16:17]
	v_fma_f64 v[42:43], v[0:1], v[14:15], -v[42:43]
	v_mul_f64 v[0:1], v[0:1], v[16:17]
	v_fmac_f64_e32 v[0:1], v[2:3], v[14:15]
	v_add_f64 v[34:35], v[34:35], v[0:1]
	ds_read_b128 v[0:3], v31 offset:2112
	v_add_f64 v[36:37], v[36:37], v[42:43]
	s_waitcnt lgkmcnt(0)
	v_mul_f64 v[42:43], v[2:3], v[12:13]
	v_mul_f64 v[12:13], v[0:1], v[12:13]
	v_fma_f64 v[42:43], v[0:1], v[10:11], -v[42:43]
	v_fmac_f64_e32 v[12:13], v[2:3], v[10:11]
	v_mul_f64 v[10:11], v[2:3], v[16:17]
	v_fma_f64 v[10:11], v[0:1], v[14:15], -v[10:11]
	v_mul_f64 v[0:1], v[0:1], v[16:17]
	v_fmac_f64_e32 v[0:1], v[2:3], v[14:15]
	v_add_f64 v[40:41], v[40:41], v[12:13]
	v_add_f64 v[18:19], v[18:19], v[10:11]
	v_add_f64 v[20:21], v[20:21], v[0:1]
	ds_read_b128 v[0:3], v31 offset:80
	;; [unrolled: 31-line block ×4, first 2 shown]
	ds_read_b128 v[10:13], v30 offset:3584
	v_add_f64 v[38:39], v[38:39], v[34:35]
	ds_read_b128 v[34:37], v30 offset:3840
	s_waitcnt lgkmcnt(1)
	v_mul_f64 v[14:15], v[2:3], v[12:13]
	v_fma_f64 v[14:15], v[0:1], v[10:11], -v[14:15]
	v_add_f64 v[22:23], v[22:23], v[14:15]
	s_waitcnt lgkmcnt(0)
	v_mul_f64 v[14:15], v[2:3], v[36:37]
	v_mul_f64 v[16:17], v[0:1], v[12:13]
	v_fma_f64 v[14:15], v[0:1], v[34:35], -v[14:15]
	v_mul_f64 v[0:1], v[0:1], v[36:37]
	v_fmac_f64_e32 v[16:17], v[2:3], v[10:11]
	v_fmac_f64_e32 v[0:1], v[2:3], v[34:35]
	v_add_f64 v[24:25], v[24:25], v[16:17]
	v_add_f64 v[16:17], v[44:45], v[0:1]
	ds_read_b128 v[0:3], v31 offset:2160
	v_add_f64 v[14:15], v[42:43], v[14:15]
	s_waitcnt lgkmcnt(0)
	s_barrier
	v_mul_f64 v[18:19], v[2:3], v[12:13]
	v_mul_f64 v[12:13], v[0:1], v[12:13]
	v_fma_f64 v[18:19], v[0:1], v[10:11], -v[18:19]
	v_fmac_f64_e32 v[12:13], v[2:3], v[10:11]
	v_mul_f64 v[10:11], v[2:3], v[36:37]
	v_fma_f64 v[10:11], v[0:1], v[34:35], -v[10:11]
	v_mul_f64 v[0:1], v[0:1], v[36:37]
	v_fmac_f64_e32 v[0:1], v[2:3], v[34:35]
	v_add_f64 v[18:19], v[38:39], v[18:19]
	v_add_f64 v[20:21], v[40:41], v[12:13]
	;; [unrolled: 1-line block ×4, first 2 shown]
	s_cbranch_vccnz .LBB129_2
	s_branch .LBB129_4
.LBB129_3:
	v_pk_mov_b32 v[22:23], 0, 0
	v_pk_mov_b32 v[24:25], 0, 0
	;; [unrolled: 1-line block ×8, first 2 shown]
.LBB129_4:
	s_load_dwordx2 s[4:5], s[4:5], 0x90
	v_mov_b32_e32 v0, s3
	v_add_co_u32_e32 v6, vcc, s2, v27
	v_addc_co_u32_e32 v7, vcc, 0, v0, vcc
	s_waitcnt lgkmcnt(0)
	s_mul_i32 s3, s8, s5
	s_mul_hi_u32 s5, s8, s4
	s_mul_i32 s4, s8, s4
	s_add_i32 s5, s5, s3
	s_lshl_b64 s[4:5], s[4:5], 4
	s_add_u32 s4, s24, s4
	v_cmp_neq_f64_e64 s[6:7], s[14:15], 0
	v_cmp_neq_f64_e64 s[10:11], s[16:17], 0
	v_mov_b32_e32 v1, s1
	v_add_co_u32_e32 v0, vcc, s0, v26
	s_addc_u32 s5, s25, s5
	s_or_b64 s[6:7], s[6:7], s[10:11]
	v_addc_co_u32_e32 v1, vcc, 0, v1, vcc
	s_mov_b64 s[2:3], 0
	s_and_b64 vcc, exec, s[6:7]
	s_cbranch_vccnz .LBB129_6
; %bb.5:
	v_mul_lo_u32 v4, v7, s26
	v_mul_lo_u32 v5, v6, s27
	v_mad_u64_u32 v[2:3], s[0:1], v6, s26, 0
	v_add3_u32 v3, v3, v5, v4
	v_lshlrev_b64 v[2:3], 4, v[2:3]
	v_mov_b32_e32 v4, s5
	v_add_co_u32_e32 v26, vcc, s4, v2
	v_addc_co_u32_e32 v27, vcc, v4, v3, vcc
	v_lshlrev_b64 v[8:9], 4, v[0:1]
	v_mul_f64 v[2:3], s[40:41], v[24:25]
	v_mul_f64 v[4:5], s[38:39], v[24:25]
	v_add_co_u32_e32 v8, vcc, v26, v8
	v_fma_f64 v[2:3], s[38:39], v[22:23], -v[2:3]
	v_fmac_f64_e32 v[4:5], s[40:41], v[22:23]
	v_addc_co_u32_e32 v9, vcc, v27, v9, vcc
	global_store_dwordx4 v[8:9], v[2:5], off
	s_lshl_b64 s[0:1], s[26:27], 8
	v_mul_f64 v[2:3], s[40:41], v[16:17]
	v_mul_f64 v[4:5], s[38:39], v[16:17]
	v_fma_f64 v[2:3], s[38:39], v[14:15], -v[2:3]
	v_fmac_f64_e32 v[4:5], s[40:41], v[14:15]
	global_store_dwordx4 v[8:9], v[2:5], off offset:256
	v_mov_b32_e32 v26, s1
	v_mul_f64 v[2:3], s[40:41], v[20:21]
	v_mul_f64 v[4:5], s[38:39], v[20:21]
	v_add_co_u32_e32 v8, vcc, s0, v8
	v_fma_f64 v[2:3], s[38:39], v[18:19], -v[2:3]
	v_fmac_f64_e32 v[4:5], s[40:41], v[18:19]
	v_addc_co_u32_e32 v9, vcc, v9, v26, vcc
	global_store_dwordx4 v[8:9], v[2:5], off
	s_nop 0
	v_mul_f64 v[2:3], s[40:41], v[10:11]
	v_fma_f64 v[26:27], s[38:39], v[12:13], -v[2:3]
	v_mul_f64 v[4:5], s[38:39], v[10:11]
	v_add_co_u32_e32 v2, vcc, 0x100, v8
	v_fmac_f64_e32 v[4:5], s[40:41], v[12:13]
	v_addc_co_u32_e32 v3, vcc, 0, v9, vcc
	global_store_dwordx2 v[8:9], v[26:27], off offset:256
	s_andn2_b64 vcc, exec, s[2:3]
	s_cbranch_vccz .LBB129_7
	s_branch .LBB129_8
.LBB129_6:
                                        ; implicit-def: $vgpr4_vgpr5
                                        ; implicit-def: $vgpr2_vgpr3
.LBB129_7:
	s_mul_i32 s0, s8, s23
	s_mul_hi_u32 s1, s8, s22
	s_add_i32 s1, s1, s0
	s_mul_i32 s0, s8, s22
	s_lshl_b64 s[0:1], s[0:1], 4
	s_add_u32 s2, s18, s0
	s_addc_u32 s3, s19, s1
	v_mul_lo_u32 v4, v7, s20
	v_mul_lo_u32 v5, v6, s21
	v_mad_u64_u32 v[2:3], s[0:1], v6, s20, 0
	v_add3_u32 v3, v3, v5, v4
	v_lshlrev_b64 v[2:3], 4, v[2:3]
	v_mov_b32_e32 v4, s3
	v_add_co_u32_e32 v2, vcc, s2, v2
	v_addc_co_u32_e32 v3, vcc, v4, v3, vcc
	v_lshlrev_b64 v[4:5], 4, v[0:1]
	v_add_co_u32_e32 v8, vcc, v2, v4
	v_addc_co_u32_e32 v9, vcc, v3, v5, vcc
	global_load_dwordx4 v[0:3], v[8:9], off
	v_mul_lo_u32 v28, v7, s26
	v_mul_lo_u32 v29, v6, s27
	v_mad_u64_u32 v[6:7], s[0:1], v6, s26, 0
	v_add3_u32 v7, v7, v29, v28
	v_lshlrev_b64 v[6:7], 4, v[6:7]
	v_mov_b32_e32 v30, s5
	v_add_co_u32_e32 v6, vcc, s4, v6
	v_addc_co_u32_e32 v7, vcc, v30, v7, vcc
	v_add_co_u32_e32 v4, vcc, v6, v4
	v_mul_f64 v[26:27], s[40:41], v[24:25]
	v_mul_f64 v[24:25], s[38:39], v[24:25]
	v_addc_co_u32_e32 v5, vcc, v7, v5, vcc
	v_fma_f64 v[26:27], s[38:39], v[22:23], -v[26:27]
	v_fmac_f64_e32 v[24:25], s[40:41], v[22:23]
	s_lshl_b64 s[0:1], s[20:21], 8
	s_waitcnt vmcnt(0)
	v_mul_f64 v[6:7], s[16:17], v[2:3]
	v_mul_f64 v[2:3], s[14:15], v[2:3]
	v_fma_f64 v[6:7], s[14:15], v[0:1], -v[6:7]
	v_fmac_f64_e32 v[2:3], s[16:17], v[0:1]
	v_add_f64 v[0:1], v[26:27], v[6:7]
	v_add_f64 v[2:3], v[24:25], v[2:3]
	global_store_dwordx4 v[4:5], v[0:3], off
	global_load_dwordx4 v[0:3], v[8:9], off offset:256
	v_mul_f64 v[6:7], s[40:41], v[16:17]
	v_mul_f64 v[16:17], s[38:39], v[16:17]
	v_fma_f64 v[6:7], s[38:39], v[14:15], -v[6:7]
	v_fmac_f64_e32 v[16:17], s[40:41], v[14:15]
	v_mov_b32_e32 v14, s1
	v_add_co_u32_e32 v8, vcc, s0, v8
	v_addc_co_u32_e32 v9, vcc, v9, v14, vcc
	s_lshl_b64 s[0:1], s[26:27], 8
	s_waitcnt vmcnt(0)
	v_mul_f64 v[14:15], s[16:17], v[2:3]
	v_mul_f64 v[2:3], s[14:15], v[2:3]
	v_fma_f64 v[14:15], s[14:15], v[0:1], -v[14:15]
	v_fmac_f64_e32 v[2:3], s[16:17], v[0:1]
	v_add_f64 v[0:1], v[6:7], v[14:15]
	v_add_f64 v[2:3], v[16:17], v[2:3]
	global_store_dwordx4 v[4:5], v[0:3], off offset:256
	global_load_dwordx4 v[0:3], v[8:9], off
	v_mov_b32_e32 v17, s1
	v_add_co_u32_e32 v16, vcc, s0, v4
	v_mul_f64 v[6:7], s[40:41], v[20:21]
	v_mul_f64 v[14:15], s[38:39], v[20:21]
	v_addc_co_u32_e32 v17, vcc, v5, v17, vcc
	v_fma_f64 v[6:7], s[38:39], v[18:19], -v[6:7]
	v_fmac_f64_e32 v[14:15], s[40:41], v[18:19]
	s_waitcnt vmcnt(0)
	v_mul_f64 v[4:5], s[16:17], v[2:3]
	v_mul_f64 v[2:3], s[14:15], v[2:3]
	v_fma_f64 v[4:5], s[14:15], v[0:1], -v[4:5]
	v_fmac_f64_e32 v[2:3], s[16:17], v[0:1]
	v_add_f64 v[0:1], v[6:7], v[4:5]
	v_add_f64 v[2:3], v[14:15], v[2:3]
	global_store_dwordx4 v[16:17], v[0:3], off
	global_load_dwordx4 v[4:7], v[8:9], off offset:256
	v_mul_f64 v[0:1], s[40:41], v[10:11]
	v_mul_f64 v[8:9], s[38:39], v[10:11]
	v_fma_f64 v[0:1], s[38:39], v[12:13], -v[0:1]
	v_fmac_f64_e32 v[8:9], s[40:41], v[12:13]
	v_add_co_u32_e32 v2, vcc, 0x100, v16
	v_addc_co_u32_e32 v3, vcc, 0, v17, vcc
	s_waitcnt vmcnt(0)
	v_mul_f64 v[10:11], s[16:17], v[6:7]
	v_mul_f64 v[6:7], s[14:15], v[6:7]
	v_fma_f64 v[10:11], s[14:15], v[4:5], -v[10:11]
	v_fmac_f64_e32 v[6:7], s[16:17], v[4:5]
	v_add_f64 v[0:1], v[0:1], v[10:11]
	v_add_f64 v[4:5], v[8:9], v[6:7]
	global_store_dwordx2 v[16:17], v[0:1], off offset:256
.LBB129_8:
	global_store_dwordx2 v[2:3], v[4:5], off offset:8
	s_endpgm
	.section	.rodata,"a",@progbits
	.p2align	6, 0x0
	.amdhsa_kernel _ZN12_GLOBAL__N_127rocblas_gemm_batched_kernelI19rocblas_complex_numIdELi16ELi16ELi32ELi32ELi8ELi32ELi8ELi8ELi32ELc78ELc84EKS2_S3_S2_EEvlllT_PT11_llS6_llS4_PT12_llPT13_lli
		.amdhsa_group_segment_fixed_size 8192
		.amdhsa_private_segment_fixed_size 0
		.amdhsa_kernarg_size 156
		.amdhsa_user_sgpr_count 6
		.amdhsa_user_sgpr_private_segment_buffer 1
		.amdhsa_user_sgpr_dispatch_ptr 0
		.amdhsa_user_sgpr_queue_ptr 0
		.amdhsa_user_sgpr_kernarg_segment_ptr 1
		.amdhsa_user_sgpr_dispatch_id 0
		.amdhsa_user_sgpr_flat_scratch_init 0
		.amdhsa_user_sgpr_kernarg_preload_length 0
		.amdhsa_user_sgpr_kernarg_preload_offset 0
		.amdhsa_user_sgpr_private_segment_size 0
		.amdhsa_uses_dynamic_stack 0
		.amdhsa_system_sgpr_private_segment_wavefront_offset 0
		.amdhsa_system_sgpr_workgroup_id_x 1
		.amdhsa_system_sgpr_workgroup_id_y 1
		.amdhsa_system_sgpr_workgroup_id_z 1
		.amdhsa_system_sgpr_workgroup_info 0
		.amdhsa_system_vgpr_workitem_id 1
		.amdhsa_next_free_vgpr 56
		.amdhsa_next_free_sgpr 52
		.amdhsa_accum_offset 56
		.amdhsa_reserve_vcc 1
		.amdhsa_reserve_flat_scratch 0
		.amdhsa_float_round_mode_32 0
		.amdhsa_float_round_mode_16_64 0
		.amdhsa_float_denorm_mode_32 3
		.amdhsa_float_denorm_mode_16_64 3
		.amdhsa_dx10_clamp 1
		.amdhsa_ieee_mode 1
		.amdhsa_fp16_overflow 0
		.amdhsa_tg_split 0
		.amdhsa_exception_fp_ieee_invalid_op 0
		.amdhsa_exception_fp_denorm_src 0
		.amdhsa_exception_fp_ieee_div_zero 0
		.amdhsa_exception_fp_ieee_overflow 0
		.amdhsa_exception_fp_ieee_underflow 0
		.amdhsa_exception_fp_ieee_inexact 0
		.amdhsa_exception_int_div_zero 0
	.end_amdhsa_kernel
	.section	.text._ZN12_GLOBAL__N_127rocblas_gemm_batched_kernelI19rocblas_complex_numIdELi16ELi16ELi32ELi32ELi8ELi32ELi8ELi8ELi32ELc78ELc84EKS2_S3_S2_EEvlllT_PT11_llS6_llS4_PT12_llPT13_lli,"axG",@progbits,_ZN12_GLOBAL__N_127rocblas_gemm_batched_kernelI19rocblas_complex_numIdELi16ELi16ELi32ELi32ELi8ELi32ELi8ELi8ELi32ELc78ELc84EKS2_S3_S2_EEvlllT_PT11_llS6_llS4_PT12_llPT13_lli,comdat
.Lfunc_end129:
	.size	_ZN12_GLOBAL__N_127rocblas_gemm_batched_kernelI19rocblas_complex_numIdELi16ELi16ELi32ELi32ELi8ELi32ELi8ELi8ELi32ELc78ELc84EKS2_S3_S2_EEvlllT_PT11_llS6_llS4_PT12_llPT13_lli, .Lfunc_end129-_ZN12_GLOBAL__N_127rocblas_gemm_batched_kernelI19rocblas_complex_numIdELi16ELi16ELi32ELi32ELi8ELi32ELi8ELi8ELi32ELc78ELc84EKS2_S3_S2_EEvlllT_PT11_llS6_llS4_PT12_llPT13_lli
                                        ; -- End function
	.section	.AMDGPU.csdata,"",@progbits
; Kernel info:
; codeLenInByte = 3260
; NumSgprs: 56
; NumVgprs: 56
; NumAgprs: 0
; TotalNumVgprs: 56
; ScratchSize: 0
; MemoryBound: 0
; FloatMode: 240
; IeeeMode: 1
; LDSByteSize: 8192 bytes/workgroup (compile time only)
; SGPRBlocks: 6
; VGPRBlocks: 6
; NumSGPRsForWavesPerEU: 56
; NumVGPRsForWavesPerEU: 56
; AccumOffset: 56
; Occupancy: 8
; WaveLimiterHint : 1
; COMPUTE_PGM_RSRC2:SCRATCH_EN: 0
; COMPUTE_PGM_RSRC2:USER_SGPR: 6
; COMPUTE_PGM_RSRC2:TRAP_HANDLER: 0
; COMPUTE_PGM_RSRC2:TGID_X_EN: 1
; COMPUTE_PGM_RSRC2:TGID_Y_EN: 1
; COMPUTE_PGM_RSRC2:TGID_Z_EN: 1
; COMPUTE_PGM_RSRC2:TIDIG_COMP_CNT: 1
; COMPUTE_PGM_RSRC3_GFX90A:ACCUM_OFFSET: 13
; COMPUTE_PGM_RSRC3_GFX90A:TG_SPLIT: 0
	.section	.text._ZN12_GLOBAL__N_127rocblas_gemm_batched_kernelI19rocblas_complex_numIdELi16ELi16ELi32ELi32ELi8ELi32ELi8ELi8ELi32ELc84ELc84EKS2_S3_S2_EEvlllT_PT11_llS6_llS4_PT12_llPT13_lli,"axG",@progbits,_ZN12_GLOBAL__N_127rocblas_gemm_batched_kernelI19rocblas_complex_numIdELi16ELi16ELi32ELi32ELi8ELi32ELi8ELi8ELi32ELc84ELc84EKS2_S3_S2_EEvlllT_PT11_llS6_llS4_PT12_llPT13_lli,comdat
	.globl	_ZN12_GLOBAL__N_127rocblas_gemm_batched_kernelI19rocblas_complex_numIdELi16ELi16ELi32ELi32ELi8ELi32ELi8ELi8ELi32ELc84ELc84EKS2_S3_S2_EEvlllT_PT11_llS6_llS4_PT12_llPT13_lli ; -- Begin function _ZN12_GLOBAL__N_127rocblas_gemm_batched_kernelI19rocblas_complex_numIdELi16ELi16ELi32ELi32ELi8ELi32ELi8ELi8ELi32ELc84ELc84EKS2_S3_S2_EEvlllT_PT11_llS6_llS4_PT12_llPT13_lli
	.p2align	8
	.type	_ZN12_GLOBAL__N_127rocblas_gemm_batched_kernelI19rocblas_complex_numIdELi16ELi16ELi32ELi32ELi8ELi32ELi8ELi8ELi32ELc84ELc84EKS2_S3_S2_EEvlllT_PT11_llS6_llS4_PT12_llPT13_lli,@function
_ZN12_GLOBAL__N_127rocblas_gemm_batched_kernelI19rocblas_complex_numIdELi16ELi16ELi32ELi32ELi8ELi32ELi8ELi8ELi32ELc84ELc84EKS2_S3_S2_EEvlllT_PT11_llS6_llS4_PT12_llPT13_lli: ; @_ZN12_GLOBAL__N_127rocblas_gemm_batched_kernelI19rocblas_complex_numIdELi16ELi16ELi32ELi32ELi8ELi32ELi8ELi8ELi32ELc84ELc84EKS2_S3_S2_EEvlllT_PT11_llS6_llS4_PT12_llPT13_lli
; %bb.0:
	s_load_dwordx16 s[36:51], s[4:5], 0x10
	s_load_dwordx16 s[12:27], s[4:5], 0x50
	s_mov_b32 s2, s7
	s_ashr_i32 s7, s6, 31
	s_ashr_i32 s3, s2, 31
	s_waitcnt lgkmcnt(0)
	v_cmp_lt_i64_e64 s[10:11], s[36:37], 1
	v_bfe_u32 v27, v0, 10, 10
	v_and_b32_e32 v26, 0x3ff, v0
	s_lshl_b64 s[0:1], s[6:7], 5
	s_lshl_b64 s[2:3], s[2:3], 5
	s_mov_b64 s[6:7], 0
	s_and_b64 vcc, exec, s[10:11]
	s_cbranch_vccnz .LBB130_3
; %bb.1:
	v_lshl_add_u32 v4, v27, 4, v26
	v_lshrrev_b32_e32 v5, 3, v4
	v_mov_b32_e32 v1, s3
	v_add_co_u32_e32 v0, vcc, s2, v5
	v_addc_co_u32_e32 v1, vcc, 0, v1, vcc
	v_and_b32_e32 v6, 7, v26
	v_mad_u64_u32 v[0:1], s[10:11], v6, s50, v[0:1]
	v_mov_b32_e32 v2, v1
	v_mad_u64_u32 v[2:3], s[10:11], v6, s51, v[2:3]
	v_mov_b32_e32 v1, v2
	v_and_b32_e32 v2, 31, v4
	v_lshrrev_b32_e32 v4, 5, v4
	v_lshlrev_b32_e32 v3, 4, v2
	v_lshl_or_b32 v28, v4, 9, v3
	v_lshlrev_b32_e32 v3, 4, v6
	v_lshl_or_b32 v3, v5, 7, v3
	v_add_u32_e32 v29, 0x1000, v3
	v_mov_b32_e32 v3, 0x1000
	v_lshl_add_u32 v31, v27, 7, v3
	v_mov_b32_e32 v3, s1
	v_add_co_u32_e32 v2, vcc, s0, v2
	v_addc_co_u32_e32 v3, vcc, 0, v3, vcc
	v_mul_lo_u32 v5, s45, v2
	v_mul_lo_u32 v6, s44, v3
	v_mad_u64_u32 v[2:3], s[10:11], s44, v2, 0
	s_mul_i32 s9, s47, s8
	s_mul_hi_u32 s10, s46, s8
	v_add3_u32 v3, v3, v6, v5
	s_add_i32 s11, s10, s9
	s_mul_i32 s10, s46, s8
	v_lshlrev_b64 v[2:3], 4, v[2:3]
	s_lshl_b64 s[10:11], s[10:11], 4
	v_mov_b32_e32 v5, s11
	v_add_co_u32_e32 v2, vcc, s10, v2
	v_addc_co_u32_e32 v3, vcc, v3, v5, vcc
	v_lshlrev_b32_e32 v4, 4, v4
	s_mul_i32 s9, s13, s8
	s_mul_hi_u32 s10, s12, s8
	v_add_co_u32_e32 v2, vcc, v2, v4
	s_add_i32 s11, s10, s9
	s_mul_i32 s10, s12, s8
	v_addc_co_u32_e32 v3, vcc, 0, v3, vcc
	s_lshl_b64 s[10:11], s[10:11], 4
	v_mov_b32_e32 v5, s43
	v_add_co_u32_e32 v4, vcc, s42, v2
	s_add_u32 s9, s48, s10
	v_addc_co_u32_e32 v5, vcc, v5, v3, vcc
	v_lshlrev_b64 v[0:1], 4, v[0:1]
	s_addc_u32 s10, s49, s11
	v_mov_b32_e32 v2, s10
	v_add_co_u32_e32 v6, vcc, s9, v0
	s_lshl_b64 s[10:11], s[50:51], 7
	v_lshlrev_b32_e32 v30, 4, v26
	v_addc_co_u32_e32 v7, vcc, v2, v1, vcc
	v_pk_mov_b32 v[10:11], 0, 0
	v_mov_b32_e32 v32, s11
	v_pk_mov_b32 v[8:9], s[36:37], s[36:37] op_sel:[0,1]
	v_pk_mov_b32 v[12:13], 0, 0
	v_pk_mov_b32 v[20:21], 0, 0
	;; [unrolled: 1-line block ×7, first 2 shown]
.LBB130_2:                              ; =>This Inner Loop Header: Depth=1
	global_load_dwordx4 v[0:3], v[4:5], off
	v_add_co_u32_e32 v4, vcc, 0x80, v4
	v_addc_co_u32_e32 v5, vcc, 0, v5, vcc
	s_add_u32 s6, s6, 8
	s_addc_u32 s7, s7, 0
	s_waitcnt vmcnt(0)
	ds_write2_b64 v28, v[0:1], v[2:3] offset1:1
	global_load_dwordx4 v[0:3], v[6:7], off
	v_add_co_u32_e32 v6, vcc, s10, v6
	v_addc_co_u32_e32 v7, vcc, v7, v32, vcc
	v_cmp_lt_i64_e32 vcc, s[6:7], v[8:9]
	s_and_b64 vcc, exec, vcc
	s_waitcnt vmcnt(0)
	ds_write2_b64 v29, v[0:1], v[2:3] offset1:1
	s_waitcnt lgkmcnt(0)
	s_barrier
	ds_read_b128 v[34:37], v31
	ds_read_b128 v[38:41], v31 offset:16
	ds_read_b128 v[42:45], v31 offset:32
	ds_read_b128 v[0:3], v31 offset:48
	ds_read_b128 v[46:49], v30
	s_waitcnt lgkmcnt(0)
	v_mul_f64 v[50:51], v[36:37], v[48:49]
	v_mul_f64 v[52:53], v[34:35], v[48:49]
	v_fma_f64 v[50:51], v[34:35], v[46:47], -v[50:51]
	v_fmac_f64_e32 v[52:53], v[36:37], v[46:47]
	v_add_f64 v[50:51], v[22:23], v[50:51]
	v_add_f64 v[52:53], v[24:25], v[52:53]
	ds_read_b128 v[22:25], v30 offset:256
	s_waitcnt lgkmcnt(0)
	v_mul_f64 v[54:55], v[36:37], v[24:25]
	v_fma_f64 v[54:55], v[34:35], v[22:23], -v[54:55]
	v_mul_f64 v[34:35], v[34:35], v[24:25]
	v_fmac_f64_e32 v[34:35], v[36:37], v[22:23]
	v_add_f64 v[36:37], v[14:15], v[54:55]
	v_add_f64 v[34:35], v[16:17], v[34:35]
	ds_read_b128 v[14:17], v31 offset:2048
	s_waitcnt lgkmcnt(0)
	v_mul_f64 v[54:55], v[16:17], v[48:49]
	v_fma_f64 v[54:55], v[14:15], v[46:47], -v[54:55]
	v_mul_f64 v[48:49], v[14:15], v[48:49]
	v_fmac_f64_e32 v[48:49], v[16:17], v[46:47]
	v_add_f64 v[46:47], v[18:19], v[54:55]
	v_mul_f64 v[18:19], v[16:17], v[24:25]
	v_fma_f64 v[18:19], v[14:15], v[22:23], -v[18:19]
	v_mul_f64 v[14:15], v[14:15], v[24:25]
	v_fmac_f64_e32 v[14:15], v[16:17], v[22:23]
	v_add_f64 v[22:23], v[12:13], v[18:19]
	v_add_f64 v[24:25], v[10:11], v[14:15]
	ds_read_b128 v[10:13], v30 offset:512
	v_add_f64 v[48:49], v[20:21], v[48:49]
	s_waitcnt lgkmcnt(0)
	v_mul_f64 v[14:15], v[40:41], v[12:13]
	v_mul_f64 v[16:17], v[38:39], v[12:13]
	v_fma_f64 v[14:15], v[38:39], v[10:11], -v[14:15]
	v_fmac_f64_e32 v[16:17], v[40:41], v[10:11]
	v_add_f64 v[50:51], v[50:51], v[14:15]
	v_add_f64 v[52:53], v[52:53], v[16:17]
	ds_read_b128 v[14:17], v30 offset:768
	s_waitcnt lgkmcnt(0)
	v_mul_f64 v[18:19], v[40:41], v[16:17]
	v_mul_f64 v[20:21], v[38:39], v[16:17]
	v_fma_f64 v[18:19], v[38:39], v[14:15], -v[18:19]
	v_fmac_f64_e32 v[20:21], v[40:41], v[14:15]
	v_add_f64 v[36:37], v[36:37], v[18:19]
	v_add_f64 v[34:35], v[34:35], v[20:21]
	ds_read_b128 v[18:21], v31 offset:2064
	s_waitcnt lgkmcnt(0)
	v_mul_f64 v[38:39], v[20:21], v[12:13]
	v_mul_f64 v[12:13], v[18:19], v[12:13]
	v_fmac_f64_e32 v[12:13], v[20:21], v[10:11]
	v_fma_f64 v[38:39], v[18:19], v[10:11], -v[38:39]
	v_add_f64 v[40:41], v[48:49], v[12:13]
	v_mul_f64 v[10:11], v[20:21], v[16:17]
	v_mul_f64 v[12:13], v[18:19], v[16:17]
	v_fma_f64 v[10:11], v[18:19], v[14:15], -v[10:11]
	v_fmac_f64_e32 v[12:13], v[20:21], v[14:15]
	v_add_f64 v[22:23], v[22:23], v[10:11]
	v_add_f64 v[24:25], v[24:25], v[12:13]
	ds_read_b128 v[10:13], v30 offset:1024
	v_add_f64 v[38:39], v[46:47], v[38:39]
	s_waitcnt lgkmcnt(0)
	v_mul_f64 v[14:15], v[44:45], v[12:13]
	v_mul_f64 v[16:17], v[42:43], v[12:13]
	v_fma_f64 v[14:15], v[42:43], v[10:11], -v[14:15]
	v_fmac_f64_e32 v[16:17], v[44:45], v[10:11]
	v_add_f64 v[46:47], v[50:51], v[14:15]
	v_add_f64 v[48:49], v[52:53], v[16:17]
	ds_read_b128 v[14:17], v30 offset:1280
	s_waitcnt lgkmcnt(0)
	v_mul_f64 v[18:19], v[44:45], v[16:17]
	v_mul_f64 v[20:21], v[42:43], v[16:17]
	v_fma_f64 v[18:19], v[42:43], v[14:15], -v[18:19]
	v_fmac_f64_e32 v[20:21], v[44:45], v[14:15]
	v_add_f64 v[36:37], v[36:37], v[18:19]
	v_add_f64 v[34:35], v[34:35], v[20:21]
	ds_read_b128 v[18:21], v31 offset:2080
	s_waitcnt lgkmcnt(0)
	v_mul_f64 v[42:43], v[20:21], v[12:13]
	v_mul_f64 v[12:13], v[18:19], v[12:13]
	v_fmac_f64_e32 v[12:13], v[20:21], v[10:11]
	v_fma_f64 v[42:43], v[18:19], v[10:11], -v[42:43]
	v_add_f64 v[40:41], v[40:41], v[12:13]
	v_mul_f64 v[10:11], v[20:21], v[16:17]
	v_mul_f64 v[12:13], v[18:19], v[16:17]
	v_fma_f64 v[10:11], v[18:19], v[14:15], -v[10:11]
	v_fmac_f64_e32 v[12:13], v[20:21], v[14:15]
	v_add_f64 v[18:19], v[22:23], v[10:11]
	v_add_f64 v[20:21], v[24:25], v[12:13]
	ds_read_b128 v[10:13], v30 offset:1536
	v_add_f64 v[38:39], v[38:39], v[42:43]
	s_waitcnt lgkmcnt(0)
	v_mul_f64 v[14:15], v[2:3], v[12:13]
	v_mul_f64 v[16:17], v[0:1], v[12:13]
	v_fma_f64 v[14:15], v[0:1], v[10:11], -v[14:15]
	v_fmac_f64_e32 v[16:17], v[2:3], v[10:11]
	v_add_f64 v[22:23], v[46:47], v[14:15]
	v_add_f64 v[24:25], v[48:49], v[16:17]
	ds_read_b128 v[14:17], v30 offset:1792
	s_waitcnt lgkmcnt(0)
	v_mul_f64 v[42:43], v[2:3], v[16:17]
	v_fma_f64 v[42:43], v[0:1], v[14:15], -v[42:43]
	v_mul_f64 v[0:1], v[0:1], v[16:17]
	v_fmac_f64_e32 v[0:1], v[2:3], v[14:15]
	v_add_f64 v[34:35], v[34:35], v[0:1]
	ds_read_b128 v[0:3], v31 offset:2096
	v_add_f64 v[36:37], v[36:37], v[42:43]
	s_waitcnt lgkmcnt(0)
	v_mul_f64 v[42:43], v[2:3], v[12:13]
	v_mul_f64 v[12:13], v[0:1], v[12:13]
	v_fma_f64 v[42:43], v[0:1], v[10:11], -v[42:43]
	v_fmac_f64_e32 v[12:13], v[2:3], v[10:11]
	v_mul_f64 v[10:11], v[2:3], v[16:17]
	v_fma_f64 v[10:11], v[0:1], v[14:15], -v[10:11]
	v_mul_f64 v[0:1], v[0:1], v[16:17]
	v_fmac_f64_e32 v[0:1], v[2:3], v[14:15]
	v_add_f64 v[40:41], v[40:41], v[12:13]
	v_add_f64 v[18:19], v[18:19], v[10:11]
	v_add_f64 v[20:21], v[20:21], v[0:1]
	ds_read_b128 v[0:3], v31 offset:64
	ds_read_b128 v[10:13], v30 offset:2048
	v_add_f64 v[38:39], v[38:39], v[42:43]
	s_waitcnt lgkmcnt(0)
	v_mul_f64 v[14:15], v[2:3], v[12:13]
	v_mul_f64 v[16:17], v[0:1], v[12:13]
	v_fma_f64 v[14:15], v[0:1], v[10:11], -v[14:15]
	v_fmac_f64_e32 v[16:17], v[2:3], v[10:11]
	v_add_f64 v[22:23], v[22:23], v[14:15]
	v_add_f64 v[24:25], v[24:25], v[16:17]
	ds_read_b128 v[14:17], v30 offset:2304
	s_waitcnt lgkmcnt(0)
	v_mul_f64 v[42:43], v[2:3], v[16:17]
	v_fma_f64 v[42:43], v[0:1], v[14:15], -v[42:43]
	v_mul_f64 v[0:1], v[0:1], v[16:17]
	v_fmac_f64_e32 v[0:1], v[2:3], v[14:15]
	v_add_f64 v[34:35], v[34:35], v[0:1]
	ds_read_b128 v[0:3], v31 offset:2112
	v_add_f64 v[36:37], v[36:37], v[42:43]
	s_waitcnt lgkmcnt(0)
	v_mul_f64 v[42:43], v[2:3], v[12:13]
	v_mul_f64 v[12:13], v[0:1], v[12:13]
	v_fma_f64 v[42:43], v[0:1], v[10:11], -v[42:43]
	v_fmac_f64_e32 v[12:13], v[2:3], v[10:11]
	v_mul_f64 v[10:11], v[2:3], v[16:17]
	v_fma_f64 v[10:11], v[0:1], v[14:15], -v[10:11]
	v_mul_f64 v[0:1], v[0:1], v[16:17]
	v_fmac_f64_e32 v[0:1], v[2:3], v[14:15]
	v_add_f64 v[40:41], v[40:41], v[12:13]
	v_add_f64 v[18:19], v[18:19], v[10:11]
	v_add_f64 v[20:21], v[20:21], v[0:1]
	ds_read_b128 v[0:3], v31 offset:80
	;; [unrolled: 31-line block ×4, first 2 shown]
	ds_read_b128 v[10:13], v30 offset:3584
	v_add_f64 v[38:39], v[38:39], v[34:35]
	ds_read_b128 v[34:37], v30 offset:3840
	s_waitcnt lgkmcnt(1)
	v_mul_f64 v[14:15], v[2:3], v[12:13]
	v_fma_f64 v[14:15], v[0:1], v[10:11], -v[14:15]
	v_add_f64 v[22:23], v[22:23], v[14:15]
	s_waitcnt lgkmcnt(0)
	v_mul_f64 v[14:15], v[2:3], v[36:37]
	v_mul_f64 v[16:17], v[0:1], v[12:13]
	v_fma_f64 v[14:15], v[0:1], v[34:35], -v[14:15]
	v_mul_f64 v[0:1], v[0:1], v[36:37]
	v_fmac_f64_e32 v[16:17], v[2:3], v[10:11]
	v_fmac_f64_e32 v[0:1], v[2:3], v[34:35]
	v_add_f64 v[24:25], v[24:25], v[16:17]
	v_add_f64 v[16:17], v[44:45], v[0:1]
	ds_read_b128 v[0:3], v31 offset:2160
	v_add_f64 v[14:15], v[42:43], v[14:15]
	s_waitcnt lgkmcnt(0)
	s_barrier
	v_mul_f64 v[18:19], v[2:3], v[12:13]
	v_mul_f64 v[12:13], v[0:1], v[12:13]
	v_fma_f64 v[18:19], v[0:1], v[10:11], -v[18:19]
	v_fmac_f64_e32 v[12:13], v[2:3], v[10:11]
	v_mul_f64 v[10:11], v[2:3], v[36:37]
	v_fma_f64 v[10:11], v[0:1], v[34:35], -v[10:11]
	v_mul_f64 v[0:1], v[0:1], v[36:37]
	v_fmac_f64_e32 v[0:1], v[2:3], v[34:35]
	v_add_f64 v[18:19], v[38:39], v[18:19]
	v_add_f64 v[20:21], v[40:41], v[12:13]
	;; [unrolled: 1-line block ×4, first 2 shown]
	s_cbranch_vccnz .LBB130_2
	s_branch .LBB130_4
.LBB130_3:
	v_pk_mov_b32 v[22:23], 0, 0
	v_pk_mov_b32 v[24:25], 0, 0
	;; [unrolled: 1-line block ×8, first 2 shown]
.LBB130_4:
	s_load_dwordx2 s[4:5], s[4:5], 0x90
	v_mov_b32_e32 v0, s3
	v_add_co_u32_e32 v6, vcc, s2, v27
	v_addc_co_u32_e32 v7, vcc, 0, v0, vcc
	s_waitcnt lgkmcnt(0)
	s_mul_i32 s3, s8, s5
	s_mul_hi_u32 s5, s8, s4
	s_mul_i32 s4, s8, s4
	s_add_i32 s5, s5, s3
	s_lshl_b64 s[4:5], s[4:5], 4
	s_add_u32 s4, s24, s4
	v_cmp_neq_f64_e64 s[6:7], s[14:15], 0
	v_cmp_neq_f64_e64 s[10:11], s[16:17], 0
	v_mov_b32_e32 v1, s1
	v_add_co_u32_e32 v0, vcc, s0, v26
	s_addc_u32 s5, s25, s5
	s_or_b64 s[6:7], s[6:7], s[10:11]
	v_addc_co_u32_e32 v1, vcc, 0, v1, vcc
	s_mov_b64 s[2:3], 0
	s_and_b64 vcc, exec, s[6:7]
	s_cbranch_vccnz .LBB130_6
; %bb.5:
	v_mul_lo_u32 v4, v7, s26
	v_mul_lo_u32 v5, v6, s27
	v_mad_u64_u32 v[2:3], s[0:1], v6, s26, 0
	v_add3_u32 v3, v3, v5, v4
	v_lshlrev_b64 v[2:3], 4, v[2:3]
	v_mov_b32_e32 v4, s5
	v_add_co_u32_e32 v26, vcc, s4, v2
	v_addc_co_u32_e32 v27, vcc, v4, v3, vcc
	v_lshlrev_b64 v[8:9], 4, v[0:1]
	v_mul_f64 v[2:3], s[40:41], v[24:25]
	v_mul_f64 v[4:5], s[38:39], v[24:25]
	v_add_co_u32_e32 v8, vcc, v26, v8
	v_fma_f64 v[2:3], s[38:39], v[22:23], -v[2:3]
	v_fmac_f64_e32 v[4:5], s[40:41], v[22:23]
	v_addc_co_u32_e32 v9, vcc, v27, v9, vcc
	global_store_dwordx4 v[8:9], v[2:5], off
	s_lshl_b64 s[0:1], s[26:27], 8
	v_mul_f64 v[2:3], s[40:41], v[16:17]
	v_mul_f64 v[4:5], s[38:39], v[16:17]
	v_fma_f64 v[2:3], s[38:39], v[14:15], -v[2:3]
	v_fmac_f64_e32 v[4:5], s[40:41], v[14:15]
	global_store_dwordx4 v[8:9], v[2:5], off offset:256
	v_mov_b32_e32 v26, s1
	v_mul_f64 v[2:3], s[40:41], v[20:21]
	v_mul_f64 v[4:5], s[38:39], v[20:21]
	v_add_co_u32_e32 v8, vcc, s0, v8
	v_fma_f64 v[2:3], s[38:39], v[18:19], -v[2:3]
	v_fmac_f64_e32 v[4:5], s[40:41], v[18:19]
	v_addc_co_u32_e32 v9, vcc, v9, v26, vcc
	global_store_dwordx4 v[8:9], v[2:5], off
	s_nop 0
	v_mul_f64 v[2:3], s[40:41], v[10:11]
	v_fma_f64 v[26:27], s[38:39], v[12:13], -v[2:3]
	v_mul_f64 v[4:5], s[38:39], v[10:11]
	v_add_co_u32_e32 v2, vcc, 0x100, v8
	v_fmac_f64_e32 v[4:5], s[40:41], v[12:13]
	v_addc_co_u32_e32 v3, vcc, 0, v9, vcc
	global_store_dwordx2 v[8:9], v[26:27], off offset:256
	s_andn2_b64 vcc, exec, s[2:3]
	s_cbranch_vccz .LBB130_7
	s_branch .LBB130_8
.LBB130_6:
                                        ; implicit-def: $vgpr4_vgpr5
                                        ; implicit-def: $vgpr2_vgpr3
.LBB130_7:
	s_mul_i32 s0, s8, s23
	s_mul_hi_u32 s1, s8, s22
	s_add_i32 s1, s1, s0
	s_mul_i32 s0, s8, s22
	s_lshl_b64 s[0:1], s[0:1], 4
	s_add_u32 s2, s18, s0
	s_addc_u32 s3, s19, s1
	v_mul_lo_u32 v4, v7, s20
	v_mul_lo_u32 v5, v6, s21
	v_mad_u64_u32 v[2:3], s[0:1], v6, s20, 0
	v_add3_u32 v3, v3, v5, v4
	v_lshlrev_b64 v[2:3], 4, v[2:3]
	v_mov_b32_e32 v4, s3
	v_add_co_u32_e32 v2, vcc, s2, v2
	v_addc_co_u32_e32 v3, vcc, v4, v3, vcc
	v_lshlrev_b64 v[4:5], 4, v[0:1]
	v_add_co_u32_e32 v8, vcc, v2, v4
	v_addc_co_u32_e32 v9, vcc, v3, v5, vcc
	global_load_dwordx4 v[0:3], v[8:9], off
	v_mul_lo_u32 v28, v7, s26
	v_mul_lo_u32 v29, v6, s27
	v_mad_u64_u32 v[6:7], s[0:1], v6, s26, 0
	v_add3_u32 v7, v7, v29, v28
	v_lshlrev_b64 v[6:7], 4, v[6:7]
	v_mov_b32_e32 v30, s5
	v_add_co_u32_e32 v6, vcc, s4, v6
	v_addc_co_u32_e32 v7, vcc, v30, v7, vcc
	v_add_co_u32_e32 v4, vcc, v6, v4
	v_mul_f64 v[26:27], s[40:41], v[24:25]
	v_mul_f64 v[24:25], s[38:39], v[24:25]
	v_addc_co_u32_e32 v5, vcc, v7, v5, vcc
	v_fma_f64 v[26:27], s[38:39], v[22:23], -v[26:27]
	v_fmac_f64_e32 v[24:25], s[40:41], v[22:23]
	s_lshl_b64 s[0:1], s[20:21], 8
	s_waitcnt vmcnt(0)
	v_mul_f64 v[6:7], s[16:17], v[2:3]
	v_mul_f64 v[2:3], s[14:15], v[2:3]
	v_fma_f64 v[6:7], s[14:15], v[0:1], -v[6:7]
	v_fmac_f64_e32 v[2:3], s[16:17], v[0:1]
	v_add_f64 v[0:1], v[26:27], v[6:7]
	v_add_f64 v[2:3], v[24:25], v[2:3]
	global_store_dwordx4 v[4:5], v[0:3], off
	global_load_dwordx4 v[0:3], v[8:9], off offset:256
	v_mul_f64 v[6:7], s[40:41], v[16:17]
	v_mul_f64 v[16:17], s[38:39], v[16:17]
	v_fma_f64 v[6:7], s[38:39], v[14:15], -v[6:7]
	v_fmac_f64_e32 v[16:17], s[40:41], v[14:15]
	v_mov_b32_e32 v14, s1
	v_add_co_u32_e32 v8, vcc, s0, v8
	v_addc_co_u32_e32 v9, vcc, v9, v14, vcc
	s_lshl_b64 s[0:1], s[26:27], 8
	s_waitcnt vmcnt(0)
	v_mul_f64 v[14:15], s[16:17], v[2:3]
	v_mul_f64 v[2:3], s[14:15], v[2:3]
	v_fma_f64 v[14:15], s[14:15], v[0:1], -v[14:15]
	v_fmac_f64_e32 v[2:3], s[16:17], v[0:1]
	v_add_f64 v[0:1], v[6:7], v[14:15]
	v_add_f64 v[2:3], v[16:17], v[2:3]
	global_store_dwordx4 v[4:5], v[0:3], off offset:256
	global_load_dwordx4 v[0:3], v[8:9], off
	v_mov_b32_e32 v17, s1
	v_add_co_u32_e32 v16, vcc, s0, v4
	v_mul_f64 v[6:7], s[40:41], v[20:21]
	v_mul_f64 v[14:15], s[38:39], v[20:21]
	v_addc_co_u32_e32 v17, vcc, v5, v17, vcc
	v_fma_f64 v[6:7], s[38:39], v[18:19], -v[6:7]
	v_fmac_f64_e32 v[14:15], s[40:41], v[18:19]
	s_waitcnt vmcnt(0)
	v_mul_f64 v[4:5], s[16:17], v[2:3]
	v_mul_f64 v[2:3], s[14:15], v[2:3]
	v_fma_f64 v[4:5], s[14:15], v[0:1], -v[4:5]
	v_fmac_f64_e32 v[2:3], s[16:17], v[0:1]
	v_add_f64 v[0:1], v[6:7], v[4:5]
	v_add_f64 v[2:3], v[14:15], v[2:3]
	global_store_dwordx4 v[16:17], v[0:3], off
	global_load_dwordx4 v[4:7], v[8:9], off offset:256
	v_mul_f64 v[0:1], s[40:41], v[10:11]
	v_mul_f64 v[8:9], s[38:39], v[10:11]
	v_fma_f64 v[0:1], s[38:39], v[12:13], -v[0:1]
	v_fmac_f64_e32 v[8:9], s[40:41], v[12:13]
	v_add_co_u32_e32 v2, vcc, 0x100, v16
	v_addc_co_u32_e32 v3, vcc, 0, v17, vcc
	s_waitcnt vmcnt(0)
	v_mul_f64 v[10:11], s[16:17], v[6:7]
	v_mul_f64 v[6:7], s[14:15], v[6:7]
	v_fma_f64 v[10:11], s[14:15], v[4:5], -v[10:11]
	v_fmac_f64_e32 v[6:7], s[16:17], v[4:5]
	v_add_f64 v[0:1], v[0:1], v[10:11]
	v_add_f64 v[4:5], v[8:9], v[6:7]
	global_store_dwordx2 v[16:17], v[0:1], off offset:256
.LBB130_8:
	global_store_dwordx2 v[2:3], v[4:5], off offset:8
	s_endpgm
	.section	.rodata,"a",@progbits
	.p2align	6, 0x0
	.amdhsa_kernel _ZN12_GLOBAL__N_127rocblas_gemm_batched_kernelI19rocblas_complex_numIdELi16ELi16ELi32ELi32ELi8ELi32ELi8ELi8ELi32ELc84ELc84EKS2_S3_S2_EEvlllT_PT11_llS6_llS4_PT12_llPT13_lli
		.amdhsa_group_segment_fixed_size 8192
		.amdhsa_private_segment_fixed_size 0
		.amdhsa_kernarg_size 156
		.amdhsa_user_sgpr_count 6
		.amdhsa_user_sgpr_private_segment_buffer 1
		.amdhsa_user_sgpr_dispatch_ptr 0
		.amdhsa_user_sgpr_queue_ptr 0
		.amdhsa_user_sgpr_kernarg_segment_ptr 1
		.amdhsa_user_sgpr_dispatch_id 0
		.amdhsa_user_sgpr_flat_scratch_init 0
		.amdhsa_user_sgpr_kernarg_preload_length 0
		.amdhsa_user_sgpr_kernarg_preload_offset 0
		.amdhsa_user_sgpr_private_segment_size 0
		.amdhsa_uses_dynamic_stack 0
		.amdhsa_system_sgpr_private_segment_wavefront_offset 0
		.amdhsa_system_sgpr_workgroup_id_x 1
		.amdhsa_system_sgpr_workgroup_id_y 1
		.amdhsa_system_sgpr_workgroup_id_z 1
		.amdhsa_system_sgpr_workgroup_info 0
		.amdhsa_system_vgpr_workitem_id 1
		.amdhsa_next_free_vgpr 56
		.amdhsa_next_free_sgpr 52
		.amdhsa_accum_offset 56
		.amdhsa_reserve_vcc 1
		.amdhsa_reserve_flat_scratch 0
		.amdhsa_float_round_mode_32 0
		.amdhsa_float_round_mode_16_64 0
		.amdhsa_float_denorm_mode_32 3
		.amdhsa_float_denorm_mode_16_64 3
		.amdhsa_dx10_clamp 1
		.amdhsa_ieee_mode 1
		.amdhsa_fp16_overflow 0
		.amdhsa_tg_split 0
		.amdhsa_exception_fp_ieee_invalid_op 0
		.amdhsa_exception_fp_denorm_src 0
		.amdhsa_exception_fp_ieee_div_zero 0
		.amdhsa_exception_fp_ieee_overflow 0
		.amdhsa_exception_fp_ieee_underflow 0
		.amdhsa_exception_fp_ieee_inexact 0
		.amdhsa_exception_int_div_zero 0
	.end_amdhsa_kernel
	.section	.text._ZN12_GLOBAL__N_127rocblas_gemm_batched_kernelI19rocblas_complex_numIdELi16ELi16ELi32ELi32ELi8ELi32ELi8ELi8ELi32ELc84ELc84EKS2_S3_S2_EEvlllT_PT11_llS6_llS4_PT12_llPT13_lli,"axG",@progbits,_ZN12_GLOBAL__N_127rocblas_gemm_batched_kernelI19rocblas_complex_numIdELi16ELi16ELi32ELi32ELi8ELi32ELi8ELi8ELi32ELc84ELc84EKS2_S3_S2_EEvlllT_PT11_llS6_llS4_PT12_llPT13_lli,comdat
.Lfunc_end130:
	.size	_ZN12_GLOBAL__N_127rocblas_gemm_batched_kernelI19rocblas_complex_numIdELi16ELi16ELi32ELi32ELi8ELi32ELi8ELi8ELi32ELc84ELc84EKS2_S3_S2_EEvlllT_PT11_llS6_llS4_PT12_llPT13_lli, .Lfunc_end130-_ZN12_GLOBAL__N_127rocblas_gemm_batched_kernelI19rocblas_complex_numIdELi16ELi16ELi32ELi32ELi8ELi32ELi8ELi8ELi32ELc84ELc84EKS2_S3_S2_EEvlllT_PT11_llS6_llS4_PT12_llPT13_lli
                                        ; -- End function
	.section	.AMDGPU.csdata,"",@progbits
; Kernel info:
; codeLenInByte = 3276
; NumSgprs: 56
; NumVgprs: 56
; NumAgprs: 0
; TotalNumVgprs: 56
; ScratchSize: 0
; MemoryBound: 0
; FloatMode: 240
; IeeeMode: 1
; LDSByteSize: 8192 bytes/workgroup (compile time only)
; SGPRBlocks: 6
; VGPRBlocks: 6
; NumSGPRsForWavesPerEU: 56
; NumVGPRsForWavesPerEU: 56
; AccumOffset: 56
; Occupancy: 8
; WaveLimiterHint : 1
; COMPUTE_PGM_RSRC2:SCRATCH_EN: 0
; COMPUTE_PGM_RSRC2:USER_SGPR: 6
; COMPUTE_PGM_RSRC2:TRAP_HANDLER: 0
; COMPUTE_PGM_RSRC2:TGID_X_EN: 1
; COMPUTE_PGM_RSRC2:TGID_Y_EN: 1
; COMPUTE_PGM_RSRC2:TGID_Z_EN: 1
; COMPUTE_PGM_RSRC2:TIDIG_COMP_CNT: 1
; COMPUTE_PGM_RSRC3_GFX90A:ACCUM_OFFSET: 13
; COMPUTE_PGM_RSRC3_GFX90A:TG_SPLIT: 0
	.section	.text._ZN12_GLOBAL__N_127rocblas_gemm_batched_kernelI19rocblas_complex_numIdELi16ELi16ELi32ELi32ELi8ELi32ELi8ELi8ELi32ELc67ELc67EKS2_S3_S2_EEvlllT_PT11_llS6_llS4_PT12_llPT13_lli,"axG",@progbits,_ZN12_GLOBAL__N_127rocblas_gemm_batched_kernelI19rocblas_complex_numIdELi16ELi16ELi32ELi32ELi8ELi32ELi8ELi8ELi32ELc67ELc67EKS2_S3_S2_EEvlllT_PT11_llS6_llS4_PT12_llPT13_lli,comdat
	.globl	_ZN12_GLOBAL__N_127rocblas_gemm_batched_kernelI19rocblas_complex_numIdELi16ELi16ELi32ELi32ELi8ELi32ELi8ELi8ELi32ELc67ELc67EKS2_S3_S2_EEvlllT_PT11_llS6_llS4_PT12_llPT13_lli ; -- Begin function _ZN12_GLOBAL__N_127rocblas_gemm_batched_kernelI19rocblas_complex_numIdELi16ELi16ELi32ELi32ELi8ELi32ELi8ELi8ELi32ELc67ELc67EKS2_S3_S2_EEvlllT_PT11_llS6_llS4_PT12_llPT13_lli
	.p2align	8
	.type	_ZN12_GLOBAL__N_127rocblas_gemm_batched_kernelI19rocblas_complex_numIdELi16ELi16ELi32ELi32ELi8ELi32ELi8ELi8ELi32ELc67ELc67EKS2_S3_S2_EEvlllT_PT11_llS6_llS4_PT12_llPT13_lli,@function
_ZN12_GLOBAL__N_127rocblas_gemm_batched_kernelI19rocblas_complex_numIdELi16ELi16ELi32ELi32ELi8ELi32ELi8ELi8ELi32ELc67ELc67EKS2_S3_S2_EEvlllT_PT11_llS6_llS4_PT12_llPT13_lli: ; @_ZN12_GLOBAL__N_127rocblas_gemm_batched_kernelI19rocblas_complex_numIdELi16ELi16ELi32ELi32ELi8ELi32ELi8ELi8ELi32ELc67ELc67EKS2_S3_S2_EEvlllT_PT11_llS6_llS4_PT12_llPT13_lli
; %bb.0:
	s_load_dwordx16 s[36:51], s[4:5], 0x10
	s_load_dwordx16 s[12:27], s[4:5], 0x50
	s_mov_b32 s2, s7
	s_ashr_i32 s7, s6, 31
	s_ashr_i32 s3, s2, 31
	s_waitcnt lgkmcnt(0)
	v_cmp_lt_i64_e64 s[10:11], s[36:37], 1
	v_bfe_u32 v27, v0, 10, 10
	v_and_b32_e32 v26, 0x3ff, v0
	s_lshl_b64 s[0:1], s[6:7], 5
	s_lshl_b64 s[2:3], s[2:3], 5
	s_mov_b64 s[6:7], 0
	s_and_b64 vcc, exec, s[10:11]
	s_cbranch_vccnz .LBB131_3
; %bb.1:
	v_lshl_add_u32 v4, v27, 4, v26
	v_lshrrev_b32_e32 v5, 3, v4
	v_mov_b32_e32 v1, s3
	v_add_co_u32_e32 v0, vcc, s2, v5
	v_addc_co_u32_e32 v1, vcc, 0, v1, vcc
	v_and_b32_e32 v6, 7, v26
	v_mad_u64_u32 v[0:1], s[10:11], v6, s50, v[0:1]
	v_mov_b32_e32 v2, v1
	v_mad_u64_u32 v[2:3], s[10:11], v6, s51, v[2:3]
	v_mov_b32_e32 v1, v2
	v_and_b32_e32 v2, 31, v4
	v_lshrrev_b32_e32 v4, 5, v4
	v_lshlrev_b32_e32 v3, 4, v2
	v_lshl_or_b32 v28, v4, 9, v3
	v_lshlrev_b32_e32 v3, 4, v6
	v_lshl_or_b32 v3, v5, 7, v3
	v_add_u32_e32 v29, 0x1000, v3
	v_mov_b32_e32 v3, 0x1000
	v_lshl_add_u32 v31, v27, 7, v3
	v_mov_b32_e32 v3, s1
	v_add_co_u32_e32 v2, vcc, s0, v2
	v_addc_co_u32_e32 v3, vcc, 0, v3, vcc
	v_mul_lo_u32 v5, s45, v2
	v_mul_lo_u32 v6, s44, v3
	v_mad_u64_u32 v[2:3], s[10:11], s44, v2, 0
	s_mul_i32 s9, s47, s8
	s_mul_hi_u32 s10, s46, s8
	v_add3_u32 v3, v3, v6, v5
	s_add_i32 s11, s10, s9
	s_mul_i32 s10, s46, s8
	v_lshlrev_b64 v[2:3], 4, v[2:3]
	s_lshl_b64 s[10:11], s[10:11], 4
	v_mov_b32_e32 v5, s11
	v_add_co_u32_e32 v2, vcc, s10, v2
	v_addc_co_u32_e32 v3, vcc, v3, v5, vcc
	v_lshlrev_b32_e32 v4, 4, v4
	v_add_co_u32_e32 v2, vcc, v2, v4
	v_addc_co_u32_e32 v3, vcc, 0, v3, vcc
	s_mul_i32 s9, s13, s8
	s_mul_hi_u32 s10, s12, s8
	v_mov_b32_e32 v4, s43
	v_add_co_u32_e32 v2, vcc, s42, v2
	s_add_i32 s11, s10, s9
	s_mul_i32 s10, s12, s8
	v_addc_co_u32_e32 v3, vcc, v3, v4, vcc
	s_lshl_b64 s[10:11], s[10:11], 4
	v_add_co_u32_e32 v4, vcc, 8, v2
	s_add_u32 s9, s48, s10
	v_addc_co_u32_e32 v5, vcc, 0, v3, vcc
	v_lshlrev_b64 v[0:1], 4, v[0:1]
	s_addc_u32 s10, s49, s11
	v_mov_b32_e32 v2, s10
	v_add_co_u32_e32 v0, vcc, s9, v0
	v_addc_co_u32_e32 v1, vcc, v2, v1, vcc
	v_add_co_u32_e32 v6, vcc, 8, v0
	s_lshl_b64 s[10:11], s[50:51], 7
	v_lshlrev_b32_e32 v30, 4, v26
	v_addc_co_u32_e32 v7, vcc, 0, v1, vcc
	v_pk_mov_b32 v[10:11], 0, 0
	v_mov_b32_e32 v32, s11
	v_pk_mov_b32 v[8:9], s[36:37], s[36:37] op_sel:[0,1]
	v_pk_mov_b32 v[12:13], 0, 0
	v_pk_mov_b32 v[20:21], 0, 0
	;; [unrolled: 1-line block ×7, first 2 shown]
.LBB131_2:                              ; =>This Inner Loop Header: Depth=1
	global_load_dwordx4 v[0:3], v[4:5], off offset:-8
	v_add_co_u32_e32 v4, vcc, 0x80, v4
	v_addc_co_u32_e32 v5, vcc, 0, v5, vcc
	s_add_u32 s6, s6, 8
	s_addc_u32 s7, s7, 0
	s_waitcnt vmcnt(0)
	v_xor_b32_e32 v3, 0x80000000, v3
	ds_write_b128 v28, v[0:3]
	global_load_dwordx4 v[0:3], v[6:7], off offset:-8
	v_add_co_u32_e32 v6, vcc, s10, v6
	v_addc_co_u32_e32 v7, vcc, v7, v32, vcc
	v_cmp_lt_i64_e32 vcc, s[6:7], v[8:9]
	s_and_b64 vcc, exec, vcc
	s_waitcnt vmcnt(0)
	v_xor_b32_e32 v3, 0x80000000, v3
	ds_write_b128 v29, v[0:3]
	s_waitcnt lgkmcnt(0)
	s_barrier
	ds_read_b128 v[34:37], v31
	ds_read_b128 v[38:41], v31 offset:16
	ds_read_b128 v[42:45], v31 offset:32
	;; [unrolled: 1-line block ×3, first 2 shown]
	ds_read_b128 v[46:49], v30
	s_waitcnt lgkmcnt(0)
	v_mul_f64 v[50:51], v[36:37], v[48:49]
	v_mul_f64 v[52:53], v[34:35], v[48:49]
	v_fma_f64 v[50:51], v[34:35], v[46:47], -v[50:51]
	v_fmac_f64_e32 v[52:53], v[36:37], v[46:47]
	v_add_f64 v[50:51], v[22:23], v[50:51]
	v_add_f64 v[52:53], v[24:25], v[52:53]
	ds_read_b128 v[22:25], v30 offset:256
	s_waitcnt lgkmcnt(0)
	v_mul_f64 v[54:55], v[36:37], v[24:25]
	v_fma_f64 v[54:55], v[34:35], v[22:23], -v[54:55]
	v_mul_f64 v[34:35], v[34:35], v[24:25]
	v_fmac_f64_e32 v[34:35], v[36:37], v[22:23]
	v_add_f64 v[36:37], v[14:15], v[54:55]
	v_add_f64 v[34:35], v[16:17], v[34:35]
	ds_read_b128 v[14:17], v31 offset:2048
	s_waitcnt lgkmcnt(0)
	v_mul_f64 v[54:55], v[16:17], v[48:49]
	v_fma_f64 v[54:55], v[14:15], v[46:47], -v[54:55]
	v_mul_f64 v[48:49], v[14:15], v[48:49]
	v_fmac_f64_e32 v[48:49], v[16:17], v[46:47]
	v_add_f64 v[46:47], v[18:19], v[54:55]
	v_mul_f64 v[18:19], v[16:17], v[24:25]
	v_fma_f64 v[18:19], v[14:15], v[22:23], -v[18:19]
	v_mul_f64 v[14:15], v[14:15], v[24:25]
	v_fmac_f64_e32 v[14:15], v[16:17], v[22:23]
	v_add_f64 v[22:23], v[12:13], v[18:19]
	v_add_f64 v[24:25], v[10:11], v[14:15]
	ds_read_b128 v[10:13], v30 offset:512
	v_add_f64 v[48:49], v[20:21], v[48:49]
	s_waitcnt lgkmcnt(0)
	v_mul_f64 v[14:15], v[40:41], v[12:13]
	v_mul_f64 v[16:17], v[38:39], v[12:13]
	v_fma_f64 v[14:15], v[38:39], v[10:11], -v[14:15]
	v_fmac_f64_e32 v[16:17], v[40:41], v[10:11]
	v_add_f64 v[50:51], v[50:51], v[14:15]
	v_add_f64 v[52:53], v[52:53], v[16:17]
	ds_read_b128 v[14:17], v30 offset:768
	s_waitcnt lgkmcnt(0)
	v_mul_f64 v[18:19], v[40:41], v[16:17]
	v_mul_f64 v[20:21], v[38:39], v[16:17]
	v_fma_f64 v[18:19], v[38:39], v[14:15], -v[18:19]
	v_fmac_f64_e32 v[20:21], v[40:41], v[14:15]
	v_add_f64 v[36:37], v[36:37], v[18:19]
	v_add_f64 v[34:35], v[34:35], v[20:21]
	ds_read_b128 v[18:21], v31 offset:2064
	s_waitcnt lgkmcnt(0)
	v_mul_f64 v[38:39], v[20:21], v[12:13]
	v_mul_f64 v[12:13], v[18:19], v[12:13]
	v_fmac_f64_e32 v[12:13], v[20:21], v[10:11]
	v_fma_f64 v[38:39], v[18:19], v[10:11], -v[38:39]
	v_add_f64 v[40:41], v[48:49], v[12:13]
	v_mul_f64 v[10:11], v[20:21], v[16:17]
	v_mul_f64 v[12:13], v[18:19], v[16:17]
	v_fma_f64 v[10:11], v[18:19], v[14:15], -v[10:11]
	v_fmac_f64_e32 v[12:13], v[20:21], v[14:15]
	v_add_f64 v[22:23], v[22:23], v[10:11]
	v_add_f64 v[24:25], v[24:25], v[12:13]
	ds_read_b128 v[10:13], v30 offset:1024
	v_add_f64 v[38:39], v[46:47], v[38:39]
	s_waitcnt lgkmcnt(0)
	v_mul_f64 v[14:15], v[44:45], v[12:13]
	v_mul_f64 v[16:17], v[42:43], v[12:13]
	v_fma_f64 v[14:15], v[42:43], v[10:11], -v[14:15]
	v_fmac_f64_e32 v[16:17], v[44:45], v[10:11]
	v_add_f64 v[46:47], v[50:51], v[14:15]
	v_add_f64 v[48:49], v[52:53], v[16:17]
	ds_read_b128 v[14:17], v30 offset:1280
	s_waitcnt lgkmcnt(0)
	v_mul_f64 v[18:19], v[44:45], v[16:17]
	v_mul_f64 v[20:21], v[42:43], v[16:17]
	v_fma_f64 v[18:19], v[42:43], v[14:15], -v[18:19]
	v_fmac_f64_e32 v[20:21], v[44:45], v[14:15]
	v_add_f64 v[36:37], v[36:37], v[18:19]
	v_add_f64 v[34:35], v[34:35], v[20:21]
	ds_read_b128 v[18:21], v31 offset:2080
	s_waitcnt lgkmcnt(0)
	v_mul_f64 v[42:43], v[20:21], v[12:13]
	v_mul_f64 v[12:13], v[18:19], v[12:13]
	v_fmac_f64_e32 v[12:13], v[20:21], v[10:11]
	v_fma_f64 v[42:43], v[18:19], v[10:11], -v[42:43]
	v_add_f64 v[40:41], v[40:41], v[12:13]
	v_mul_f64 v[10:11], v[20:21], v[16:17]
	v_mul_f64 v[12:13], v[18:19], v[16:17]
	v_fma_f64 v[10:11], v[18:19], v[14:15], -v[10:11]
	v_fmac_f64_e32 v[12:13], v[20:21], v[14:15]
	v_add_f64 v[18:19], v[22:23], v[10:11]
	v_add_f64 v[20:21], v[24:25], v[12:13]
	ds_read_b128 v[10:13], v30 offset:1536
	v_add_f64 v[38:39], v[38:39], v[42:43]
	s_waitcnt lgkmcnt(0)
	v_mul_f64 v[14:15], v[2:3], v[12:13]
	v_mul_f64 v[16:17], v[0:1], v[12:13]
	v_fma_f64 v[14:15], v[0:1], v[10:11], -v[14:15]
	v_fmac_f64_e32 v[16:17], v[2:3], v[10:11]
	v_add_f64 v[22:23], v[46:47], v[14:15]
	v_add_f64 v[24:25], v[48:49], v[16:17]
	ds_read_b128 v[14:17], v30 offset:1792
	s_waitcnt lgkmcnt(0)
	v_mul_f64 v[42:43], v[2:3], v[16:17]
	v_fma_f64 v[42:43], v[0:1], v[14:15], -v[42:43]
	v_mul_f64 v[0:1], v[0:1], v[16:17]
	v_fmac_f64_e32 v[0:1], v[2:3], v[14:15]
	v_add_f64 v[34:35], v[34:35], v[0:1]
	ds_read_b128 v[0:3], v31 offset:2096
	v_add_f64 v[36:37], v[36:37], v[42:43]
	s_waitcnt lgkmcnt(0)
	v_mul_f64 v[42:43], v[2:3], v[12:13]
	v_mul_f64 v[12:13], v[0:1], v[12:13]
	v_fma_f64 v[42:43], v[0:1], v[10:11], -v[42:43]
	v_fmac_f64_e32 v[12:13], v[2:3], v[10:11]
	v_mul_f64 v[10:11], v[2:3], v[16:17]
	v_fma_f64 v[10:11], v[0:1], v[14:15], -v[10:11]
	v_mul_f64 v[0:1], v[0:1], v[16:17]
	v_fmac_f64_e32 v[0:1], v[2:3], v[14:15]
	v_add_f64 v[40:41], v[40:41], v[12:13]
	v_add_f64 v[18:19], v[18:19], v[10:11]
	v_add_f64 v[20:21], v[20:21], v[0:1]
	ds_read_b128 v[0:3], v31 offset:64
	ds_read_b128 v[10:13], v30 offset:2048
	v_add_f64 v[38:39], v[38:39], v[42:43]
	s_waitcnt lgkmcnt(0)
	v_mul_f64 v[14:15], v[2:3], v[12:13]
	v_mul_f64 v[16:17], v[0:1], v[12:13]
	v_fma_f64 v[14:15], v[0:1], v[10:11], -v[14:15]
	v_fmac_f64_e32 v[16:17], v[2:3], v[10:11]
	v_add_f64 v[22:23], v[22:23], v[14:15]
	v_add_f64 v[24:25], v[24:25], v[16:17]
	ds_read_b128 v[14:17], v30 offset:2304
	s_waitcnt lgkmcnt(0)
	v_mul_f64 v[42:43], v[2:3], v[16:17]
	v_fma_f64 v[42:43], v[0:1], v[14:15], -v[42:43]
	v_mul_f64 v[0:1], v[0:1], v[16:17]
	v_fmac_f64_e32 v[0:1], v[2:3], v[14:15]
	v_add_f64 v[34:35], v[34:35], v[0:1]
	ds_read_b128 v[0:3], v31 offset:2112
	v_add_f64 v[36:37], v[36:37], v[42:43]
	s_waitcnt lgkmcnt(0)
	v_mul_f64 v[42:43], v[2:3], v[12:13]
	v_mul_f64 v[12:13], v[0:1], v[12:13]
	v_fma_f64 v[42:43], v[0:1], v[10:11], -v[42:43]
	v_fmac_f64_e32 v[12:13], v[2:3], v[10:11]
	v_mul_f64 v[10:11], v[2:3], v[16:17]
	v_fma_f64 v[10:11], v[0:1], v[14:15], -v[10:11]
	v_mul_f64 v[0:1], v[0:1], v[16:17]
	v_fmac_f64_e32 v[0:1], v[2:3], v[14:15]
	v_add_f64 v[40:41], v[40:41], v[12:13]
	v_add_f64 v[18:19], v[18:19], v[10:11]
	v_add_f64 v[20:21], v[20:21], v[0:1]
	ds_read_b128 v[0:3], v31 offset:80
	;; [unrolled: 31-line block ×4, first 2 shown]
	ds_read_b128 v[10:13], v30 offset:3584
	v_add_f64 v[38:39], v[38:39], v[34:35]
	ds_read_b128 v[34:37], v30 offset:3840
	s_waitcnt lgkmcnt(1)
	v_mul_f64 v[14:15], v[2:3], v[12:13]
	v_fma_f64 v[14:15], v[0:1], v[10:11], -v[14:15]
	v_add_f64 v[22:23], v[22:23], v[14:15]
	s_waitcnt lgkmcnt(0)
	v_mul_f64 v[14:15], v[2:3], v[36:37]
	v_mul_f64 v[16:17], v[0:1], v[12:13]
	v_fma_f64 v[14:15], v[0:1], v[34:35], -v[14:15]
	v_mul_f64 v[0:1], v[0:1], v[36:37]
	v_fmac_f64_e32 v[16:17], v[2:3], v[10:11]
	v_fmac_f64_e32 v[0:1], v[2:3], v[34:35]
	v_add_f64 v[24:25], v[24:25], v[16:17]
	v_add_f64 v[16:17], v[44:45], v[0:1]
	ds_read_b128 v[0:3], v31 offset:2160
	v_add_f64 v[14:15], v[42:43], v[14:15]
	s_waitcnt lgkmcnt(0)
	s_barrier
	v_mul_f64 v[18:19], v[2:3], v[12:13]
	v_mul_f64 v[12:13], v[0:1], v[12:13]
	v_fma_f64 v[18:19], v[0:1], v[10:11], -v[18:19]
	v_fmac_f64_e32 v[12:13], v[2:3], v[10:11]
	v_mul_f64 v[10:11], v[2:3], v[36:37]
	v_fma_f64 v[10:11], v[0:1], v[34:35], -v[10:11]
	v_mul_f64 v[0:1], v[0:1], v[36:37]
	v_fmac_f64_e32 v[0:1], v[2:3], v[34:35]
	v_add_f64 v[18:19], v[38:39], v[18:19]
	v_add_f64 v[20:21], v[40:41], v[12:13]
	;; [unrolled: 1-line block ×4, first 2 shown]
	s_cbranch_vccnz .LBB131_2
	s_branch .LBB131_4
.LBB131_3:
	v_pk_mov_b32 v[22:23], 0, 0
	v_pk_mov_b32 v[24:25], 0, 0
	;; [unrolled: 1-line block ×8, first 2 shown]
.LBB131_4:
	s_load_dwordx2 s[4:5], s[4:5], 0x90
	v_mov_b32_e32 v0, s3
	v_add_co_u32_e32 v6, vcc, s2, v27
	v_addc_co_u32_e32 v7, vcc, 0, v0, vcc
	s_waitcnt lgkmcnt(0)
	s_mul_i32 s3, s8, s5
	s_mul_hi_u32 s5, s8, s4
	s_mul_i32 s4, s8, s4
	s_add_i32 s5, s5, s3
	s_lshl_b64 s[4:5], s[4:5], 4
	s_add_u32 s4, s24, s4
	v_cmp_neq_f64_e64 s[6:7], s[14:15], 0
	v_cmp_neq_f64_e64 s[10:11], s[16:17], 0
	v_mov_b32_e32 v1, s1
	v_add_co_u32_e32 v0, vcc, s0, v26
	s_addc_u32 s5, s25, s5
	s_or_b64 s[6:7], s[6:7], s[10:11]
	v_addc_co_u32_e32 v1, vcc, 0, v1, vcc
	s_mov_b64 s[2:3], 0
	s_and_b64 vcc, exec, s[6:7]
	s_cbranch_vccnz .LBB131_6
; %bb.5:
	v_mul_lo_u32 v4, v7, s26
	v_mul_lo_u32 v5, v6, s27
	v_mad_u64_u32 v[2:3], s[0:1], v6, s26, 0
	v_add3_u32 v3, v3, v5, v4
	v_lshlrev_b64 v[2:3], 4, v[2:3]
	v_mov_b32_e32 v4, s5
	v_add_co_u32_e32 v26, vcc, s4, v2
	v_addc_co_u32_e32 v27, vcc, v4, v3, vcc
	v_lshlrev_b64 v[8:9], 4, v[0:1]
	v_mul_f64 v[2:3], s[40:41], v[24:25]
	v_mul_f64 v[4:5], s[38:39], v[24:25]
	v_add_co_u32_e32 v8, vcc, v26, v8
	v_fma_f64 v[2:3], s[38:39], v[22:23], -v[2:3]
	v_fmac_f64_e32 v[4:5], s[40:41], v[22:23]
	v_addc_co_u32_e32 v9, vcc, v27, v9, vcc
	global_store_dwordx4 v[8:9], v[2:5], off
	s_lshl_b64 s[0:1], s[26:27], 8
	v_mul_f64 v[2:3], s[40:41], v[16:17]
	v_mul_f64 v[4:5], s[38:39], v[16:17]
	v_fma_f64 v[2:3], s[38:39], v[14:15], -v[2:3]
	v_fmac_f64_e32 v[4:5], s[40:41], v[14:15]
	global_store_dwordx4 v[8:9], v[2:5], off offset:256
	v_mov_b32_e32 v26, s1
	v_mul_f64 v[2:3], s[40:41], v[20:21]
	v_mul_f64 v[4:5], s[38:39], v[20:21]
	v_add_co_u32_e32 v8, vcc, s0, v8
	v_fma_f64 v[2:3], s[38:39], v[18:19], -v[2:3]
	v_fmac_f64_e32 v[4:5], s[40:41], v[18:19]
	v_addc_co_u32_e32 v9, vcc, v9, v26, vcc
	global_store_dwordx4 v[8:9], v[2:5], off
	s_nop 0
	v_mul_f64 v[2:3], s[40:41], v[10:11]
	v_fma_f64 v[26:27], s[38:39], v[12:13], -v[2:3]
	v_mul_f64 v[4:5], s[38:39], v[10:11]
	v_add_co_u32_e32 v2, vcc, 0x100, v8
	v_fmac_f64_e32 v[4:5], s[40:41], v[12:13]
	v_addc_co_u32_e32 v3, vcc, 0, v9, vcc
	global_store_dwordx2 v[8:9], v[26:27], off offset:256
	s_andn2_b64 vcc, exec, s[2:3]
	s_cbranch_vccz .LBB131_7
	s_branch .LBB131_8
.LBB131_6:
                                        ; implicit-def: $vgpr4_vgpr5
                                        ; implicit-def: $vgpr2_vgpr3
.LBB131_7:
	s_mul_i32 s0, s8, s23
	s_mul_hi_u32 s1, s8, s22
	s_add_i32 s1, s1, s0
	s_mul_i32 s0, s8, s22
	s_lshl_b64 s[0:1], s[0:1], 4
	s_add_u32 s2, s18, s0
	s_addc_u32 s3, s19, s1
	v_mul_lo_u32 v4, v7, s20
	v_mul_lo_u32 v5, v6, s21
	v_mad_u64_u32 v[2:3], s[0:1], v6, s20, 0
	v_add3_u32 v3, v3, v5, v4
	v_lshlrev_b64 v[2:3], 4, v[2:3]
	v_mov_b32_e32 v4, s3
	v_add_co_u32_e32 v2, vcc, s2, v2
	v_addc_co_u32_e32 v3, vcc, v4, v3, vcc
	v_lshlrev_b64 v[4:5], 4, v[0:1]
	v_add_co_u32_e32 v8, vcc, v2, v4
	v_addc_co_u32_e32 v9, vcc, v3, v5, vcc
	global_load_dwordx4 v[0:3], v[8:9], off
	v_mul_lo_u32 v28, v7, s26
	v_mul_lo_u32 v29, v6, s27
	v_mad_u64_u32 v[6:7], s[0:1], v6, s26, 0
	v_add3_u32 v7, v7, v29, v28
	v_lshlrev_b64 v[6:7], 4, v[6:7]
	v_mov_b32_e32 v30, s5
	v_add_co_u32_e32 v6, vcc, s4, v6
	v_addc_co_u32_e32 v7, vcc, v30, v7, vcc
	v_add_co_u32_e32 v4, vcc, v6, v4
	v_mul_f64 v[26:27], s[40:41], v[24:25]
	v_mul_f64 v[24:25], s[38:39], v[24:25]
	v_addc_co_u32_e32 v5, vcc, v7, v5, vcc
	v_fma_f64 v[26:27], s[38:39], v[22:23], -v[26:27]
	v_fmac_f64_e32 v[24:25], s[40:41], v[22:23]
	s_lshl_b64 s[0:1], s[20:21], 8
	s_waitcnt vmcnt(0)
	v_mul_f64 v[6:7], s[16:17], v[2:3]
	v_mul_f64 v[2:3], s[14:15], v[2:3]
	v_fma_f64 v[6:7], s[14:15], v[0:1], -v[6:7]
	v_fmac_f64_e32 v[2:3], s[16:17], v[0:1]
	v_add_f64 v[0:1], v[26:27], v[6:7]
	v_add_f64 v[2:3], v[24:25], v[2:3]
	global_store_dwordx4 v[4:5], v[0:3], off
	global_load_dwordx4 v[0:3], v[8:9], off offset:256
	v_mul_f64 v[6:7], s[40:41], v[16:17]
	v_mul_f64 v[16:17], s[38:39], v[16:17]
	v_fma_f64 v[6:7], s[38:39], v[14:15], -v[6:7]
	v_fmac_f64_e32 v[16:17], s[40:41], v[14:15]
	v_mov_b32_e32 v14, s1
	v_add_co_u32_e32 v8, vcc, s0, v8
	v_addc_co_u32_e32 v9, vcc, v9, v14, vcc
	s_lshl_b64 s[0:1], s[26:27], 8
	s_waitcnt vmcnt(0)
	v_mul_f64 v[14:15], s[16:17], v[2:3]
	v_mul_f64 v[2:3], s[14:15], v[2:3]
	v_fma_f64 v[14:15], s[14:15], v[0:1], -v[14:15]
	v_fmac_f64_e32 v[2:3], s[16:17], v[0:1]
	v_add_f64 v[0:1], v[6:7], v[14:15]
	v_add_f64 v[2:3], v[16:17], v[2:3]
	global_store_dwordx4 v[4:5], v[0:3], off offset:256
	global_load_dwordx4 v[0:3], v[8:9], off
	v_mov_b32_e32 v17, s1
	v_add_co_u32_e32 v16, vcc, s0, v4
	v_mul_f64 v[6:7], s[40:41], v[20:21]
	v_mul_f64 v[14:15], s[38:39], v[20:21]
	v_addc_co_u32_e32 v17, vcc, v5, v17, vcc
	v_fma_f64 v[6:7], s[38:39], v[18:19], -v[6:7]
	v_fmac_f64_e32 v[14:15], s[40:41], v[18:19]
	s_waitcnt vmcnt(0)
	v_mul_f64 v[4:5], s[16:17], v[2:3]
	v_mul_f64 v[2:3], s[14:15], v[2:3]
	v_fma_f64 v[4:5], s[14:15], v[0:1], -v[4:5]
	v_fmac_f64_e32 v[2:3], s[16:17], v[0:1]
	v_add_f64 v[0:1], v[6:7], v[4:5]
	v_add_f64 v[2:3], v[14:15], v[2:3]
	global_store_dwordx4 v[16:17], v[0:3], off
	global_load_dwordx4 v[4:7], v[8:9], off offset:256
	v_mul_f64 v[0:1], s[40:41], v[10:11]
	v_mul_f64 v[8:9], s[38:39], v[10:11]
	v_fma_f64 v[0:1], s[38:39], v[12:13], -v[0:1]
	v_fmac_f64_e32 v[8:9], s[40:41], v[12:13]
	v_add_co_u32_e32 v2, vcc, 0x100, v16
	v_addc_co_u32_e32 v3, vcc, 0, v17, vcc
	s_waitcnt vmcnt(0)
	v_mul_f64 v[10:11], s[16:17], v[6:7]
	v_mul_f64 v[6:7], s[14:15], v[6:7]
	v_fma_f64 v[10:11], s[14:15], v[4:5], -v[10:11]
	v_fmac_f64_e32 v[6:7], s[16:17], v[4:5]
	v_add_f64 v[0:1], v[0:1], v[10:11]
	v_add_f64 v[4:5], v[8:9], v[6:7]
	global_store_dwordx2 v[16:17], v[0:1], off offset:256
.LBB131_8:
	global_store_dwordx2 v[2:3], v[4:5], off offset:8
	s_endpgm
	.section	.rodata,"a",@progbits
	.p2align	6, 0x0
	.amdhsa_kernel _ZN12_GLOBAL__N_127rocblas_gemm_batched_kernelI19rocblas_complex_numIdELi16ELi16ELi32ELi32ELi8ELi32ELi8ELi8ELi32ELc67ELc67EKS2_S3_S2_EEvlllT_PT11_llS6_llS4_PT12_llPT13_lli
		.amdhsa_group_segment_fixed_size 8192
		.amdhsa_private_segment_fixed_size 0
		.amdhsa_kernarg_size 156
		.amdhsa_user_sgpr_count 6
		.amdhsa_user_sgpr_private_segment_buffer 1
		.amdhsa_user_sgpr_dispatch_ptr 0
		.amdhsa_user_sgpr_queue_ptr 0
		.amdhsa_user_sgpr_kernarg_segment_ptr 1
		.amdhsa_user_sgpr_dispatch_id 0
		.amdhsa_user_sgpr_flat_scratch_init 0
		.amdhsa_user_sgpr_kernarg_preload_length 0
		.amdhsa_user_sgpr_kernarg_preload_offset 0
		.amdhsa_user_sgpr_private_segment_size 0
		.amdhsa_uses_dynamic_stack 0
		.amdhsa_system_sgpr_private_segment_wavefront_offset 0
		.amdhsa_system_sgpr_workgroup_id_x 1
		.amdhsa_system_sgpr_workgroup_id_y 1
		.amdhsa_system_sgpr_workgroup_id_z 1
		.amdhsa_system_sgpr_workgroup_info 0
		.amdhsa_system_vgpr_workitem_id 1
		.amdhsa_next_free_vgpr 56
		.amdhsa_next_free_sgpr 52
		.amdhsa_accum_offset 56
		.amdhsa_reserve_vcc 1
		.amdhsa_reserve_flat_scratch 0
		.amdhsa_float_round_mode_32 0
		.amdhsa_float_round_mode_16_64 0
		.amdhsa_float_denorm_mode_32 3
		.amdhsa_float_denorm_mode_16_64 3
		.amdhsa_dx10_clamp 1
		.amdhsa_ieee_mode 1
		.amdhsa_fp16_overflow 0
		.amdhsa_tg_split 0
		.amdhsa_exception_fp_ieee_invalid_op 0
		.amdhsa_exception_fp_denorm_src 0
		.amdhsa_exception_fp_ieee_div_zero 0
		.amdhsa_exception_fp_ieee_overflow 0
		.amdhsa_exception_fp_ieee_underflow 0
		.amdhsa_exception_fp_ieee_inexact 0
		.amdhsa_exception_int_div_zero 0
	.end_amdhsa_kernel
	.section	.text._ZN12_GLOBAL__N_127rocblas_gemm_batched_kernelI19rocblas_complex_numIdELi16ELi16ELi32ELi32ELi8ELi32ELi8ELi8ELi32ELc67ELc67EKS2_S3_S2_EEvlllT_PT11_llS6_llS4_PT12_llPT13_lli,"axG",@progbits,_ZN12_GLOBAL__N_127rocblas_gemm_batched_kernelI19rocblas_complex_numIdELi16ELi16ELi32ELi32ELi8ELi32ELi8ELi8ELi32ELc67ELc67EKS2_S3_S2_EEvlllT_PT11_llS6_llS4_PT12_llPT13_lli,comdat
.Lfunc_end131:
	.size	_ZN12_GLOBAL__N_127rocblas_gemm_batched_kernelI19rocblas_complex_numIdELi16ELi16ELi32ELi32ELi8ELi32ELi8ELi8ELi32ELc67ELc67EKS2_S3_S2_EEvlllT_PT11_llS6_llS4_PT12_llPT13_lli, .Lfunc_end131-_ZN12_GLOBAL__N_127rocblas_gemm_batched_kernelI19rocblas_complex_numIdELi16ELi16ELi32ELi32ELi8ELi32ELi8ELi8ELi32ELc67ELc67EKS2_S3_S2_EEvlllT_PT11_llS6_llS4_PT12_llPT13_lli
                                        ; -- End function
	.section	.AMDGPU.csdata,"",@progbits
; Kernel info:
; codeLenInByte = 3308
; NumSgprs: 56
; NumVgprs: 56
; NumAgprs: 0
; TotalNumVgprs: 56
; ScratchSize: 0
; MemoryBound: 0
; FloatMode: 240
; IeeeMode: 1
; LDSByteSize: 8192 bytes/workgroup (compile time only)
; SGPRBlocks: 6
; VGPRBlocks: 6
; NumSGPRsForWavesPerEU: 56
; NumVGPRsForWavesPerEU: 56
; AccumOffset: 56
; Occupancy: 8
; WaveLimiterHint : 1
; COMPUTE_PGM_RSRC2:SCRATCH_EN: 0
; COMPUTE_PGM_RSRC2:USER_SGPR: 6
; COMPUTE_PGM_RSRC2:TRAP_HANDLER: 0
; COMPUTE_PGM_RSRC2:TGID_X_EN: 1
; COMPUTE_PGM_RSRC2:TGID_Y_EN: 1
; COMPUTE_PGM_RSRC2:TGID_Z_EN: 1
; COMPUTE_PGM_RSRC2:TIDIG_COMP_CNT: 1
; COMPUTE_PGM_RSRC3_GFX90A:ACCUM_OFFSET: 13
; COMPUTE_PGM_RSRC3_GFX90A:TG_SPLIT: 0
	.section	.text._ZN12_GLOBAL__N_127rocblas_gemm_batched_kernelI19rocblas_complex_numIdELi16ELi16ELi32ELi32ELi8ELi32ELi8ELi8ELi32ELc67ELc78EKS2_S3_S2_EEvlllT_PT11_llS6_llS4_PT12_llPT13_lli,"axG",@progbits,_ZN12_GLOBAL__N_127rocblas_gemm_batched_kernelI19rocblas_complex_numIdELi16ELi16ELi32ELi32ELi8ELi32ELi8ELi8ELi32ELc67ELc78EKS2_S3_S2_EEvlllT_PT11_llS6_llS4_PT12_llPT13_lli,comdat
	.globl	_ZN12_GLOBAL__N_127rocblas_gemm_batched_kernelI19rocblas_complex_numIdELi16ELi16ELi32ELi32ELi8ELi32ELi8ELi8ELi32ELc67ELc78EKS2_S3_S2_EEvlllT_PT11_llS6_llS4_PT12_llPT13_lli ; -- Begin function _ZN12_GLOBAL__N_127rocblas_gemm_batched_kernelI19rocblas_complex_numIdELi16ELi16ELi32ELi32ELi8ELi32ELi8ELi8ELi32ELc67ELc78EKS2_S3_S2_EEvlllT_PT11_llS6_llS4_PT12_llPT13_lli
	.p2align	8
	.type	_ZN12_GLOBAL__N_127rocblas_gemm_batched_kernelI19rocblas_complex_numIdELi16ELi16ELi32ELi32ELi8ELi32ELi8ELi8ELi32ELc67ELc78EKS2_S3_S2_EEvlllT_PT11_llS6_llS4_PT12_llPT13_lli,@function
_ZN12_GLOBAL__N_127rocblas_gemm_batched_kernelI19rocblas_complex_numIdELi16ELi16ELi32ELi32ELi8ELi32ELi8ELi8ELi32ELc67ELc78EKS2_S3_S2_EEvlllT_PT11_llS6_llS4_PT12_llPT13_lli: ; @_ZN12_GLOBAL__N_127rocblas_gemm_batched_kernelI19rocblas_complex_numIdELi16ELi16ELi32ELi32ELi8ELi32ELi8ELi8ELi32ELc67ELc78EKS2_S3_S2_EEvlllT_PT11_llS6_llS4_PT12_llPT13_lli
; %bb.0:
	s_load_dwordx16 s[36:51], s[4:5], 0x10
	s_load_dwordx16 s[12:27], s[4:5], 0x50
	s_mov_b32 s2, s7
	s_ashr_i32 s7, s6, 31
	s_ashr_i32 s3, s2, 31
	s_waitcnt lgkmcnt(0)
	v_cmp_lt_i64_e64 s[10:11], s[36:37], 1
	v_bfe_u32 v27, v0, 10, 10
	v_and_b32_e32 v26, 0x3ff, v0
	s_lshl_b64 s[0:1], s[6:7], 5
	s_lshl_b64 s[2:3], s[2:3], 5
	s_mov_b64 s[6:7], 0
	s_and_b64 vcc, exec, s[10:11]
	s_cbranch_vccnz .LBB132_3
; %bb.1:
	v_lshl_add_u32 v0, v27, 4, v26
	v_and_b32_e32 v4, 7, v26
	v_and_b32_e32 v5, 31, v0
	v_lshrrev_b32_e32 v1, 3, v0
	v_lshrrev_b32_e32 v6, 5, v0
	v_lshlrev_b32_e32 v0, 4, v5
	v_lshlrev_b32_e32 v7, 4, v4
	v_mov_b32_e32 v2, s3
	v_add_co_u32_e32 v3, vcc, s2, v1
	v_lshl_or_b32 v28, v6, 9, v0
	v_lshl_or_b32 v0, v1, 7, v7
	v_addc_co_u32_e32 v2, vcc, 0, v2, vcc
	v_add_u32_e32 v29, 0x1000, v0
	v_mov_b32_e32 v0, 0x1000
	v_lshl_add_u32 v31, v27, 7, v0
	v_mov_b32_e32 v0, s1
	v_add_co_u32_e32 v1, vcc, s0, v5
	v_addc_co_u32_e32 v0, vcc, 0, v0, vcc
	v_mul_lo_u32 v4, s45, v1
	v_mul_lo_u32 v5, s44, v0
	v_mad_u64_u32 v[0:1], s[10:11], s44, v1, 0
	s_mul_i32 s9, s47, s8
	s_mul_hi_u32 s10, s46, s8
	v_add3_u32 v1, v1, v5, v4
	s_add_i32 s11, s10, s9
	s_mul_i32 s10, s46, s8
	v_lshlrev_b64 v[0:1], 4, v[0:1]
	s_lshl_b64 s[10:11], s[10:11], 4
	v_mov_b32_e32 v4, s11
	v_add_co_u32_e32 v0, vcc, s10, v0
	v_addc_co_u32_e32 v1, vcc, v1, v4, vcc
	v_lshlrev_b32_e32 v4, 4, v6
	v_add_co_u32_e32 v0, vcc, v0, v4
	v_addc_co_u32_e32 v1, vcc, 0, v1, vcc
	v_mov_b32_e32 v4, s43
	v_add_co_u32_e32 v0, vcc, s42, v0
	v_addc_co_u32_e32 v1, vcc, v1, v4, vcc
	v_add_co_u32_e32 v4, vcc, 8, v0
	v_addc_co_u32_e32 v5, vcc, 0, v1, vcc
	v_mad_u64_u32 v[0:1], s[10:11], s50, v3, 0
	v_mul_lo_u32 v6, s51, v3
	v_mul_lo_u32 v2, s50, v2
	s_mul_i32 s9, s13, s8
	s_mul_hi_u32 s10, s12, s8
	v_add3_u32 v1, v1, v2, v6
	s_add_i32 s11, s10, s9
	s_mul_i32 s10, s12, s8
	v_lshlrev_b64 v[0:1], 4, v[0:1]
	s_lshl_b64 s[10:11], s[10:11], 4
	v_mov_b32_e32 v2, s11
	v_add_co_u32_e32 v0, vcc, s10, v0
	v_addc_co_u32_e32 v1, vcc, v1, v2, vcc
	v_add_co_u32_e32 v0, vcc, v0, v7
	v_addc_co_u32_e32 v1, vcc, 0, v1, vcc
	v_mov_b32_e32 v2, s49
	v_add_co_u32_e32 v6, vcc, s48, v0
	v_lshlrev_b32_e32 v30, 4, v26
	v_addc_co_u32_e32 v7, vcc, v2, v1, vcc
	v_pk_mov_b32 v[10:11], 0, 0
	v_pk_mov_b32 v[8:9], s[36:37], s[36:37] op_sel:[0,1]
	v_pk_mov_b32 v[12:13], 0, 0
	v_pk_mov_b32 v[20:21], 0, 0
	;; [unrolled: 1-line block ×7, first 2 shown]
.LBB132_2:                              ; =>This Inner Loop Header: Depth=1
	global_load_dwordx4 v[0:3], v[4:5], off offset:-8
	v_add_co_u32_e32 v4, vcc, 0x80, v4
	v_addc_co_u32_e32 v5, vcc, 0, v5, vcc
	s_add_u32 s6, s6, 8
	s_addc_u32 s7, s7, 0
	s_waitcnt vmcnt(0)
	v_xor_b32_e32 v3, 0x80000000, v3
	ds_write_b128 v28, v[0:3]
	global_load_dwordx4 v[0:3], v[6:7], off
	v_add_co_u32_e32 v6, vcc, 0x80, v6
	v_addc_co_u32_e32 v7, vcc, 0, v7, vcc
	v_cmp_lt_i64_e32 vcc, s[6:7], v[8:9]
	s_and_b64 vcc, exec, vcc
	s_waitcnt vmcnt(0)
	ds_write2_b64 v29, v[0:1], v[2:3] offset1:1
	s_waitcnt lgkmcnt(0)
	s_barrier
	ds_read_b128 v[32:35], v31
	ds_read_b128 v[36:39], v31 offset:16
	ds_read_b128 v[40:43], v31 offset:32
	;; [unrolled: 1-line block ×3, first 2 shown]
	ds_read_b128 v[44:47], v30
	s_waitcnt lgkmcnt(0)
	v_mul_f64 v[48:49], v[34:35], v[46:47]
	v_mul_f64 v[50:51], v[32:33], v[46:47]
	v_fma_f64 v[48:49], v[32:33], v[44:45], -v[48:49]
	v_fmac_f64_e32 v[50:51], v[34:35], v[44:45]
	v_add_f64 v[48:49], v[22:23], v[48:49]
	v_add_f64 v[50:51], v[24:25], v[50:51]
	ds_read_b128 v[22:25], v30 offset:256
	s_waitcnt lgkmcnt(0)
	v_mul_f64 v[52:53], v[34:35], v[24:25]
	v_fma_f64 v[52:53], v[32:33], v[22:23], -v[52:53]
	v_mul_f64 v[32:33], v[32:33], v[24:25]
	v_fmac_f64_e32 v[32:33], v[34:35], v[22:23]
	v_add_f64 v[34:35], v[14:15], v[52:53]
	v_add_f64 v[32:33], v[16:17], v[32:33]
	ds_read_b128 v[14:17], v31 offset:2048
	s_waitcnt lgkmcnt(0)
	v_mul_f64 v[52:53], v[16:17], v[46:47]
	v_fma_f64 v[52:53], v[14:15], v[44:45], -v[52:53]
	v_mul_f64 v[46:47], v[14:15], v[46:47]
	v_fmac_f64_e32 v[46:47], v[16:17], v[44:45]
	v_add_f64 v[44:45], v[18:19], v[52:53]
	v_mul_f64 v[18:19], v[16:17], v[24:25]
	v_fma_f64 v[18:19], v[14:15], v[22:23], -v[18:19]
	v_mul_f64 v[14:15], v[14:15], v[24:25]
	v_fmac_f64_e32 v[14:15], v[16:17], v[22:23]
	v_add_f64 v[22:23], v[12:13], v[18:19]
	v_add_f64 v[24:25], v[10:11], v[14:15]
	ds_read_b128 v[10:13], v30 offset:512
	v_add_f64 v[46:47], v[20:21], v[46:47]
	s_waitcnt lgkmcnt(0)
	v_mul_f64 v[14:15], v[38:39], v[12:13]
	v_mul_f64 v[16:17], v[36:37], v[12:13]
	v_fma_f64 v[14:15], v[36:37], v[10:11], -v[14:15]
	v_fmac_f64_e32 v[16:17], v[38:39], v[10:11]
	v_add_f64 v[48:49], v[48:49], v[14:15]
	v_add_f64 v[50:51], v[50:51], v[16:17]
	ds_read_b128 v[14:17], v30 offset:768
	s_waitcnt lgkmcnt(0)
	v_mul_f64 v[18:19], v[38:39], v[16:17]
	v_mul_f64 v[20:21], v[36:37], v[16:17]
	v_fma_f64 v[18:19], v[36:37], v[14:15], -v[18:19]
	v_fmac_f64_e32 v[20:21], v[38:39], v[14:15]
	v_add_f64 v[34:35], v[34:35], v[18:19]
	v_add_f64 v[32:33], v[32:33], v[20:21]
	ds_read_b128 v[18:21], v31 offset:2064
	s_waitcnt lgkmcnt(0)
	v_mul_f64 v[36:37], v[20:21], v[12:13]
	v_mul_f64 v[12:13], v[18:19], v[12:13]
	v_fmac_f64_e32 v[12:13], v[20:21], v[10:11]
	v_fma_f64 v[36:37], v[18:19], v[10:11], -v[36:37]
	v_add_f64 v[38:39], v[46:47], v[12:13]
	v_mul_f64 v[10:11], v[20:21], v[16:17]
	v_mul_f64 v[12:13], v[18:19], v[16:17]
	v_fma_f64 v[10:11], v[18:19], v[14:15], -v[10:11]
	v_fmac_f64_e32 v[12:13], v[20:21], v[14:15]
	v_add_f64 v[22:23], v[22:23], v[10:11]
	v_add_f64 v[24:25], v[24:25], v[12:13]
	ds_read_b128 v[10:13], v30 offset:1024
	v_add_f64 v[36:37], v[44:45], v[36:37]
	s_waitcnt lgkmcnt(0)
	v_mul_f64 v[14:15], v[42:43], v[12:13]
	v_mul_f64 v[16:17], v[40:41], v[12:13]
	v_fma_f64 v[14:15], v[40:41], v[10:11], -v[14:15]
	v_fmac_f64_e32 v[16:17], v[42:43], v[10:11]
	v_add_f64 v[44:45], v[48:49], v[14:15]
	v_add_f64 v[46:47], v[50:51], v[16:17]
	ds_read_b128 v[14:17], v30 offset:1280
	s_waitcnt lgkmcnt(0)
	v_mul_f64 v[18:19], v[42:43], v[16:17]
	v_mul_f64 v[20:21], v[40:41], v[16:17]
	v_fma_f64 v[18:19], v[40:41], v[14:15], -v[18:19]
	v_fmac_f64_e32 v[20:21], v[42:43], v[14:15]
	v_add_f64 v[34:35], v[34:35], v[18:19]
	v_add_f64 v[32:33], v[32:33], v[20:21]
	ds_read_b128 v[18:21], v31 offset:2080
	s_waitcnt lgkmcnt(0)
	v_mul_f64 v[40:41], v[20:21], v[12:13]
	v_mul_f64 v[12:13], v[18:19], v[12:13]
	v_fmac_f64_e32 v[12:13], v[20:21], v[10:11]
	v_fma_f64 v[40:41], v[18:19], v[10:11], -v[40:41]
	v_add_f64 v[38:39], v[38:39], v[12:13]
	v_mul_f64 v[10:11], v[20:21], v[16:17]
	v_mul_f64 v[12:13], v[18:19], v[16:17]
	v_fma_f64 v[10:11], v[18:19], v[14:15], -v[10:11]
	v_fmac_f64_e32 v[12:13], v[20:21], v[14:15]
	v_add_f64 v[18:19], v[22:23], v[10:11]
	v_add_f64 v[20:21], v[24:25], v[12:13]
	ds_read_b128 v[10:13], v30 offset:1536
	v_add_f64 v[36:37], v[36:37], v[40:41]
	s_waitcnt lgkmcnt(0)
	v_mul_f64 v[14:15], v[2:3], v[12:13]
	v_mul_f64 v[16:17], v[0:1], v[12:13]
	v_fma_f64 v[14:15], v[0:1], v[10:11], -v[14:15]
	v_fmac_f64_e32 v[16:17], v[2:3], v[10:11]
	v_add_f64 v[22:23], v[44:45], v[14:15]
	v_add_f64 v[24:25], v[46:47], v[16:17]
	ds_read_b128 v[14:17], v30 offset:1792
	s_waitcnt lgkmcnt(0)
	v_mul_f64 v[40:41], v[2:3], v[16:17]
	v_fma_f64 v[40:41], v[0:1], v[14:15], -v[40:41]
	v_mul_f64 v[0:1], v[0:1], v[16:17]
	v_fmac_f64_e32 v[0:1], v[2:3], v[14:15]
	v_add_f64 v[32:33], v[32:33], v[0:1]
	ds_read_b128 v[0:3], v31 offset:2096
	v_add_f64 v[34:35], v[34:35], v[40:41]
	s_waitcnt lgkmcnt(0)
	v_mul_f64 v[40:41], v[2:3], v[12:13]
	v_mul_f64 v[12:13], v[0:1], v[12:13]
	v_fma_f64 v[40:41], v[0:1], v[10:11], -v[40:41]
	v_fmac_f64_e32 v[12:13], v[2:3], v[10:11]
	v_mul_f64 v[10:11], v[2:3], v[16:17]
	v_fma_f64 v[10:11], v[0:1], v[14:15], -v[10:11]
	v_mul_f64 v[0:1], v[0:1], v[16:17]
	v_fmac_f64_e32 v[0:1], v[2:3], v[14:15]
	v_add_f64 v[38:39], v[38:39], v[12:13]
	v_add_f64 v[18:19], v[18:19], v[10:11]
	v_add_f64 v[20:21], v[20:21], v[0:1]
	ds_read_b128 v[0:3], v31 offset:64
	ds_read_b128 v[10:13], v30 offset:2048
	v_add_f64 v[36:37], v[36:37], v[40:41]
	s_waitcnt lgkmcnt(0)
	v_mul_f64 v[14:15], v[2:3], v[12:13]
	v_mul_f64 v[16:17], v[0:1], v[12:13]
	v_fma_f64 v[14:15], v[0:1], v[10:11], -v[14:15]
	v_fmac_f64_e32 v[16:17], v[2:3], v[10:11]
	v_add_f64 v[22:23], v[22:23], v[14:15]
	v_add_f64 v[24:25], v[24:25], v[16:17]
	ds_read_b128 v[14:17], v30 offset:2304
	s_waitcnt lgkmcnt(0)
	v_mul_f64 v[40:41], v[2:3], v[16:17]
	v_fma_f64 v[40:41], v[0:1], v[14:15], -v[40:41]
	v_mul_f64 v[0:1], v[0:1], v[16:17]
	v_fmac_f64_e32 v[0:1], v[2:3], v[14:15]
	v_add_f64 v[32:33], v[32:33], v[0:1]
	ds_read_b128 v[0:3], v31 offset:2112
	v_add_f64 v[34:35], v[34:35], v[40:41]
	s_waitcnt lgkmcnt(0)
	v_mul_f64 v[40:41], v[2:3], v[12:13]
	v_mul_f64 v[12:13], v[0:1], v[12:13]
	v_fma_f64 v[40:41], v[0:1], v[10:11], -v[40:41]
	v_fmac_f64_e32 v[12:13], v[2:3], v[10:11]
	v_mul_f64 v[10:11], v[2:3], v[16:17]
	v_fma_f64 v[10:11], v[0:1], v[14:15], -v[10:11]
	v_mul_f64 v[0:1], v[0:1], v[16:17]
	v_fmac_f64_e32 v[0:1], v[2:3], v[14:15]
	v_add_f64 v[38:39], v[38:39], v[12:13]
	v_add_f64 v[18:19], v[18:19], v[10:11]
	v_add_f64 v[20:21], v[20:21], v[0:1]
	ds_read_b128 v[0:3], v31 offset:80
	;; [unrolled: 31-line block ×4, first 2 shown]
	ds_read_b128 v[10:13], v30 offset:3584
	v_add_f64 v[36:37], v[36:37], v[32:33]
	ds_read_b128 v[32:35], v30 offset:3840
	s_waitcnt lgkmcnt(1)
	v_mul_f64 v[14:15], v[2:3], v[12:13]
	v_fma_f64 v[14:15], v[0:1], v[10:11], -v[14:15]
	v_add_f64 v[22:23], v[22:23], v[14:15]
	s_waitcnt lgkmcnt(0)
	v_mul_f64 v[14:15], v[2:3], v[34:35]
	v_mul_f64 v[16:17], v[0:1], v[12:13]
	v_fma_f64 v[14:15], v[0:1], v[32:33], -v[14:15]
	v_mul_f64 v[0:1], v[0:1], v[34:35]
	v_fmac_f64_e32 v[16:17], v[2:3], v[10:11]
	v_fmac_f64_e32 v[0:1], v[2:3], v[32:33]
	v_add_f64 v[24:25], v[24:25], v[16:17]
	v_add_f64 v[16:17], v[42:43], v[0:1]
	ds_read_b128 v[0:3], v31 offset:2160
	v_add_f64 v[14:15], v[40:41], v[14:15]
	s_waitcnt lgkmcnt(0)
	s_barrier
	v_mul_f64 v[18:19], v[2:3], v[12:13]
	v_mul_f64 v[12:13], v[0:1], v[12:13]
	v_fma_f64 v[18:19], v[0:1], v[10:11], -v[18:19]
	v_fmac_f64_e32 v[12:13], v[2:3], v[10:11]
	v_mul_f64 v[10:11], v[2:3], v[34:35]
	v_fma_f64 v[10:11], v[0:1], v[32:33], -v[10:11]
	v_mul_f64 v[0:1], v[0:1], v[34:35]
	v_fmac_f64_e32 v[0:1], v[2:3], v[32:33]
	v_add_f64 v[18:19], v[36:37], v[18:19]
	v_add_f64 v[20:21], v[38:39], v[12:13]
	;; [unrolled: 1-line block ×4, first 2 shown]
	s_cbranch_vccnz .LBB132_2
	s_branch .LBB132_4
.LBB132_3:
	v_pk_mov_b32 v[22:23], 0, 0
	v_pk_mov_b32 v[24:25], 0, 0
	;; [unrolled: 1-line block ×8, first 2 shown]
.LBB132_4:
	s_load_dwordx2 s[4:5], s[4:5], 0x90
	v_mov_b32_e32 v0, s3
	v_add_co_u32_e32 v6, vcc, s2, v27
	v_addc_co_u32_e32 v7, vcc, 0, v0, vcc
	s_waitcnt lgkmcnt(0)
	s_mul_i32 s3, s8, s5
	s_mul_hi_u32 s5, s8, s4
	s_mul_i32 s4, s8, s4
	s_add_i32 s5, s5, s3
	s_lshl_b64 s[4:5], s[4:5], 4
	s_add_u32 s4, s24, s4
	v_cmp_neq_f64_e64 s[6:7], s[14:15], 0
	v_cmp_neq_f64_e64 s[10:11], s[16:17], 0
	v_mov_b32_e32 v1, s1
	v_add_co_u32_e32 v0, vcc, s0, v26
	s_addc_u32 s5, s25, s5
	s_or_b64 s[6:7], s[6:7], s[10:11]
	v_addc_co_u32_e32 v1, vcc, 0, v1, vcc
	s_mov_b64 s[2:3], 0
	s_and_b64 vcc, exec, s[6:7]
	s_cbranch_vccnz .LBB132_6
; %bb.5:
	v_mul_lo_u32 v4, v7, s26
	v_mul_lo_u32 v5, v6, s27
	v_mad_u64_u32 v[2:3], s[0:1], v6, s26, 0
	v_add3_u32 v3, v3, v5, v4
	v_lshlrev_b64 v[2:3], 4, v[2:3]
	v_mov_b32_e32 v4, s5
	v_add_co_u32_e32 v26, vcc, s4, v2
	v_addc_co_u32_e32 v27, vcc, v4, v3, vcc
	v_lshlrev_b64 v[8:9], 4, v[0:1]
	v_mul_f64 v[2:3], s[40:41], v[24:25]
	v_mul_f64 v[4:5], s[38:39], v[24:25]
	v_add_co_u32_e32 v8, vcc, v26, v8
	v_fma_f64 v[2:3], s[38:39], v[22:23], -v[2:3]
	v_fmac_f64_e32 v[4:5], s[40:41], v[22:23]
	v_addc_co_u32_e32 v9, vcc, v27, v9, vcc
	global_store_dwordx4 v[8:9], v[2:5], off
	s_lshl_b64 s[0:1], s[26:27], 8
	v_mul_f64 v[2:3], s[40:41], v[16:17]
	v_mul_f64 v[4:5], s[38:39], v[16:17]
	v_fma_f64 v[2:3], s[38:39], v[14:15], -v[2:3]
	v_fmac_f64_e32 v[4:5], s[40:41], v[14:15]
	global_store_dwordx4 v[8:9], v[2:5], off offset:256
	v_mov_b32_e32 v26, s1
	v_mul_f64 v[2:3], s[40:41], v[20:21]
	v_mul_f64 v[4:5], s[38:39], v[20:21]
	v_add_co_u32_e32 v8, vcc, s0, v8
	v_fma_f64 v[2:3], s[38:39], v[18:19], -v[2:3]
	v_fmac_f64_e32 v[4:5], s[40:41], v[18:19]
	v_addc_co_u32_e32 v9, vcc, v9, v26, vcc
	global_store_dwordx4 v[8:9], v[2:5], off
	s_nop 0
	v_mul_f64 v[2:3], s[40:41], v[10:11]
	v_fma_f64 v[26:27], s[38:39], v[12:13], -v[2:3]
	v_mul_f64 v[4:5], s[38:39], v[10:11]
	v_add_co_u32_e32 v2, vcc, 0x100, v8
	v_fmac_f64_e32 v[4:5], s[40:41], v[12:13]
	v_addc_co_u32_e32 v3, vcc, 0, v9, vcc
	global_store_dwordx2 v[8:9], v[26:27], off offset:256
	s_andn2_b64 vcc, exec, s[2:3]
	s_cbranch_vccz .LBB132_7
	s_branch .LBB132_8
.LBB132_6:
                                        ; implicit-def: $vgpr4_vgpr5
                                        ; implicit-def: $vgpr2_vgpr3
.LBB132_7:
	s_mul_i32 s0, s8, s23
	s_mul_hi_u32 s1, s8, s22
	s_add_i32 s1, s1, s0
	s_mul_i32 s0, s8, s22
	s_lshl_b64 s[0:1], s[0:1], 4
	s_add_u32 s2, s18, s0
	s_addc_u32 s3, s19, s1
	v_mul_lo_u32 v4, v7, s20
	v_mul_lo_u32 v5, v6, s21
	v_mad_u64_u32 v[2:3], s[0:1], v6, s20, 0
	v_add3_u32 v3, v3, v5, v4
	v_lshlrev_b64 v[2:3], 4, v[2:3]
	v_mov_b32_e32 v4, s3
	v_add_co_u32_e32 v2, vcc, s2, v2
	v_addc_co_u32_e32 v3, vcc, v4, v3, vcc
	v_lshlrev_b64 v[4:5], 4, v[0:1]
	v_add_co_u32_e32 v8, vcc, v2, v4
	v_addc_co_u32_e32 v9, vcc, v3, v5, vcc
	global_load_dwordx4 v[0:3], v[8:9], off
	v_mul_lo_u32 v28, v7, s26
	v_mul_lo_u32 v29, v6, s27
	v_mad_u64_u32 v[6:7], s[0:1], v6, s26, 0
	v_add3_u32 v7, v7, v29, v28
	v_lshlrev_b64 v[6:7], 4, v[6:7]
	v_mov_b32_e32 v30, s5
	v_add_co_u32_e32 v6, vcc, s4, v6
	v_addc_co_u32_e32 v7, vcc, v30, v7, vcc
	v_add_co_u32_e32 v4, vcc, v6, v4
	v_mul_f64 v[26:27], s[40:41], v[24:25]
	v_mul_f64 v[24:25], s[38:39], v[24:25]
	v_addc_co_u32_e32 v5, vcc, v7, v5, vcc
	v_fma_f64 v[26:27], s[38:39], v[22:23], -v[26:27]
	v_fmac_f64_e32 v[24:25], s[40:41], v[22:23]
	s_lshl_b64 s[0:1], s[20:21], 8
	s_waitcnt vmcnt(0)
	v_mul_f64 v[6:7], s[16:17], v[2:3]
	v_mul_f64 v[2:3], s[14:15], v[2:3]
	v_fma_f64 v[6:7], s[14:15], v[0:1], -v[6:7]
	v_fmac_f64_e32 v[2:3], s[16:17], v[0:1]
	v_add_f64 v[0:1], v[26:27], v[6:7]
	v_add_f64 v[2:3], v[24:25], v[2:3]
	global_store_dwordx4 v[4:5], v[0:3], off
	global_load_dwordx4 v[0:3], v[8:9], off offset:256
	v_mul_f64 v[6:7], s[40:41], v[16:17]
	v_mul_f64 v[16:17], s[38:39], v[16:17]
	v_fma_f64 v[6:7], s[38:39], v[14:15], -v[6:7]
	v_fmac_f64_e32 v[16:17], s[40:41], v[14:15]
	v_mov_b32_e32 v14, s1
	v_add_co_u32_e32 v8, vcc, s0, v8
	v_addc_co_u32_e32 v9, vcc, v9, v14, vcc
	s_lshl_b64 s[0:1], s[26:27], 8
	s_waitcnt vmcnt(0)
	v_mul_f64 v[14:15], s[16:17], v[2:3]
	v_mul_f64 v[2:3], s[14:15], v[2:3]
	v_fma_f64 v[14:15], s[14:15], v[0:1], -v[14:15]
	v_fmac_f64_e32 v[2:3], s[16:17], v[0:1]
	v_add_f64 v[0:1], v[6:7], v[14:15]
	v_add_f64 v[2:3], v[16:17], v[2:3]
	global_store_dwordx4 v[4:5], v[0:3], off offset:256
	global_load_dwordx4 v[0:3], v[8:9], off
	v_mov_b32_e32 v17, s1
	v_add_co_u32_e32 v16, vcc, s0, v4
	v_mul_f64 v[6:7], s[40:41], v[20:21]
	v_mul_f64 v[14:15], s[38:39], v[20:21]
	v_addc_co_u32_e32 v17, vcc, v5, v17, vcc
	v_fma_f64 v[6:7], s[38:39], v[18:19], -v[6:7]
	v_fmac_f64_e32 v[14:15], s[40:41], v[18:19]
	s_waitcnt vmcnt(0)
	v_mul_f64 v[4:5], s[16:17], v[2:3]
	v_mul_f64 v[2:3], s[14:15], v[2:3]
	v_fma_f64 v[4:5], s[14:15], v[0:1], -v[4:5]
	v_fmac_f64_e32 v[2:3], s[16:17], v[0:1]
	v_add_f64 v[0:1], v[6:7], v[4:5]
	v_add_f64 v[2:3], v[14:15], v[2:3]
	global_store_dwordx4 v[16:17], v[0:3], off
	global_load_dwordx4 v[4:7], v[8:9], off offset:256
	v_mul_f64 v[0:1], s[40:41], v[10:11]
	v_mul_f64 v[8:9], s[38:39], v[10:11]
	v_fma_f64 v[0:1], s[38:39], v[12:13], -v[0:1]
	v_fmac_f64_e32 v[8:9], s[40:41], v[12:13]
	v_add_co_u32_e32 v2, vcc, 0x100, v16
	v_addc_co_u32_e32 v3, vcc, 0, v17, vcc
	s_waitcnt vmcnt(0)
	v_mul_f64 v[10:11], s[16:17], v[6:7]
	v_mul_f64 v[6:7], s[14:15], v[6:7]
	v_fma_f64 v[10:11], s[14:15], v[4:5], -v[10:11]
	v_fmac_f64_e32 v[6:7], s[16:17], v[4:5]
	v_add_f64 v[0:1], v[0:1], v[10:11]
	v_add_f64 v[4:5], v[8:9], v[6:7]
	global_store_dwordx2 v[16:17], v[0:1], off offset:256
.LBB132_8:
	global_store_dwordx2 v[2:3], v[4:5], off offset:8
	s_endpgm
	.section	.rodata,"a",@progbits
	.p2align	6, 0x0
	.amdhsa_kernel _ZN12_GLOBAL__N_127rocblas_gemm_batched_kernelI19rocblas_complex_numIdELi16ELi16ELi32ELi32ELi8ELi32ELi8ELi8ELi32ELc67ELc78EKS2_S3_S2_EEvlllT_PT11_llS6_llS4_PT12_llPT13_lli
		.amdhsa_group_segment_fixed_size 8192
		.amdhsa_private_segment_fixed_size 0
		.amdhsa_kernarg_size 156
		.amdhsa_user_sgpr_count 6
		.amdhsa_user_sgpr_private_segment_buffer 1
		.amdhsa_user_sgpr_dispatch_ptr 0
		.amdhsa_user_sgpr_queue_ptr 0
		.amdhsa_user_sgpr_kernarg_segment_ptr 1
		.amdhsa_user_sgpr_dispatch_id 0
		.amdhsa_user_sgpr_flat_scratch_init 0
		.amdhsa_user_sgpr_kernarg_preload_length 0
		.amdhsa_user_sgpr_kernarg_preload_offset 0
		.amdhsa_user_sgpr_private_segment_size 0
		.amdhsa_uses_dynamic_stack 0
		.amdhsa_system_sgpr_private_segment_wavefront_offset 0
		.amdhsa_system_sgpr_workgroup_id_x 1
		.amdhsa_system_sgpr_workgroup_id_y 1
		.amdhsa_system_sgpr_workgroup_id_z 1
		.amdhsa_system_sgpr_workgroup_info 0
		.amdhsa_system_vgpr_workitem_id 1
		.amdhsa_next_free_vgpr 54
		.amdhsa_next_free_sgpr 52
		.amdhsa_accum_offset 56
		.amdhsa_reserve_vcc 1
		.amdhsa_reserve_flat_scratch 0
		.amdhsa_float_round_mode_32 0
		.amdhsa_float_round_mode_16_64 0
		.amdhsa_float_denorm_mode_32 3
		.amdhsa_float_denorm_mode_16_64 3
		.amdhsa_dx10_clamp 1
		.amdhsa_ieee_mode 1
		.amdhsa_fp16_overflow 0
		.amdhsa_tg_split 0
		.amdhsa_exception_fp_ieee_invalid_op 0
		.amdhsa_exception_fp_denorm_src 0
		.amdhsa_exception_fp_ieee_div_zero 0
		.amdhsa_exception_fp_ieee_overflow 0
		.amdhsa_exception_fp_ieee_underflow 0
		.amdhsa_exception_fp_ieee_inexact 0
		.amdhsa_exception_int_div_zero 0
	.end_amdhsa_kernel
	.section	.text._ZN12_GLOBAL__N_127rocblas_gemm_batched_kernelI19rocblas_complex_numIdELi16ELi16ELi32ELi32ELi8ELi32ELi8ELi8ELi32ELc67ELc78EKS2_S3_S2_EEvlllT_PT11_llS6_llS4_PT12_llPT13_lli,"axG",@progbits,_ZN12_GLOBAL__N_127rocblas_gemm_batched_kernelI19rocblas_complex_numIdELi16ELi16ELi32ELi32ELi8ELi32ELi8ELi8ELi32ELc67ELc78EKS2_S3_S2_EEvlllT_PT11_llS6_llS4_PT12_llPT13_lli,comdat
.Lfunc_end132:
	.size	_ZN12_GLOBAL__N_127rocblas_gemm_batched_kernelI19rocblas_complex_numIdELi16ELi16ELi32ELi32ELi8ELi32ELi8ELi8ELi32ELc67ELc78EKS2_S3_S2_EEvlllT_PT11_llS6_llS4_PT12_llPT13_lli, .Lfunc_end132-_ZN12_GLOBAL__N_127rocblas_gemm_batched_kernelI19rocblas_complex_numIdELi16ELi16ELi32ELi32ELi8ELi32ELi8ELi8ELi32ELc67ELc78EKS2_S3_S2_EEvlllT_PT11_llS6_llS4_PT12_llPT13_lli
                                        ; -- End function
	.section	.AMDGPU.csdata,"",@progbits
; Kernel info:
; codeLenInByte = 3308
; NumSgprs: 56
; NumVgprs: 54
; NumAgprs: 0
; TotalNumVgprs: 54
; ScratchSize: 0
; MemoryBound: 0
; FloatMode: 240
; IeeeMode: 1
; LDSByteSize: 8192 bytes/workgroup (compile time only)
; SGPRBlocks: 6
; VGPRBlocks: 6
; NumSGPRsForWavesPerEU: 56
; NumVGPRsForWavesPerEU: 54
; AccumOffset: 56
; Occupancy: 8
; WaveLimiterHint : 1
; COMPUTE_PGM_RSRC2:SCRATCH_EN: 0
; COMPUTE_PGM_RSRC2:USER_SGPR: 6
; COMPUTE_PGM_RSRC2:TRAP_HANDLER: 0
; COMPUTE_PGM_RSRC2:TGID_X_EN: 1
; COMPUTE_PGM_RSRC2:TGID_Y_EN: 1
; COMPUTE_PGM_RSRC2:TGID_Z_EN: 1
; COMPUTE_PGM_RSRC2:TIDIG_COMP_CNT: 1
; COMPUTE_PGM_RSRC3_GFX90A:ACCUM_OFFSET: 13
; COMPUTE_PGM_RSRC3_GFX90A:TG_SPLIT: 0
	.section	.text._ZN12_GLOBAL__N_127rocblas_gemm_batched_kernelI19rocblas_complex_numIdELi16ELi16ELi32ELi32ELi8ELi32ELi8ELi8ELi32ELc67ELc84EKS2_S3_S2_EEvlllT_PT11_llS6_llS4_PT12_llPT13_lli,"axG",@progbits,_ZN12_GLOBAL__N_127rocblas_gemm_batched_kernelI19rocblas_complex_numIdELi16ELi16ELi32ELi32ELi8ELi32ELi8ELi8ELi32ELc67ELc84EKS2_S3_S2_EEvlllT_PT11_llS6_llS4_PT12_llPT13_lli,comdat
	.globl	_ZN12_GLOBAL__N_127rocblas_gemm_batched_kernelI19rocblas_complex_numIdELi16ELi16ELi32ELi32ELi8ELi32ELi8ELi8ELi32ELc67ELc84EKS2_S3_S2_EEvlllT_PT11_llS6_llS4_PT12_llPT13_lli ; -- Begin function _ZN12_GLOBAL__N_127rocblas_gemm_batched_kernelI19rocblas_complex_numIdELi16ELi16ELi32ELi32ELi8ELi32ELi8ELi8ELi32ELc67ELc84EKS2_S3_S2_EEvlllT_PT11_llS6_llS4_PT12_llPT13_lli
	.p2align	8
	.type	_ZN12_GLOBAL__N_127rocblas_gemm_batched_kernelI19rocblas_complex_numIdELi16ELi16ELi32ELi32ELi8ELi32ELi8ELi8ELi32ELc67ELc84EKS2_S3_S2_EEvlllT_PT11_llS6_llS4_PT12_llPT13_lli,@function
_ZN12_GLOBAL__N_127rocblas_gemm_batched_kernelI19rocblas_complex_numIdELi16ELi16ELi32ELi32ELi8ELi32ELi8ELi8ELi32ELc67ELc84EKS2_S3_S2_EEvlllT_PT11_llS6_llS4_PT12_llPT13_lli: ; @_ZN12_GLOBAL__N_127rocblas_gemm_batched_kernelI19rocblas_complex_numIdELi16ELi16ELi32ELi32ELi8ELi32ELi8ELi8ELi32ELc67ELc84EKS2_S3_S2_EEvlllT_PT11_llS6_llS4_PT12_llPT13_lli
; %bb.0:
	s_load_dwordx16 s[36:51], s[4:5], 0x10
	s_load_dwordx16 s[12:27], s[4:5], 0x50
	s_mov_b32 s2, s7
	s_ashr_i32 s7, s6, 31
	s_ashr_i32 s3, s2, 31
	s_waitcnt lgkmcnt(0)
	v_cmp_lt_i64_e64 s[10:11], s[36:37], 1
	v_bfe_u32 v27, v0, 10, 10
	v_and_b32_e32 v26, 0x3ff, v0
	s_lshl_b64 s[0:1], s[6:7], 5
	s_lshl_b64 s[2:3], s[2:3], 5
	s_mov_b64 s[6:7], 0
	s_and_b64 vcc, exec, s[10:11]
	s_cbranch_vccnz .LBB133_3
; %bb.1:
	v_lshl_add_u32 v4, v27, 4, v26
	v_lshrrev_b32_e32 v5, 3, v4
	v_mov_b32_e32 v1, s3
	v_add_co_u32_e32 v0, vcc, s2, v5
	v_addc_co_u32_e32 v1, vcc, 0, v1, vcc
	v_and_b32_e32 v6, 7, v26
	v_mad_u64_u32 v[0:1], s[10:11], v6, s50, v[0:1]
	v_mov_b32_e32 v2, v1
	v_mad_u64_u32 v[2:3], s[10:11], v6, s51, v[2:3]
	v_mov_b32_e32 v1, v2
	v_and_b32_e32 v2, 31, v4
	v_lshrrev_b32_e32 v4, 5, v4
	v_lshlrev_b32_e32 v3, 4, v2
	v_lshl_or_b32 v28, v4, 9, v3
	v_lshlrev_b32_e32 v3, 4, v6
	v_lshl_or_b32 v3, v5, 7, v3
	v_add_u32_e32 v29, 0x1000, v3
	v_mov_b32_e32 v3, 0x1000
	v_lshl_add_u32 v31, v27, 7, v3
	v_mov_b32_e32 v3, s1
	v_add_co_u32_e32 v2, vcc, s0, v2
	v_addc_co_u32_e32 v3, vcc, 0, v3, vcc
	v_mul_lo_u32 v5, s45, v2
	v_mul_lo_u32 v6, s44, v3
	v_mad_u64_u32 v[2:3], s[10:11], s44, v2, 0
	s_mul_i32 s9, s47, s8
	s_mul_hi_u32 s10, s46, s8
	v_add3_u32 v3, v3, v6, v5
	s_add_i32 s11, s10, s9
	s_mul_i32 s10, s46, s8
	v_lshlrev_b64 v[2:3], 4, v[2:3]
	s_lshl_b64 s[10:11], s[10:11], 4
	v_mov_b32_e32 v5, s11
	v_add_co_u32_e32 v2, vcc, s10, v2
	v_addc_co_u32_e32 v3, vcc, v3, v5, vcc
	v_lshlrev_b32_e32 v4, 4, v4
	v_add_co_u32_e32 v2, vcc, v2, v4
	v_addc_co_u32_e32 v3, vcc, 0, v3, vcc
	s_mul_i32 s9, s13, s8
	s_mul_hi_u32 s10, s12, s8
	v_mov_b32_e32 v4, s43
	v_add_co_u32_e32 v2, vcc, s42, v2
	s_add_i32 s11, s10, s9
	s_mul_i32 s10, s12, s8
	v_addc_co_u32_e32 v3, vcc, v3, v4, vcc
	s_lshl_b64 s[10:11], s[10:11], 4
	v_add_co_u32_e32 v4, vcc, 8, v2
	s_add_u32 s9, s48, s10
	v_addc_co_u32_e32 v5, vcc, 0, v3, vcc
	v_lshlrev_b64 v[0:1], 4, v[0:1]
	s_addc_u32 s10, s49, s11
	v_mov_b32_e32 v2, s10
	v_add_co_u32_e32 v6, vcc, s9, v0
	s_lshl_b64 s[10:11], s[50:51], 7
	v_lshlrev_b32_e32 v30, 4, v26
	v_addc_co_u32_e32 v7, vcc, v2, v1, vcc
	v_pk_mov_b32 v[10:11], 0, 0
	v_mov_b32_e32 v32, s11
	v_pk_mov_b32 v[8:9], s[36:37], s[36:37] op_sel:[0,1]
	v_pk_mov_b32 v[12:13], 0, 0
	v_pk_mov_b32 v[20:21], 0, 0
	;; [unrolled: 1-line block ×7, first 2 shown]
.LBB133_2:                              ; =>This Inner Loop Header: Depth=1
	global_load_dwordx4 v[0:3], v[4:5], off offset:-8
	v_add_co_u32_e32 v4, vcc, 0x80, v4
	v_addc_co_u32_e32 v5, vcc, 0, v5, vcc
	s_add_u32 s6, s6, 8
	s_addc_u32 s7, s7, 0
	s_waitcnt vmcnt(0)
	v_xor_b32_e32 v3, 0x80000000, v3
	ds_write_b128 v28, v[0:3]
	global_load_dwordx4 v[0:3], v[6:7], off
	v_add_co_u32_e32 v6, vcc, s10, v6
	v_addc_co_u32_e32 v7, vcc, v7, v32, vcc
	v_cmp_lt_i64_e32 vcc, s[6:7], v[8:9]
	s_and_b64 vcc, exec, vcc
	s_waitcnt vmcnt(0)
	ds_write2_b64 v29, v[0:1], v[2:3] offset1:1
	s_waitcnt lgkmcnt(0)
	s_barrier
	ds_read_b128 v[34:37], v31
	ds_read_b128 v[38:41], v31 offset:16
	ds_read_b128 v[42:45], v31 offset:32
	;; [unrolled: 1-line block ×3, first 2 shown]
	ds_read_b128 v[46:49], v30
	s_waitcnt lgkmcnt(0)
	v_mul_f64 v[50:51], v[36:37], v[48:49]
	v_mul_f64 v[52:53], v[34:35], v[48:49]
	v_fma_f64 v[50:51], v[34:35], v[46:47], -v[50:51]
	v_fmac_f64_e32 v[52:53], v[36:37], v[46:47]
	v_add_f64 v[50:51], v[22:23], v[50:51]
	v_add_f64 v[52:53], v[24:25], v[52:53]
	ds_read_b128 v[22:25], v30 offset:256
	s_waitcnt lgkmcnt(0)
	v_mul_f64 v[54:55], v[36:37], v[24:25]
	v_fma_f64 v[54:55], v[34:35], v[22:23], -v[54:55]
	v_mul_f64 v[34:35], v[34:35], v[24:25]
	v_fmac_f64_e32 v[34:35], v[36:37], v[22:23]
	v_add_f64 v[36:37], v[14:15], v[54:55]
	v_add_f64 v[34:35], v[16:17], v[34:35]
	ds_read_b128 v[14:17], v31 offset:2048
	s_waitcnt lgkmcnt(0)
	v_mul_f64 v[54:55], v[16:17], v[48:49]
	v_fma_f64 v[54:55], v[14:15], v[46:47], -v[54:55]
	v_mul_f64 v[48:49], v[14:15], v[48:49]
	v_fmac_f64_e32 v[48:49], v[16:17], v[46:47]
	v_add_f64 v[46:47], v[18:19], v[54:55]
	v_mul_f64 v[18:19], v[16:17], v[24:25]
	v_fma_f64 v[18:19], v[14:15], v[22:23], -v[18:19]
	v_mul_f64 v[14:15], v[14:15], v[24:25]
	v_fmac_f64_e32 v[14:15], v[16:17], v[22:23]
	v_add_f64 v[22:23], v[12:13], v[18:19]
	v_add_f64 v[24:25], v[10:11], v[14:15]
	ds_read_b128 v[10:13], v30 offset:512
	v_add_f64 v[48:49], v[20:21], v[48:49]
	s_waitcnt lgkmcnt(0)
	v_mul_f64 v[14:15], v[40:41], v[12:13]
	v_mul_f64 v[16:17], v[38:39], v[12:13]
	v_fma_f64 v[14:15], v[38:39], v[10:11], -v[14:15]
	v_fmac_f64_e32 v[16:17], v[40:41], v[10:11]
	v_add_f64 v[50:51], v[50:51], v[14:15]
	v_add_f64 v[52:53], v[52:53], v[16:17]
	ds_read_b128 v[14:17], v30 offset:768
	s_waitcnt lgkmcnt(0)
	v_mul_f64 v[18:19], v[40:41], v[16:17]
	v_mul_f64 v[20:21], v[38:39], v[16:17]
	v_fma_f64 v[18:19], v[38:39], v[14:15], -v[18:19]
	v_fmac_f64_e32 v[20:21], v[40:41], v[14:15]
	v_add_f64 v[36:37], v[36:37], v[18:19]
	v_add_f64 v[34:35], v[34:35], v[20:21]
	ds_read_b128 v[18:21], v31 offset:2064
	s_waitcnt lgkmcnt(0)
	v_mul_f64 v[38:39], v[20:21], v[12:13]
	v_mul_f64 v[12:13], v[18:19], v[12:13]
	v_fmac_f64_e32 v[12:13], v[20:21], v[10:11]
	v_fma_f64 v[38:39], v[18:19], v[10:11], -v[38:39]
	v_add_f64 v[40:41], v[48:49], v[12:13]
	v_mul_f64 v[10:11], v[20:21], v[16:17]
	v_mul_f64 v[12:13], v[18:19], v[16:17]
	v_fma_f64 v[10:11], v[18:19], v[14:15], -v[10:11]
	v_fmac_f64_e32 v[12:13], v[20:21], v[14:15]
	v_add_f64 v[22:23], v[22:23], v[10:11]
	v_add_f64 v[24:25], v[24:25], v[12:13]
	ds_read_b128 v[10:13], v30 offset:1024
	v_add_f64 v[38:39], v[46:47], v[38:39]
	s_waitcnt lgkmcnt(0)
	v_mul_f64 v[14:15], v[44:45], v[12:13]
	v_mul_f64 v[16:17], v[42:43], v[12:13]
	v_fma_f64 v[14:15], v[42:43], v[10:11], -v[14:15]
	v_fmac_f64_e32 v[16:17], v[44:45], v[10:11]
	v_add_f64 v[46:47], v[50:51], v[14:15]
	v_add_f64 v[48:49], v[52:53], v[16:17]
	ds_read_b128 v[14:17], v30 offset:1280
	s_waitcnt lgkmcnt(0)
	v_mul_f64 v[18:19], v[44:45], v[16:17]
	v_mul_f64 v[20:21], v[42:43], v[16:17]
	v_fma_f64 v[18:19], v[42:43], v[14:15], -v[18:19]
	v_fmac_f64_e32 v[20:21], v[44:45], v[14:15]
	v_add_f64 v[36:37], v[36:37], v[18:19]
	v_add_f64 v[34:35], v[34:35], v[20:21]
	ds_read_b128 v[18:21], v31 offset:2080
	s_waitcnt lgkmcnt(0)
	v_mul_f64 v[42:43], v[20:21], v[12:13]
	v_mul_f64 v[12:13], v[18:19], v[12:13]
	v_fmac_f64_e32 v[12:13], v[20:21], v[10:11]
	v_fma_f64 v[42:43], v[18:19], v[10:11], -v[42:43]
	v_add_f64 v[40:41], v[40:41], v[12:13]
	v_mul_f64 v[10:11], v[20:21], v[16:17]
	v_mul_f64 v[12:13], v[18:19], v[16:17]
	v_fma_f64 v[10:11], v[18:19], v[14:15], -v[10:11]
	v_fmac_f64_e32 v[12:13], v[20:21], v[14:15]
	v_add_f64 v[18:19], v[22:23], v[10:11]
	v_add_f64 v[20:21], v[24:25], v[12:13]
	ds_read_b128 v[10:13], v30 offset:1536
	v_add_f64 v[38:39], v[38:39], v[42:43]
	s_waitcnt lgkmcnt(0)
	v_mul_f64 v[14:15], v[2:3], v[12:13]
	v_mul_f64 v[16:17], v[0:1], v[12:13]
	v_fma_f64 v[14:15], v[0:1], v[10:11], -v[14:15]
	v_fmac_f64_e32 v[16:17], v[2:3], v[10:11]
	v_add_f64 v[22:23], v[46:47], v[14:15]
	v_add_f64 v[24:25], v[48:49], v[16:17]
	ds_read_b128 v[14:17], v30 offset:1792
	s_waitcnt lgkmcnt(0)
	v_mul_f64 v[42:43], v[2:3], v[16:17]
	v_fma_f64 v[42:43], v[0:1], v[14:15], -v[42:43]
	v_mul_f64 v[0:1], v[0:1], v[16:17]
	v_fmac_f64_e32 v[0:1], v[2:3], v[14:15]
	v_add_f64 v[34:35], v[34:35], v[0:1]
	ds_read_b128 v[0:3], v31 offset:2096
	v_add_f64 v[36:37], v[36:37], v[42:43]
	s_waitcnt lgkmcnt(0)
	v_mul_f64 v[42:43], v[2:3], v[12:13]
	v_mul_f64 v[12:13], v[0:1], v[12:13]
	v_fma_f64 v[42:43], v[0:1], v[10:11], -v[42:43]
	v_fmac_f64_e32 v[12:13], v[2:3], v[10:11]
	v_mul_f64 v[10:11], v[2:3], v[16:17]
	v_fma_f64 v[10:11], v[0:1], v[14:15], -v[10:11]
	v_mul_f64 v[0:1], v[0:1], v[16:17]
	v_fmac_f64_e32 v[0:1], v[2:3], v[14:15]
	v_add_f64 v[40:41], v[40:41], v[12:13]
	v_add_f64 v[18:19], v[18:19], v[10:11]
	v_add_f64 v[20:21], v[20:21], v[0:1]
	ds_read_b128 v[0:3], v31 offset:64
	ds_read_b128 v[10:13], v30 offset:2048
	v_add_f64 v[38:39], v[38:39], v[42:43]
	s_waitcnt lgkmcnt(0)
	v_mul_f64 v[14:15], v[2:3], v[12:13]
	v_mul_f64 v[16:17], v[0:1], v[12:13]
	v_fma_f64 v[14:15], v[0:1], v[10:11], -v[14:15]
	v_fmac_f64_e32 v[16:17], v[2:3], v[10:11]
	v_add_f64 v[22:23], v[22:23], v[14:15]
	v_add_f64 v[24:25], v[24:25], v[16:17]
	ds_read_b128 v[14:17], v30 offset:2304
	s_waitcnt lgkmcnt(0)
	v_mul_f64 v[42:43], v[2:3], v[16:17]
	v_fma_f64 v[42:43], v[0:1], v[14:15], -v[42:43]
	v_mul_f64 v[0:1], v[0:1], v[16:17]
	v_fmac_f64_e32 v[0:1], v[2:3], v[14:15]
	v_add_f64 v[34:35], v[34:35], v[0:1]
	ds_read_b128 v[0:3], v31 offset:2112
	v_add_f64 v[36:37], v[36:37], v[42:43]
	s_waitcnt lgkmcnt(0)
	v_mul_f64 v[42:43], v[2:3], v[12:13]
	v_mul_f64 v[12:13], v[0:1], v[12:13]
	v_fma_f64 v[42:43], v[0:1], v[10:11], -v[42:43]
	v_fmac_f64_e32 v[12:13], v[2:3], v[10:11]
	v_mul_f64 v[10:11], v[2:3], v[16:17]
	v_fma_f64 v[10:11], v[0:1], v[14:15], -v[10:11]
	v_mul_f64 v[0:1], v[0:1], v[16:17]
	v_fmac_f64_e32 v[0:1], v[2:3], v[14:15]
	v_add_f64 v[40:41], v[40:41], v[12:13]
	v_add_f64 v[18:19], v[18:19], v[10:11]
	v_add_f64 v[20:21], v[20:21], v[0:1]
	ds_read_b128 v[0:3], v31 offset:80
	;; [unrolled: 31-line block ×4, first 2 shown]
	ds_read_b128 v[10:13], v30 offset:3584
	v_add_f64 v[38:39], v[38:39], v[34:35]
	ds_read_b128 v[34:37], v30 offset:3840
	s_waitcnt lgkmcnt(1)
	v_mul_f64 v[14:15], v[2:3], v[12:13]
	v_fma_f64 v[14:15], v[0:1], v[10:11], -v[14:15]
	v_add_f64 v[22:23], v[22:23], v[14:15]
	s_waitcnt lgkmcnt(0)
	v_mul_f64 v[14:15], v[2:3], v[36:37]
	v_mul_f64 v[16:17], v[0:1], v[12:13]
	v_fma_f64 v[14:15], v[0:1], v[34:35], -v[14:15]
	v_mul_f64 v[0:1], v[0:1], v[36:37]
	v_fmac_f64_e32 v[16:17], v[2:3], v[10:11]
	v_fmac_f64_e32 v[0:1], v[2:3], v[34:35]
	v_add_f64 v[24:25], v[24:25], v[16:17]
	v_add_f64 v[16:17], v[44:45], v[0:1]
	ds_read_b128 v[0:3], v31 offset:2160
	v_add_f64 v[14:15], v[42:43], v[14:15]
	s_waitcnt lgkmcnt(0)
	s_barrier
	v_mul_f64 v[18:19], v[2:3], v[12:13]
	v_mul_f64 v[12:13], v[0:1], v[12:13]
	v_fma_f64 v[18:19], v[0:1], v[10:11], -v[18:19]
	v_fmac_f64_e32 v[12:13], v[2:3], v[10:11]
	v_mul_f64 v[10:11], v[2:3], v[36:37]
	v_fma_f64 v[10:11], v[0:1], v[34:35], -v[10:11]
	v_mul_f64 v[0:1], v[0:1], v[36:37]
	v_fmac_f64_e32 v[0:1], v[2:3], v[34:35]
	v_add_f64 v[18:19], v[38:39], v[18:19]
	v_add_f64 v[20:21], v[40:41], v[12:13]
	;; [unrolled: 1-line block ×4, first 2 shown]
	s_cbranch_vccnz .LBB133_2
	s_branch .LBB133_4
.LBB133_3:
	v_pk_mov_b32 v[22:23], 0, 0
	v_pk_mov_b32 v[24:25], 0, 0
	v_pk_mov_b32 v[14:15], 0, 0
	v_pk_mov_b32 v[16:17], 0, 0
	v_pk_mov_b32 v[18:19], 0, 0
	v_pk_mov_b32 v[20:21], 0, 0
	v_pk_mov_b32 v[12:13], 0, 0
	v_pk_mov_b32 v[10:11], 0, 0
.LBB133_4:
	s_load_dwordx2 s[4:5], s[4:5], 0x90
	v_mov_b32_e32 v0, s3
	v_add_co_u32_e32 v6, vcc, s2, v27
	v_addc_co_u32_e32 v7, vcc, 0, v0, vcc
	s_waitcnt lgkmcnt(0)
	s_mul_i32 s3, s8, s5
	s_mul_hi_u32 s5, s8, s4
	s_mul_i32 s4, s8, s4
	s_add_i32 s5, s5, s3
	s_lshl_b64 s[4:5], s[4:5], 4
	s_add_u32 s4, s24, s4
	v_cmp_neq_f64_e64 s[6:7], s[14:15], 0
	v_cmp_neq_f64_e64 s[10:11], s[16:17], 0
	v_mov_b32_e32 v1, s1
	v_add_co_u32_e32 v0, vcc, s0, v26
	s_addc_u32 s5, s25, s5
	s_or_b64 s[6:7], s[6:7], s[10:11]
	v_addc_co_u32_e32 v1, vcc, 0, v1, vcc
	s_mov_b64 s[2:3], 0
	s_and_b64 vcc, exec, s[6:7]
	s_cbranch_vccnz .LBB133_6
; %bb.5:
	v_mul_lo_u32 v4, v7, s26
	v_mul_lo_u32 v5, v6, s27
	v_mad_u64_u32 v[2:3], s[0:1], v6, s26, 0
	v_add3_u32 v3, v3, v5, v4
	v_lshlrev_b64 v[2:3], 4, v[2:3]
	v_mov_b32_e32 v4, s5
	v_add_co_u32_e32 v26, vcc, s4, v2
	v_addc_co_u32_e32 v27, vcc, v4, v3, vcc
	v_lshlrev_b64 v[8:9], 4, v[0:1]
	v_mul_f64 v[2:3], s[40:41], v[24:25]
	v_mul_f64 v[4:5], s[38:39], v[24:25]
	v_add_co_u32_e32 v8, vcc, v26, v8
	v_fma_f64 v[2:3], s[38:39], v[22:23], -v[2:3]
	v_fmac_f64_e32 v[4:5], s[40:41], v[22:23]
	v_addc_co_u32_e32 v9, vcc, v27, v9, vcc
	global_store_dwordx4 v[8:9], v[2:5], off
	s_lshl_b64 s[0:1], s[26:27], 8
	v_mul_f64 v[2:3], s[40:41], v[16:17]
	v_mul_f64 v[4:5], s[38:39], v[16:17]
	v_fma_f64 v[2:3], s[38:39], v[14:15], -v[2:3]
	v_fmac_f64_e32 v[4:5], s[40:41], v[14:15]
	global_store_dwordx4 v[8:9], v[2:5], off offset:256
	v_mov_b32_e32 v26, s1
	v_mul_f64 v[2:3], s[40:41], v[20:21]
	v_mul_f64 v[4:5], s[38:39], v[20:21]
	v_add_co_u32_e32 v8, vcc, s0, v8
	v_fma_f64 v[2:3], s[38:39], v[18:19], -v[2:3]
	v_fmac_f64_e32 v[4:5], s[40:41], v[18:19]
	v_addc_co_u32_e32 v9, vcc, v9, v26, vcc
	global_store_dwordx4 v[8:9], v[2:5], off
	s_nop 0
	v_mul_f64 v[2:3], s[40:41], v[10:11]
	v_fma_f64 v[26:27], s[38:39], v[12:13], -v[2:3]
	v_mul_f64 v[4:5], s[38:39], v[10:11]
	v_add_co_u32_e32 v2, vcc, 0x100, v8
	v_fmac_f64_e32 v[4:5], s[40:41], v[12:13]
	v_addc_co_u32_e32 v3, vcc, 0, v9, vcc
	global_store_dwordx2 v[8:9], v[26:27], off offset:256
	s_andn2_b64 vcc, exec, s[2:3]
	s_cbranch_vccz .LBB133_7
	s_branch .LBB133_8
.LBB133_6:
                                        ; implicit-def: $vgpr4_vgpr5
                                        ; implicit-def: $vgpr2_vgpr3
.LBB133_7:
	s_mul_i32 s0, s8, s23
	s_mul_hi_u32 s1, s8, s22
	s_add_i32 s1, s1, s0
	s_mul_i32 s0, s8, s22
	s_lshl_b64 s[0:1], s[0:1], 4
	s_add_u32 s2, s18, s0
	s_addc_u32 s3, s19, s1
	v_mul_lo_u32 v4, v7, s20
	v_mul_lo_u32 v5, v6, s21
	v_mad_u64_u32 v[2:3], s[0:1], v6, s20, 0
	v_add3_u32 v3, v3, v5, v4
	v_lshlrev_b64 v[2:3], 4, v[2:3]
	v_mov_b32_e32 v4, s3
	v_add_co_u32_e32 v2, vcc, s2, v2
	v_addc_co_u32_e32 v3, vcc, v4, v3, vcc
	v_lshlrev_b64 v[4:5], 4, v[0:1]
	v_add_co_u32_e32 v8, vcc, v2, v4
	v_addc_co_u32_e32 v9, vcc, v3, v5, vcc
	global_load_dwordx4 v[0:3], v[8:9], off
	v_mul_lo_u32 v28, v7, s26
	v_mul_lo_u32 v29, v6, s27
	v_mad_u64_u32 v[6:7], s[0:1], v6, s26, 0
	v_add3_u32 v7, v7, v29, v28
	v_lshlrev_b64 v[6:7], 4, v[6:7]
	v_mov_b32_e32 v30, s5
	v_add_co_u32_e32 v6, vcc, s4, v6
	v_addc_co_u32_e32 v7, vcc, v30, v7, vcc
	v_add_co_u32_e32 v4, vcc, v6, v4
	v_mul_f64 v[26:27], s[40:41], v[24:25]
	v_mul_f64 v[24:25], s[38:39], v[24:25]
	v_addc_co_u32_e32 v5, vcc, v7, v5, vcc
	v_fma_f64 v[26:27], s[38:39], v[22:23], -v[26:27]
	v_fmac_f64_e32 v[24:25], s[40:41], v[22:23]
	s_lshl_b64 s[0:1], s[20:21], 8
	s_waitcnt vmcnt(0)
	v_mul_f64 v[6:7], s[16:17], v[2:3]
	v_mul_f64 v[2:3], s[14:15], v[2:3]
	v_fma_f64 v[6:7], s[14:15], v[0:1], -v[6:7]
	v_fmac_f64_e32 v[2:3], s[16:17], v[0:1]
	v_add_f64 v[0:1], v[26:27], v[6:7]
	v_add_f64 v[2:3], v[24:25], v[2:3]
	global_store_dwordx4 v[4:5], v[0:3], off
	global_load_dwordx4 v[0:3], v[8:9], off offset:256
	v_mul_f64 v[6:7], s[40:41], v[16:17]
	v_mul_f64 v[16:17], s[38:39], v[16:17]
	v_fma_f64 v[6:7], s[38:39], v[14:15], -v[6:7]
	v_fmac_f64_e32 v[16:17], s[40:41], v[14:15]
	v_mov_b32_e32 v14, s1
	v_add_co_u32_e32 v8, vcc, s0, v8
	v_addc_co_u32_e32 v9, vcc, v9, v14, vcc
	s_lshl_b64 s[0:1], s[26:27], 8
	s_waitcnt vmcnt(0)
	v_mul_f64 v[14:15], s[16:17], v[2:3]
	v_mul_f64 v[2:3], s[14:15], v[2:3]
	v_fma_f64 v[14:15], s[14:15], v[0:1], -v[14:15]
	v_fmac_f64_e32 v[2:3], s[16:17], v[0:1]
	v_add_f64 v[0:1], v[6:7], v[14:15]
	v_add_f64 v[2:3], v[16:17], v[2:3]
	global_store_dwordx4 v[4:5], v[0:3], off offset:256
	global_load_dwordx4 v[0:3], v[8:9], off
	v_mov_b32_e32 v17, s1
	v_add_co_u32_e32 v16, vcc, s0, v4
	v_mul_f64 v[6:7], s[40:41], v[20:21]
	v_mul_f64 v[14:15], s[38:39], v[20:21]
	v_addc_co_u32_e32 v17, vcc, v5, v17, vcc
	v_fma_f64 v[6:7], s[38:39], v[18:19], -v[6:7]
	v_fmac_f64_e32 v[14:15], s[40:41], v[18:19]
	s_waitcnt vmcnt(0)
	v_mul_f64 v[4:5], s[16:17], v[2:3]
	v_mul_f64 v[2:3], s[14:15], v[2:3]
	v_fma_f64 v[4:5], s[14:15], v[0:1], -v[4:5]
	v_fmac_f64_e32 v[2:3], s[16:17], v[0:1]
	v_add_f64 v[0:1], v[6:7], v[4:5]
	v_add_f64 v[2:3], v[14:15], v[2:3]
	global_store_dwordx4 v[16:17], v[0:3], off
	global_load_dwordx4 v[4:7], v[8:9], off offset:256
	v_mul_f64 v[0:1], s[40:41], v[10:11]
	v_mul_f64 v[8:9], s[38:39], v[10:11]
	v_fma_f64 v[0:1], s[38:39], v[12:13], -v[0:1]
	v_fmac_f64_e32 v[8:9], s[40:41], v[12:13]
	v_add_co_u32_e32 v2, vcc, 0x100, v16
	v_addc_co_u32_e32 v3, vcc, 0, v17, vcc
	s_waitcnt vmcnt(0)
	v_mul_f64 v[10:11], s[16:17], v[6:7]
	v_mul_f64 v[6:7], s[14:15], v[6:7]
	v_fma_f64 v[10:11], s[14:15], v[4:5], -v[10:11]
	v_fmac_f64_e32 v[6:7], s[16:17], v[4:5]
	v_add_f64 v[0:1], v[0:1], v[10:11]
	v_add_f64 v[4:5], v[8:9], v[6:7]
	global_store_dwordx2 v[16:17], v[0:1], off offset:256
.LBB133_8:
	global_store_dwordx2 v[2:3], v[4:5], off offset:8
	s_endpgm
	.section	.rodata,"a",@progbits
	.p2align	6, 0x0
	.amdhsa_kernel _ZN12_GLOBAL__N_127rocblas_gemm_batched_kernelI19rocblas_complex_numIdELi16ELi16ELi32ELi32ELi8ELi32ELi8ELi8ELi32ELc67ELc84EKS2_S3_S2_EEvlllT_PT11_llS6_llS4_PT12_llPT13_lli
		.amdhsa_group_segment_fixed_size 8192
		.amdhsa_private_segment_fixed_size 0
		.amdhsa_kernarg_size 156
		.amdhsa_user_sgpr_count 6
		.amdhsa_user_sgpr_private_segment_buffer 1
		.amdhsa_user_sgpr_dispatch_ptr 0
		.amdhsa_user_sgpr_queue_ptr 0
		.amdhsa_user_sgpr_kernarg_segment_ptr 1
		.amdhsa_user_sgpr_dispatch_id 0
		.amdhsa_user_sgpr_flat_scratch_init 0
		.amdhsa_user_sgpr_kernarg_preload_length 0
		.amdhsa_user_sgpr_kernarg_preload_offset 0
		.amdhsa_user_sgpr_private_segment_size 0
		.amdhsa_uses_dynamic_stack 0
		.amdhsa_system_sgpr_private_segment_wavefront_offset 0
		.amdhsa_system_sgpr_workgroup_id_x 1
		.amdhsa_system_sgpr_workgroup_id_y 1
		.amdhsa_system_sgpr_workgroup_id_z 1
		.amdhsa_system_sgpr_workgroup_info 0
		.amdhsa_system_vgpr_workitem_id 1
		.amdhsa_next_free_vgpr 56
		.amdhsa_next_free_sgpr 52
		.amdhsa_accum_offset 56
		.amdhsa_reserve_vcc 1
		.amdhsa_reserve_flat_scratch 0
		.amdhsa_float_round_mode_32 0
		.amdhsa_float_round_mode_16_64 0
		.amdhsa_float_denorm_mode_32 3
		.amdhsa_float_denorm_mode_16_64 3
		.amdhsa_dx10_clamp 1
		.amdhsa_ieee_mode 1
		.amdhsa_fp16_overflow 0
		.amdhsa_tg_split 0
		.amdhsa_exception_fp_ieee_invalid_op 0
		.amdhsa_exception_fp_denorm_src 0
		.amdhsa_exception_fp_ieee_div_zero 0
		.amdhsa_exception_fp_ieee_overflow 0
		.amdhsa_exception_fp_ieee_underflow 0
		.amdhsa_exception_fp_ieee_inexact 0
		.amdhsa_exception_int_div_zero 0
	.end_amdhsa_kernel
	.section	.text._ZN12_GLOBAL__N_127rocblas_gemm_batched_kernelI19rocblas_complex_numIdELi16ELi16ELi32ELi32ELi8ELi32ELi8ELi8ELi32ELc67ELc84EKS2_S3_S2_EEvlllT_PT11_llS6_llS4_PT12_llPT13_lli,"axG",@progbits,_ZN12_GLOBAL__N_127rocblas_gemm_batched_kernelI19rocblas_complex_numIdELi16ELi16ELi32ELi32ELi8ELi32ELi8ELi8ELi32ELc67ELc84EKS2_S3_S2_EEvlllT_PT11_llS6_llS4_PT12_llPT13_lli,comdat
.Lfunc_end133:
	.size	_ZN12_GLOBAL__N_127rocblas_gemm_batched_kernelI19rocblas_complex_numIdELi16ELi16ELi32ELi32ELi8ELi32ELi8ELi8ELi32ELc67ELc84EKS2_S3_S2_EEvlllT_PT11_llS6_llS4_PT12_llPT13_lli, .Lfunc_end133-_ZN12_GLOBAL__N_127rocblas_gemm_batched_kernelI19rocblas_complex_numIdELi16ELi16ELi32ELi32ELi8ELi32ELi8ELi8ELi32ELc67ELc84EKS2_S3_S2_EEvlllT_PT11_llS6_llS4_PT12_llPT13_lli
                                        ; -- End function
	.section	.AMDGPU.csdata,"",@progbits
; Kernel info:
; codeLenInByte = 3292
; NumSgprs: 56
; NumVgprs: 56
; NumAgprs: 0
; TotalNumVgprs: 56
; ScratchSize: 0
; MemoryBound: 0
; FloatMode: 240
; IeeeMode: 1
; LDSByteSize: 8192 bytes/workgroup (compile time only)
; SGPRBlocks: 6
; VGPRBlocks: 6
; NumSGPRsForWavesPerEU: 56
; NumVGPRsForWavesPerEU: 56
; AccumOffset: 56
; Occupancy: 8
; WaveLimiterHint : 1
; COMPUTE_PGM_RSRC2:SCRATCH_EN: 0
; COMPUTE_PGM_RSRC2:USER_SGPR: 6
; COMPUTE_PGM_RSRC2:TRAP_HANDLER: 0
; COMPUTE_PGM_RSRC2:TGID_X_EN: 1
; COMPUTE_PGM_RSRC2:TGID_Y_EN: 1
; COMPUTE_PGM_RSRC2:TGID_Z_EN: 1
; COMPUTE_PGM_RSRC2:TIDIG_COMP_CNT: 1
; COMPUTE_PGM_RSRC3_GFX90A:ACCUM_OFFSET: 13
; COMPUTE_PGM_RSRC3_GFX90A:TG_SPLIT: 0
	.section	.text._ZN12_GLOBAL__N_127rocblas_gemm_batched_kernelI19rocblas_complex_numIdELi16ELi16ELi32ELi32ELi8ELi32ELi8ELi8ELi32ELc78ELc67EKS2_S3_S2_EEvlllT_PT11_llS6_llS4_PT12_llPT13_lli,"axG",@progbits,_ZN12_GLOBAL__N_127rocblas_gemm_batched_kernelI19rocblas_complex_numIdELi16ELi16ELi32ELi32ELi8ELi32ELi8ELi8ELi32ELc78ELc67EKS2_S3_S2_EEvlllT_PT11_llS6_llS4_PT12_llPT13_lli,comdat
	.globl	_ZN12_GLOBAL__N_127rocblas_gemm_batched_kernelI19rocblas_complex_numIdELi16ELi16ELi32ELi32ELi8ELi32ELi8ELi8ELi32ELc78ELc67EKS2_S3_S2_EEvlllT_PT11_llS6_llS4_PT12_llPT13_lli ; -- Begin function _ZN12_GLOBAL__N_127rocblas_gemm_batched_kernelI19rocblas_complex_numIdELi16ELi16ELi32ELi32ELi8ELi32ELi8ELi8ELi32ELc78ELc67EKS2_S3_S2_EEvlllT_PT11_llS6_llS4_PT12_llPT13_lli
	.p2align	8
	.type	_ZN12_GLOBAL__N_127rocblas_gemm_batched_kernelI19rocblas_complex_numIdELi16ELi16ELi32ELi32ELi8ELi32ELi8ELi8ELi32ELc78ELc67EKS2_S3_S2_EEvlllT_PT11_llS6_llS4_PT12_llPT13_lli,@function
_ZN12_GLOBAL__N_127rocblas_gemm_batched_kernelI19rocblas_complex_numIdELi16ELi16ELi32ELi32ELi8ELi32ELi8ELi8ELi32ELc78ELc67EKS2_S3_S2_EEvlllT_PT11_llS6_llS4_PT12_llPT13_lli: ; @_ZN12_GLOBAL__N_127rocblas_gemm_batched_kernelI19rocblas_complex_numIdELi16ELi16ELi32ELi32ELi8ELi32ELi8ELi8ELi32ELc78ELc67EKS2_S3_S2_EEvlllT_PT11_llS6_llS4_PT12_llPT13_lli
; %bb.0:
	s_load_dwordx16 s[36:51], s[4:5], 0x10
	s_load_dwordx16 s[12:27], s[4:5], 0x50
	s_mov_b32 s2, s7
	s_ashr_i32 s7, s6, 31
	s_ashr_i32 s3, s2, 31
	s_waitcnt lgkmcnt(0)
	v_cmp_lt_i64_e64 s[10:11], s[36:37], 1
	v_bfe_u32 v27, v0, 10, 10
	v_and_b32_e32 v26, 0x3ff, v0
	s_lshl_b64 s[0:1], s[6:7], 5
	s_lshl_b64 s[2:3], s[2:3], 5
	s_mov_b64 s[6:7], 0
	s_and_b64 vcc, exec, s[10:11]
	s_cbranch_vccnz .LBB134_3
; %bb.1:
	v_lshl_add_u32 v4, v27, 4, v26
	v_lshrrev_b32_e32 v5, 3, v4
	v_mov_b32_e32 v1, s3
	v_add_co_u32_e32 v0, vcc, s2, v5
	v_addc_co_u32_e32 v1, vcc, 0, v1, vcc
	v_and_b32_e32 v6, 7, v26
	v_mad_u64_u32 v[0:1], s[10:11], v6, s50, v[0:1]
	v_mov_b32_e32 v2, v1
	v_mad_u64_u32 v[2:3], s[10:11], v6, s51, v[2:3]
	v_and_b32_e32 v7, 31, v4
	v_mov_b32_e32 v1, v2
	v_lshrrev_b32_e32 v8, 5, v4
	v_lshlrev_b32_e32 v2, 4, v7
	v_lshl_or_b32 v28, v8, 9, v2
	v_lshlrev_b32_e32 v2, 4, v6
	v_lshl_or_b32 v2, v5, 7, v2
	v_add_u32_e32 v29, 0x1000, v2
	v_mov_b32_e32 v2, 0x1000
	v_lshl_add_u32 v31, v27, 7, v2
	v_pk_mov_b32 v[2:3], s[0:1], s[0:1] op_sel:[0,1]
	v_mad_u64_u32 v[2:3], s[28:29], v8, s44, v[2:3]
	v_mov_b32_e32 v4, v3
	s_mul_i32 s9, s47, s8
	s_mul_hi_u32 s10, s46, s8
	v_mad_u64_u32 v[4:5], s[28:29], v8, s45, v[4:5]
	s_add_i32 s11, s10, s9
	s_mul_i32 s10, s46, s8
	v_mov_b32_e32 v3, v4
	v_add_co_u32_e32 v2, vcc, v2, v7
	s_lshl_b64 s[10:11], s[10:11], 4
	v_addc_co_u32_e32 v3, vcc, 0, v3, vcc
	v_lshlrev_b64 v[2:3], 4, v[2:3]
	s_add_u32 s9, s42, s10
	v_add_co_u32_e32 v4, vcc, s9, v2
	s_mul_i32 s9, s13, s8
	s_mul_hi_u32 s13, s12, s8
	s_addc_u32 s10, s43, s11
	s_add_i32 s13, s13, s9
	s_mul_i32 s12, s12, s8
	v_mov_b32_e32 v5, s10
	s_lshl_b64 s[10:11], s[44:45], 7
	s_lshl_b64 s[12:13], s[12:13], 4
	s_add_u32 s9, s48, s12
	v_addc_co_u32_e32 v5, vcc, v5, v3, vcc
	v_lshlrev_b64 v[0:1], 4, v[0:1]
	s_addc_u32 s12, s49, s13
	v_mov_b32_e32 v2, s12
	v_add_co_u32_e32 v0, vcc, s9, v0
	v_addc_co_u32_e32 v1, vcc, v2, v1, vcc
	v_add_co_u32_e32 v6, vcc, 8, v0
	s_lshl_b64 s[12:13], s[50:51], 7
	v_lshlrev_b32_e32 v30, 4, v26
	v_addc_co_u32_e32 v7, vcc, 0, v1, vcc
	v_pk_mov_b32 v[10:11], 0, 0
	v_mov_b32_e32 v32, s11
	v_mov_b32_e32 v33, s13
	v_pk_mov_b32 v[8:9], s[36:37], s[36:37] op_sel:[0,1]
	v_pk_mov_b32 v[12:13], 0, 0
	v_pk_mov_b32 v[20:21], 0, 0
	v_pk_mov_b32 v[18:19], 0, 0
	v_pk_mov_b32 v[16:17], 0, 0
	v_pk_mov_b32 v[14:15], 0, 0
	v_pk_mov_b32 v[24:25], 0, 0
	v_pk_mov_b32 v[22:23], 0, 0
.LBB134_2:                              ; =>This Inner Loop Header: Depth=1
	global_load_dwordx4 v[0:3], v[4:5], off
	v_add_co_u32_e32 v4, vcc, s10, v4
	v_addc_co_u32_e32 v5, vcc, v5, v32, vcc
	s_add_u32 s6, s6, 8
	s_addc_u32 s7, s7, 0
	s_waitcnt vmcnt(0)
	ds_write2_b64 v28, v[0:1], v[2:3] offset1:1
	global_load_dwordx4 v[0:3], v[6:7], off offset:-8
	v_add_co_u32_e32 v6, vcc, s12, v6
	v_addc_co_u32_e32 v7, vcc, v7, v33, vcc
	v_cmp_lt_i64_e32 vcc, s[6:7], v[8:9]
	s_and_b64 vcc, exec, vcc
	s_waitcnt vmcnt(0)
	v_xor_b32_e32 v3, 0x80000000, v3
	ds_write_b128 v29, v[0:3]
	s_waitcnt lgkmcnt(0)
	s_barrier
	ds_read_b128 v[34:37], v31
	ds_read_b128 v[38:41], v31 offset:16
	ds_read_b128 v[42:45], v31 offset:32
	;; [unrolled: 1-line block ×3, first 2 shown]
	ds_read_b128 v[46:49], v30
	s_waitcnt lgkmcnt(0)
	v_mul_f64 v[50:51], v[36:37], v[48:49]
	v_mul_f64 v[52:53], v[34:35], v[48:49]
	v_fma_f64 v[50:51], v[34:35], v[46:47], -v[50:51]
	v_fmac_f64_e32 v[52:53], v[36:37], v[46:47]
	v_add_f64 v[50:51], v[22:23], v[50:51]
	v_add_f64 v[52:53], v[24:25], v[52:53]
	ds_read_b128 v[22:25], v30 offset:256
	s_waitcnt lgkmcnt(0)
	v_mul_f64 v[54:55], v[36:37], v[24:25]
	v_fma_f64 v[54:55], v[34:35], v[22:23], -v[54:55]
	v_mul_f64 v[34:35], v[34:35], v[24:25]
	v_fmac_f64_e32 v[34:35], v[36:37], v[22:23]
	v_add_f64 v[36:37], v[14:15], v[54:55]
	v_add_f64 v[34:35], v[16:17], v[34:35]
	ds_read_b128 v[14:17], v31 offset:2048
	s_waitcnt lgkmcnt(0)
	v_mul_f64 v[54:55], v[16:17], v[48:49]
	v_fma_f64 v[54:55], v[14:15], v[46:47], -v[54:55]
	v_mul_f64 v[48:49], v[14:15], v[48:49]
	v_fmac_f64_e32 v[48:49], v[16:17], v[46:47]
	v_add_f64 v[46:47], v[18:19], v[54:55]
	v_mul_f64 v[18:19], v[16:17], v[24:25]
	v_fma_f64 v[18:19], v[14:15], v[22:23], -v[18:19]
	v_mul_f64 v[14:15], v[14:15], v[24:25]
	v_fmac_f64_e32 v[14:15], v[16:17], v[22:23]
	v_add_f64 v[22:23], v[12:13], v[18:19]
	v_add_f64 v[24:25], v[10:11], v[14:15]
	ds_read_b128 v[10:13], v30 offset:512
	v_add_f64 v[48:49], v[20:21], v[48:49]
	s_waitcnt lgkmcnt(0)
	v_mul_f64 v[14:15], v[40:41], v[12:13]
	v_mul_f64 v[16:17], v[38:39], v[12:13]
	v_fma_f64 v[14:15], v[38:39], v[10:11], -v[14:15]
	v_fmac_f64_e32 v[16:17], v[40:41], v[10:11]
	v_add_f64 v[50:51], v[50:51], v[14:15]
	v_add_f64 v[52:53], v[52:53], v[16:17]
	ds_read_b128 v[14:17], v30 offset:768
	s_waitcnt lgkmcnt(0)
	v_mul_f64 v[18:19], v[40:41], v[16:17]
	v_mul_f64 v[20:21], v[38:39], v[16:17]
	v_fma_f64 v[18:19], v[38:39], v[14:15], -v[18:19]
	v_fmac_f64_e32 v[20:21], v[40:41], v[14:15]
	v_add_f64 v[36:37], v[36:37], v[18:19]
	v_add_f64 v[34:35], v[34:35], v[20:21]
	ds_read_b128 v[18:21], v31 offset:2064
	s_waitcnt lgkmcnt(0)
	v_mul_f64 v[38:39], v[20:21], v[12:13]
	v_mul_f64 v[12:13], v[18:19], v[12:13]
	v_fmac_f64_e32 v[12:13], v[20:21], v[10:11]
	v_fma_f64 v[38:39], v[18:19], v[10:11], -v[38:39]
	v_add_f64 v[40:41], v[48:49], v[12:13]
	v_mul_f64 v[10:11], v[20:21], v[16:17]
	v_mul_f64 v[12:13], v[18:19], v[16:17]
	v_fma_f64 v[10:11], v[18:19], v[14:15], -v[10:11]
	v_fmac_f64_e32 v[12:13], v[20:21], v[14:15]
	v_add_f64 v[22:23], v[22:23], v[10:11]
	v_add_f64 v[24:25], v[24:25], v[12:13]
	ds_read_b128 v[10:13], v30 offset:1024
	v_add_f64 v[38:39], v[46:47], v[38:39]
	s_waitcnt lgkmcnt(0)
	v_mul_f64 v[14:15], v[44:45], v[12:13]
	v_mul_f64 v[16:17], v[42:43], v[12:13]
	v_fma_f64 v[14:15], v[42:43], v[10:11], -v[14:15]
	v_fmac_f64_e32 v[16:17], v[44:45], v[10:11]
	v_add_f64 v[46:47], v[50:51], v[14:15]
	v_add_f64 v[48:49], v[52:53], v[16:17]
	ds_read_b128 v[14:17], v30 offset:1280
	s_waitcnt lgkmcnt(0)
	v_mul_f64 v[18:19], v[44:45], v[16:17]
	v_mul_f64 v[20:21], v[42:43], v[16:17]
	v_fma_f64 v[18:19], v[42:43], v[14:15], -v[18:19]
	v_fmac_f64_e32 v[20:21], v[44:45], v[14:15]
	v_add_f64 v[36:37], v[36:37], v[18:19]
	v_add_f64 v[34:35], v[34:35], v[20:21]
	ds_read_b128 v[18:21], v31 offset:2080
	s_waitcnt lgkmcnt(0)
	v_mul_f64 v[42:43], v[20:21], v[12:13]
	v_mul_f64 v[12:13], v[18:19], v[12:13]
	v_fmac_f64_e32 v[12:13], v[20:21], v[10:11]
	v_fma_f64 v[42:43], v[18:19], v[10:11], -v[42:43]
	v_add_f64 v[40:41], v[40:41], v[12:13]
	v_mul_f64 v[10:11], v[20:21], v[16:17]
	v_mul_f64 v[12:13], v[18:19], v[16:17]
	v_fma_f64 v[10:11], v[18:19], v[14:15], -v[10:11]
	v_fmac_f64_e32 v[12:13], v[20:21], v[14:15]
	v_add_f64 v[18:19], v[22:23], v[10:11]
	v_add_f64 v[20:21], v[24:25], v[12:13]
	ds_read_b128 v[10:13], v30 offset:1536
	v_add_f64 v[38:39], v[38:39], v[42:43]
	s_waitcnt lgkmcnt(0)
	v_mul_f64 v[14:15], v[2:3], v[12:13]
	v_mul_f64 v[16:17], v[0:1], v[12:13]
	v_fma_f64 v[14:15], v[0:1], v[10:11], -v[14:15]
	v_fmac_f64_e32 v[16:17], v[2:3], v[10:11]
	v_add_f64 v[22:23], v[46:47], v[14:15]
	v_add_f64 v[24:25], v[48:49], v[16:17]
	ds_read_b128 v[14:17], v30 offset:1792
	s_waitcnt lgkmcnt(0)
	v_mul_f64 v[42:43], v[2:3], v[16:17]
	v_fma_f64 v[42:43], v[0:1], v[14:15], -v[42:43]
	v_mul_f64 v[0:1], v[0:1], v[16:17]
	v_fmac_f64_e32 v[0:1], v[2:3], v[14:15]
	v_add_f64 v[34:35], v[34:35], v[0:1]
	ds_read_b128 v[0:3], v31 offset:2096
	v_add_f64 v[36:37], v[36:37], v[42:43]
	s_waitcnt lgkmcnt(0)
	v_mul_f64 v[42:43], v[2:3], v[12:13]
	v_mul_f64 v[12:13], v[0:1], v[12:13]
	v_fma_f64 v[42:43], v[0:1], v[10:11], -v[42:43]
	v_fmac_f64_e32 v[12:13], v[2:3], v[10:11]
	v_mul_f64 v[10:11], v[2:3], v[16:17]
	v_fma_f64 v[10:11], v[0:1], v[14:15], -v[10:11]
	v_mul_f64 v[0:1], v[0:1], v[16:17]
	v_fmac_f64_e32 v[0:1], v[2:3], v[14:15]
	v_add_f64 v[40:41], v[40:41], v[12:13]
	v_add_f64 v[18:19], v[18:19], v[10:11]
	v_add_f64 v[20:21], v[20:21], v[0:1]
	ds_read_b128 v[0:3], v31 offset:64
	ds_read_b128 v[10:13], v30 offset:2048
	v_add_f64 v[38:39], v[38:39], v[42:43]
	s_waitcnt lgkmcnt(0)
	v_mul_f64 v[14:15], v[2:3], v[12:13]
	v_mul_f64 v[16:17], v[0:1], v[12:13]
	v_fma_f64 v[14:15], v[0:1], v[10:11], -v[14:15]
	v_fmac_f64_e32 v[16:17], v[2:3], v[10:11]
	v_add_f64 v[22:23], v[22:23], v[14:15]
	v_add_f64 v[24:25], v[24:25], v[16:17]
	ds_read_b128 v[14:17], v30 offset:2304
	s_waitcnt lgkmcnt(0)
	v_mul_f64 v[42:43], v[2:3], v[16:17]
	v_fma_f64 v[42:43], v[0:1], v[14:15], -v[42:43]
	v_mul_f64 v[0:1], v[0:1], v[16:17]
	v_fmac_f64_e32 v[0:1], v[2:3], v[14:15]
	v_add_f64 v[34:35], v[34:35], v[0:1]
	ds_read_b128 v[0:3], v31 offset:2112
	v_add_f64 v[36:37], v[36:37], v[42:43]
	s_waitcnt lgkmcnt(0)
	v_mul_f64 v[42:43], v[2:3], v[12:13]
	v_mul_f64 v[12:13], v[0:1], v[12:13]
	v_fma_f64 v[42:43], v[0:1], v[10:11], -v[42:43]
	v_fmac_f64_e32 v[12:13], v[2:3], v[10:11]
	v_mul_f64 v[10:11], v[2:3], v[16:17]
	v_fma_f64 v[10:11], v[0:1], v[14:15], -v[10:11]
	v_mul_f64 v[0:1], v[0:1], v[16:17]
	v_fmac_f64_e32 v[0:1], v[2:3], v[14:15]
	v_add_f64 v[40:41], v[40:41], v[12:13]
	v_add_f64 v[18:19], v[18:19], v[10:11]
	v_add_f64 v[20:21], v[20:21], v[0:1]
	ds_read_b128 v[0:3], v31 offset:80
	;; [unrolled: 31-line block ×4, first 2 shown]
	ds_read_b128 v[10:13], v30 offset:3584
	v_add_f64 v[38:39], v[38:39], v[34:35]
	ds_read_b128 v[34:37], v30 offset:3840
	s_waitcnt lgkmcnt(1)
	v_mul_f64 v[14:15], v[2:3], v[12:13]
	v_fma_f64 v[14:15], v[0:1], v[10:11], -v[14:15]
	v_add_f64 v[22:23], v[22:23], v[14:15]
	s_waitcnt lgkmcnt(0)
	v_mul_f64 v[14:15], v[2:3], v[36:37]
	v_mul_f64 v[16:17], v[0:1], v[12:13]
	v_fma_f64 v[14:15], v[0:1], v[34:35], -v[14:15]
	v_mul_f64 v[0:1], v[0:1], v[36:37]
	v_fmac_f64_e32 v[16:17], v[2:3], v[10:11]
	v_fmac_f64_e32 v[0:1], v[2:3], v[34:35]
	v_add_f64 v[24:25], v[24:25], v[16:17]
	v_add_f64 v[16:17], v[44:45], v[0:1]
	ds_read_b128 v[0:3], v31 offset:2160
	v_add_f64 v[14:15], v[42:43], v[14:15]
	s_waitcnt lgkmcnt(0)
	s_barrier
	v_mul_f64 v[18:19], v[2:3], v[12:13]
	v_mul_f64 v[12:13], v[0:1], v[12:13]
	v_fma_f64 v[18:19], v[0:1], v[10:11], -v[18:19]
	v_fmac_f64_e32 v[12:13], v[2:3], v[10:11]
	v_mul_f64 v[10:11], v[2:3], v[36:37]
	v_fma_f64 v[10:11], v[0:1], v[34:35], -v[10:11]
	v_mul_f64 v[0:1], v[0:1], v[36:37]
	v_fmac_f64_e32 v[0:1], v[2:3], v[34:35]
	v_add_f64 v[18:19], v[38:39], v[18:19]
	v_add_f64 v[20:21], v[40:41], v[12:13]
	;; [unrolled: 1-line block ×4, first 2 shown]
	s_cbranch_vccnz .LBB134_2
	s_branch .LBB134_4
.LBB134_3:
	v_pk_mov_b32 v[22:23], 0, 0
	v_pk_mov_b32 v[24:25], 0, 0
	;; [unrolled: 1-line block ×8, first 2 shown]
.LBB134_4:
	s_load_dwordx2 s[4:5], s[4:5], 0x90
	v_mov_b32_e32 v0, s3
	v_add_co_u32_e32 v6, vcc, s2, v27
	v_addc_co_u32_e32 v7, vcc, 0, v0, vcc
	s_waitcnt lgkmcnt(0)
	s_mul_i32 s3, s8, s5
	s_mul_hi_u32 s5, s8, s4
	s_mul_i32 s4, s8, s4
	s_add_i32 s5, s5, s3
	s_lshl_b64 s[4:5], s[4:5], 4
	s_add_u32 s4, s24, s4
	v_cmp_neq_f64_e64 s[6:7], s[14:15], 0
	v_cmp_neq_f64_e64 s[10:11], s[16:17], 0
	v_mov_b32_e32 v1, s1
	v_add_co_u32_e32 v0, vcc, s0, v26
	s_addc_u32 s5, s25, s5
	s_or_b64 s[6:7], s[6:7], s[10:11]
	v_addc_co_u32_e32 v1, vcc, 0, v1, vcc
	s_mov_b64 s[2:3], 0
	s_and_b64 vcc, exec, s[6:7]
	s_cbranch_vccnz .LBB134_6
; %bb.5:
	v_mul_lo_u32 v4, v7, s26
	v_mul_lo_u32 v5, v6, s27
	v_mad_u64_u32 v[2:3], s[0:1], v6, s26, 0
	v_add3_u32 v3, v3, v5, v4
	v_lshlrev_b64 v[2:3], 4, v[2:3]
	v_mov_b32_e32 v4, s5
	v_add_co_u32_e32 v26, vcc, s4, v2
	v_addc_co_u32_e32 v27, vcc, v4, v3, vcc
	v_lshlrev_b64 v[8:9], 4, v[0:1]
	v_mul_f64 v[2:3], s[40:41], v[24:25]
	v_mul_f64 v[4:5], s[38:39], v[24:25]
	v_add_co_u32_e32 v8, vcc, v26, v8
	v_fma_f64 v[2:3], s[38:39], v[22:23], -v[2:3]
	v_fmac_f64_e32 v[4:5], s[40:41], v[22:23]
	v_addc_co_u32_e32 v9, vcc, v27, v9, vcc
	global_store_dwordx4 v[8:9], v[2:5], off
	s_lshl_b64 s[0:1], s[26:27], 8
	v_mul_f64 v[2:3], s[40:41], v[16:17]
	v_mul_f64 v[4:5], s[38:39], v[16:17]
	v_fma_f64 v[2:3], s[38:39], v[14:15], -v[2:3]
	v_fmac_f64_e32 v[4:5], s[40:41], v[14:15]
	global_store_dwordx4 v[8:9], v[2:5], off offset:256
	v_mov_b32_e32 v26, s1
	v_mul_f64 v[2:3], s[40:41], v[20:21]
	v_mul_f64 v[4:5], s[38:39], v[20:21]
	v_add_co_u32_e32 v8, vcc, s0, v8
	v_fma_f64 v[2:3], s[38:39], v[18:19], -v[2:3]
	v_fmac_f64_e32 v[4:5], s[40:41], v[18:19]
	v_addc_co_u32_e32 v9, vcc, v9, v26, vcc
	global_store_dwordx4 v[8:9], v[2:5], off
	s_nop 0
	v_mul_f64 v[2:3], s[40:41], v[10:11]
	v_fma_f64 v[26:27], s[38:39], v[12:13], -v[2:3]
	v_mul_f64 v[4:5], s[38:39], v[10:11]
	v_add_co_u32_e32 v2, vcc, 0x100, v8
	v_fmac_f64_e32 v[4:5], s[40:41], v[12:13]
	v_addc_co_u32_e32 v3, vcc, 0, v9, vcc
	global_store_dwordx2 v[8:9], v[26:27], off offset:256
	s_andn2_b64 vcc, exec, s[2:3]
	s_cbranch_vccz .LBB134_7
	s_branch .LBB134_8
.LBB134_6:
                                        ; implicit-def: $vgpr4_vgpr5
                                        ; implicit-def: $vgpr2_vgpr3
.LBB134_7:
	s_mul_i32 s0, s8, s23
	s_mul_hi_u32 s1, s8, s22
	s_add_i32 s1, s1, s0
	s_mul_i32 s0, s8, s22
	s_lshl_b64 s[0:1], s[0:1], 4
	s_add_u32 s2, s18, s0
	s_addc_u32 s3, s19, s1
	v_mul_lo_u32 v4, v7, s20
	v_mul_lo_u32 v5, v6, s21
	v_mad_u64_u32 v[2:3], s[0:1], v6, s20, 0
	v_add3_u32 v3, v3, v5, v4
	v_lshlrev_b64 v[2:3], 4, v[2:3]
	v_mov_b32_e32 v4, s3
	v_add_co_u32_e32 v2, vcc, s2, v2
	v_addc_co_u32_e32 v3, vcc, v4, v3, vcc
	v_lshlrev_b64 v[4:5], 4, v[0:1]
	v_add_co_u32_e32 v8, vcc, v2, v4
	v_addc_co_u32_e32 v9, vcc, v3, v5, vcc
	global_load_dwordx4 v[0:3], v[8:9], off
	v_mul_lo_u32 v28, v7, s26
	v_mul_lo_u32 v29, v6, s27
	v_mad_u64_u32 v[6:7], s[0:1], v6, s26, 0
	v_add3_u32 v7, v7, v29, v28
	v_lshlrev_b64 v[6:7], 4, v[6:7]
	v_mov_b32_e32 v30, s5
	v_add_co_u32_e32 v6, vcc, s4, v6
	v_addc_co_u32_e32 v7, vcc, v30, v7, vcc
	v_add_co_u32_e32 v4, vcc, v6, v4
	v_mul_f64 v[26:27], s[40:41], v[24:25]
	v_mul_f64 v[24:25], s[38:39], v[24:25]
	v_addc_co_u32_e32 v5, vcc, v7, v5, vcc
	v_fma_f64 v[26:27], s[38:39], v[22:23], -v[26:27]
	v_fmac_f64_e32 v[24:25], s[40:41], v[22:23]
	s_lshl_b64 s[0:1], s[20:21], 8
	s_waitcnt vmcnt(0)
	v_mul_f64 v[6:7], s[16:17], v[2:3]
	v_mul_f64 v[2:3], s[14:15], v[2:3]
	v_fma_f64 v[6:7], s[14:15], v[0:1], -v[6:7]
	v_fmac_f64_e32 v[2:3], s[16:17], v[0:1]
	v_add_f64 v[0:1], v[26:27], v[6:7]
	v_add_f64 v[2:3], v[24:25], v[2:3]
	global_store_dwordx4 v[4:5], v[0:3], off
	global_load_dwordx4 v[0:3], v[8:9], off offset:256
	v_mul_f64 v[6:7], s[40:41], v[16:17]
	v_mul_f64 v[16:17], s[38:39], v[16:17]
	v_fma_f64 v[6:7], s[38:39], v[14:15], -v[6:7]
	v_fmac_f64_e32 v[16:17], s[40:41], v[14:15]
	v_mov_b32_e32 v14, s1
	v_add_co_u32_e32 v8, vcc, s0, v8
	v_addc_co_u32_e32 v9, vcc, v9, v14, vcc
	s_lshl_b64 s[0:1], s[26:27], 8
	s_waitcnt vmcnt(0)
	v_mul_f64 v[14:15], s[16:17], v[2:3]
	v_mul_f64 v[2:3], s[14:15], v[2:3]
	v_fma_f64 v[14:15], s[14:15], v[0:1], -v[14:15]
	v_fmac_f64_e32 v[2:3], s[16:17], v[0:1]
	v_add_f64 v[0:1], v[6:7], v[14:15]
	v_add_f64 v[2:3], v[16:17], v[2:3]
	global_store_dwordx4 v[4:5], v[0:3], off offset:256
	global_load_dwordx4 v[0:3], v[8:9], off
	v_mov_b32_e32 v17, s1
	v_add_co_u32_e32 v16, vcc, s0, v4
	v_mul_f64 v[6:7], s[40:41], v[20:21]
	v_mul_f64 v[14:15], s[38:39], v[20:21]
	v_addc_co_u32_e32 v17, vcc, v5, v17, vcc
	v_fma_f64 v[6:7], s[38:39], v[18:19], -v[6:7]
	v_fmac_f64_e32 v[14:15], s[40:41], v[18:19]
	s_waitcnt vmcnt(0)
	v_mul_f64 v[4:5], s[16:17], v[2:3]
	v_mul_f64 v[2:3], s[14:15], v[2:3]
	v_fma_f64 v[4:5], s[14:15], v[0:1], -v[4:5]
	v_fmac_f64_e32 v[2:3], s[16:17], v[0:1]
	v_add_f64 v[0:1], v[6:7], v[4:5]
	v_add_f64 v[2:3], v[14:15], v[2:3]
	global_store_dwordx4 v[16:17], v[0:3], off
	global_load_dwordx4 v[4:7], v[8:9], off offset:256
	v_mul_f64 v[0:1], s[40:41], v[10:11]
	v_mul_f64 v[8:9], s[38:39], v[10:11]
	v_fma_f64 v[0:1], s[38:39], v[12:13], -v[0:1]
	v_fmac_f64_e32 v[8:9], s[40:41], v[12:13]
	v_add_co_u32_e32 v2, vcc, 0x100, v16
	v_addc_co_u32_e32 v3, vcc, 0, v17, vcc
	s_waitcnt vmcnt(0)
	v_mul_f64 v[10:11], s[16:17], v[6:7]
	v_mul_f64 v[6:7], s[14:15], v[6:7]
	v_fma_f64 v[10:11], s[14:15], v[4:5], -v[10:11]
	v_fmac_f64_e32 v[6:7], s[16:17], v[4:5]
	v_add_f64 v[0:1], v[0:1], v[10:11]
	v_add_f64 v[4:5], v[8:9], v[6:7]
	global_store_dwordx2 v[16:17], v[0:1], off offset:256
.LBB134_8:
	global_store_dwordx2 v[2:3], v[4:5], off offset:8
	s_endpgm
	.section	.rodata,"a",@progbits
	.p2align	6, 0x0
	.amdhsa_kernel _ZN12_GLOBAL__N_127rocblas_gemm_batched_kernelI19rocblas_complex_numIdELi16ELi16ELi32ELi32ELi8ELi32ELi8ELi8ELi32ELc78ELc67EKS2_S3_S2_EEvlllT_PT11_llS6_llS4_PT12_llPT13_lli
		.amdhsa_group_segment_fixed_size 8192
		.amdhsa_private_segment_fixed_size 0
		.amdhsa_kernarg_size 156
		.amdhsa_user_sgpr_count 6
		.amdhsa_user_sgpr_private_segment_buffer 1
		.amdhsa_user_sgpr_dispatch_ptr 0
		.amdhsa_user_sgpr_queue_ptr 0
		.amdhsa_user_sgpr_kernarg_segment_ptr 1
		.amdhsa_user_sgpr_dispatch_id 0
		.amdhsa_user_sgpr_flat_scratch_init 0
		.amdhsa_user_sgpr_kernarg_preload_length 0
		.amdhsa_user_sgpr_kernarg_preload_offset 0
		.amdhsa_user_sgpr_private_segment_size 0
		.amdhsa_uses_dynamic_stack 0
		.amdhsa_system_sgpr_private_segment_wavefront_offset 0
		.amdhsa_system_sgpr_workgroup_id_x 1
		.amdhsa_system_sgpr_workgroup_id_y 1
		.amdhsa_system_sgpr_workgroup_id_z 1
		.amdhsa_system_sgpr_workgroup_info 0
		.amdhsa_system_vgpr_workitem_id 1
		.amdhsa_next_free_vgpr 56
		.amdhsa_next_free_sgpr 52
		.amdhsa_accum_offset 56
		.amdhsa_reserve_vcc 1
		.amdhsa_reserve_flat_scratch 0
		.amdhsa_float_round_mode_32 0
		.amdhsa_float_round_mode_16_64 0
		.amdhsa_float_denorm_mode_32 3
		.amdhsa_float_denorm_mode_16_64 3
		.amdhsa_dx10_clamp 1
		.amdhsa_ieee_mode 1
		.amdhsa_fp16_overflow 0
		.amdhsa_tg_split 0
		.amdhsa_exception_fp_ieee_invalid_op 0
		.amdhsa_exception_fp_denorm_src 0
		.amdhsa_exception_fp_ieee_div_zero 0
		.amdhsa_exception_fp_ieee_overflow 0
		.amdhsa_exception_fp_ieee_underflow 0
		.amdhsa_exception_fp_ieee_inexact 0
		.amdhsa_exception_int_div_zero 0
	.end_amdhsa_kernel
	.section	.text._ZN12_GLOBAL__N_127rocblas_gemm_batched_kernelI19rocblas_complex_numIdELi16ELi16ELi32ELi32ELi8ELi32ELi8ELi8ELi32ELc78ELc67EKS2_S3_S2_EEvlllT_PT11_llS6_llS4_PT12_llPT13_lli,"axG",@progbits,_ZN12_GLOBAL__N_127rocblas_gemm_batched_kernelI19rocblas_complex_numIdELi16ELi16ELi32ELi32ELi8ELi32ELi8ELi8ELi32ELc78ELc67EKS2_S3_S2_EEvlllT_PT11_llS6_llS4_PT12_llPT13_lli,comdat
.Lfunc_end134:
	.size	_ZN12_GLOBAL__N_127rocblas_gemm_batched_kernelI19rocblas_complex_numIdELi16ELi16ELi32ELi32ELi8ELi32ELi8ELi8ELi32ELc78ELc67EKS2_S3_S2_EEvlllT_PT11_llS6_llS4_PT12_llPT13_lli, .Lfunc_end134-_ZN12_GLOBAL__N_127rocblas_gemm_batched_kernelI19rocblas_complex_numIdELi16ELi16ELi32ELi32ELi8ELi32ELi8ELi8ELi32ELc78ELc67EKS2_S3_S2_EEvlllT_PT11_llS6_llS4_PT12_llPT13_lli
                                        ; -- End function
	.section	.AMDGPU.csdata,"",@progbits
; Kernel info:
; codeLenInByte = 3276
; NumSgprs: 56
; NumVgprs: 56
; NumAgprs: 0
; TotalNumVgprs: 56
; ScratchSize: 0
; MemoryBound: 0
; FloatMode: 240
; IeeeMode: 1
; LDSByteSize: 8192 bytes/workgroup (compile time only)
; SGPRBlocks: 6
; VGPRBlocks: 6
; NumSGPRsForWavesPerEU: 56
; NumVGPRsForWavesPerEU: 56
; AccumOffset: 56
; Occupancy: 8
; WaveLimiterHint : 1
; COMPUTE_PGM_RSRC2:SCRATCH_EN: 0
; COMPUTE_PGM_RSRC2:USER_SGPR: 6
; COMPUTE_PGM_RSRC2:TRAP_HANDLER: 0
; COMPUTE_PGM_RSRC2:TGID_X_EN: 1
; COMPUTE_PGM_RSRC2:TGID_Y_EN: 1
; COMPUTE_PGM_RSRC2:TGID_Z_EN: 1
; COMPUTE_PGM_RSRC2:TIDIG_COMP_CNT: 1
; COMPUTE_PGM_RSRC3_GFX90A:ACCUM_OFFSET: 13
; COMPUTE_PGM_RSRC3_GFX90A:TG_SPLIT: 0
	.section	.text._ZN12_GLOBAL__N_127rocblas_gemm_batched_kernelI19rocblas_complex_numIdELi16ELi16ELi32ELi32ELi8ELi32ELi8ELi8ELi32ELc84ELc67EKS2_S3_S2_EEvlllT_PT11_llS6_llS4_PT12_llPT13_lli,"axG",@progbits,_ZN12_GLOBAL__N_127rocblas_gemm_batched_kernelI19rocblas_complex_numIdELi16ELi16ELi32ELi32ELi8ELi32ELi8ELi8ELi32ELc84ELc67EKS2_S3_S2_EEvlllT_PT11_llS6_llS4_PT12_llPT13_lli,comdat
	.globl	_ZN12_GLOBAL__N_127rocblas_gemm_batched_kernelI19rocblas_complex_numIdELi16ELi16ELi32ELi32ELi8ELi32ELi8ELi8ELi32ELc84ELc67EKS2_S3_S2_EEvlllT_PT11_llS6_llS4_PT12_llPT13_lli ; -- Begin function _ZN12_GLOBAL__N_127rocblas_gemm_batched_kernelI19rocblas_complex_numIdELi16ELi16ELi32ELi32ELi8ELi32ELi8ELi8ELi32ELc84ELc67EKS2_S3_S2_EEvlllT_PT11_llS6_llS4_PT12_llPT13_lli
	.p2align	8
	.type	_ZN12_GLOBAL__N_127rocblas_gemm_batched_kernelI19rocblas_complex_numIdELi16ELi16ELi32ELi32ELi8ELi32ELi8ELi8ELi32ELc84ELc67EKS2_S3_S2_EEvlllT_PT11_llS6_llS4_PT12_llPT13_lli,@function
_ZN12_GLOBAL__N_127rocblas_gemm_batched_kernelI19rocblas_complex_numIdELi16ELi16ELi32ELi32ELi8ELi32ELi8ELi8ELi32ELc84ELc67EKS2_S3_S2_EEvlllT_PT11_llS6_llS4_PT12_llPT13_lli: ; @_ZN12_GLOBAL__N_127rocblas_gemm_batched_kernelI19rocblas_complex_numIdELi16ELi16ELi32ELi32ELi8ELi32ELi8ELi8ELi32ELc84ELc67EKS2_S3_S2_EEvlllT_PT11_llS6_llS4_PT12_llPT13_lli
; %bb.0:
	s_load_dwordx16 s[36:51], s[4:5], 0x10
	s_load_dwordx16 s[12:27], s[4:5], 0x50
	s_mov_b32 s2, s7
	s_ashr_i32 s7, s6, 31
	s_ashr_i32 s3, s2, 31
	s_waitcnt lgkmcnt(0)
	v_cmp_lt_i64_e64 s[10:11], s[36:37], 1
	v_bfe_u32 v27, v0, 10, 10
	v_and_b32_e32 v26, 0x3ff, v0
	s_lshl_b64 s[0:1], s[6:7], 5
	s_lshl_b64 s[2:3], s[2:3], 5
	s_mov_b64 s[6:7], 0
	s_and_b64 vcc, exec, s[10:11]
	s_cbranch_vccnz .LBB135_3
; %bb.1:
	v_lshl_add_u32 v4, v27, 4, v26
	v_lshrrev_b32_e32 v5, 3, v4
	v_mov_b32_e32 v1, s3
	v_add_co_u32_e32 v0, vcc, s2, v5
	v_addc_co_u32_e32 v1, vcc, 0, v1, vcc
	v_and_b32_e32 v6, 7, v26
	v_mad_u64_u32 v[0:1], s[10:11], v6, s50, v[0:1]
	v_mov_b32_e32 v2, v1
	v_mad_u64_u32 v[2:3], s[10:11], v6, s51, v[2:3]
	v_mov_b32_e32 v1, v2
	v_and_b32_e32 v2, 31, v4
	v_lshrrev_b32_e32 v4, 5, v4
	v_lshlrev_b32_e32 v3, 4, v2
	v_lshl_or_b32 v28, v4, 9, v3
	v_lshlrev_b32_e32 v3, 4, v6
	v_lshl_or_b32 v3, v5, 7, v3
	v_add_u32_e32 v29, 0x1000, v3
	v_mov_b32_e32 v3, 0x1000
	v_lshl_add_u32 v31, v27, 7, v3
	v_mov_b32_e32 v3, s1
	v_add_co_u32_e32 v2, vcc, s0, v2
	v_addc_co_u32_e32 v3, vcc, 0, v3, vcc
	v_mul_lo_u32 v5, s45, v2
	v_mul_lo_u32 v6, s44, v3
	v_mad_u64_u32 v[2:3], s[10:11], s44, v2, 0
	s_mul_i32 s9, s47, s8
	s_mul_hi_u32 s10, s46, s8
	v_add3_u32 v3, v3, v6, v5
	s_add_i32 s11, s10, s9
	s_mul_i32 s10, s46, s8
	v_lshlrev_b64 v[2:3], 4, v[2:3]
	s_lshl_b64 s[10:11], s[10:11], 4
	v_mov_b32_e32 v5, s11
	v_add_co_u32_e32 v2, vcc, s10, v2
	v_addc_co_u32_e32 v3, vcc, v3, v5, vcc
	v_lshlrev_b32_e32 v4, 4, v4
	s_mul_i32 s9, s13, s8
	s_mul_hi_u32 s10, s12, s8
	v_add_co_u32_e32 v2, vcc, v2, v4
	s_add_i32 s11, s10, s9
	s_mul_i32 s10, s12, s8
	v_addc_co_u32_e32 v3, vcc, 0, v3, vcc
	s_lshl_b64 s[10:11], s[10:11], 4
	v_mov_b32_e32 v5, s43
	v_add_co_u32_e32 v4, vcc, s42, v2
	s_add_u32 s9, s48, s10
	v_addc_co_u32_e32 v5, vcc, v5, v3, vcc
	v_lshlrev_b64 v[0:1], 4, v[0:1]
	s_addc_u32 s10, s49, s11
	v_mov_b32_e32 v2, s10
	v_add_co_u32_e32 v0, vcc, s9, v0
	v_addc_co_u32_e32 v1, vcc, v2, v1, vcc
	v_add_co_u32_e32 v6, vcc, 8, v0
	s_lshl_b64 s[10:11], s[50:51], 7
	v_lshlrev_b32_e32 v30, 4, v26
	v_addc_co_u32_e32 v7, vcc, 0, v1, vcc
	v_pk_mov_b32 v[10:11], 0, 0
	v_mov_b32_e32 v32, s11
	v_pk_mov_b32 v[8:9], s[36:37], s[36:37] op_sel:[0,1]
	v_pk_mov_b32 v[12:13], 0, 0
	v_pk_mov_b32 v[20:21], 0, 0
	;; [unrolled: 1-line block ×7, first 2 shown]
.LBB135_2:                              ; =>This Inner Loop Header: Depth=1
	global_load_dwordx4 v[0:3], v[4:5], off
	v_add_co_u32_e32 v4, vcc, 0x80, v4
	v_addc_co_u32_e32 v5, vcc, 0, v5, vcc
	s_add_u32 s6, s6, 8
	s_addc_u32 s7, s7, 0
	s_waitcnt vmcnt(0)
	ds_write2_b64 v28, v[0:1], v[2:3] offset1:1
	global_load_dwordx4 v[0:3], v[6:7], off offset:-8
	v_add_co_u32_e32 v6, vcc, s10, v6
	v_addc_co_u32_e32 v7, vcc, v7, v32, vcc
	v_cmp_lt_i64_e32 vcc, s[6:7], v[8:9]
	s_and_b64 vcc, exec, vcc
	s_waitcnt vmcnt(0)
	v_xor_b32_e32 v3, 0x80000000, v3
	ds_write_b128 v29, v[0:3]
	s_waitcnt lgkmcnt(0)
	s_barrier
	ds_read_b128 v[34:37], v31
	ds_read_b128 v[38:41], v31 offset:16
	ds_read_b128 v[42:45], v31 offset:32
	;; [unrolled: 1-line block ×3, first 2 shown]
	ds_read_b128 v[46:49], v30
	s_waitcnt lgkmcnt(0)
	v_mul_f64 v[50:51], v[36:37], v[48:49]
	v_mul_f64 v[52:53], v[34:35], v[48:49]
	v_fma_f64 v[50:51], v[34:35], v[46:47], -v[50:51]
	v_fmac_f64_e32 v[52:53], v[36:37], v[46:47]
	v_add_f64 v[50:51], v[22:23], v[50:51]
	v_add_f64 v[52:53], v[24:25], v[52:53]
	ds_read_b128 v[22:25], v30 offset:256
	s_waitcnt lgkmcnt(0)
	v_mul_f64 v[54:55], v[36:37], v[24:25]
	v_fma_f64 v[54:55], v[34:35], v[22:23], -v[54:55]
	v_mul_f64 v[34:35], v[34:35], v[24:25]
	v_fmac_f64_e32 v[34:35], v[36:37], v[22:23]
	v_add_f64 v[36:37], v[14:15], v[54:55]
	v_add_f64 v[34:35], v[16:17], v[34:35]
	ds_read_b128 v[14:17], v31 offset:2048
	s_waitcnt lgkmcnt(0)
	v_mul_f64 v[54:55], v[16:17], v[48:49]
	v_fma_f64 v[54:55], v[14:15], v[46:47], -v[54:55]
	v_mul_f64 v[48:49], v[14:15], v[48:49]
	v_fmac_f64_e32 v[48:49], v[16:17], v[46:47]
	v_add_f64 v[46:47], v[18:19], v[54:55]
	v_mul_f64 v[18:19], v[16:17], v[24:25]
	v_fma_f64 v[18:19], v[14:15], v[22:23], -v[18:19]
	v_mul_f64 v[14:15], v[14:15], v[24:25]
	v_fmac_f64_e32 v[14:15], v[16:17], v[22:23]
	v_add_f64 v[22:23], v[12:13], v[18:19]
	v_add_f64 v[24:25], v[10:11], v[14:15]
	ds_read_b128 v[10:13], v30 offset:512
	v_add_f64 v[48:49], v[20:21], v[48:49]
	s_waitcnt lgkmcnt(0)
	v_mul_f64 v[14:15], v[40:41], v[12:13]
	v_mul_f64 v[16:17], v[38:39], v[12:13]
	v_fma_f64 v[14:15], v[38:39], v[10:11], -v[14:15]
	v_fmac_f64_e32 v[16:17], v[40:41], v[10:11]
	v_add_f64 v[50:51], v[50:51], v[14:15]
	v_add_f64 v[52:53], v[52:53], v[16:17]
	ds_read_b128 v[14:17], v30 offset:768
	s_waitcnt lgkmcnt(0)
	v_mul_f64 v[18:19], v[40:41], v[16:17]
	v_mul_f64 v[20:21], v[38:39], v[16:17]
	v_fma_f64 v[18:19], v[38:39], v[14:15], -v[18:19]
	v_fmac_f64_e32 v[20:21], v[40:41], v[14:15]
	v_add_f64 v[36:37], v[36:37], v[18:19]
	v_add_f64 v[34:35], v[34:35], v[20:21]
	ds_read_b128 v[18:21], v31 offset:2064
	s_waitcnt lgkmcnt(0)
	v_mul_f64 v[38:39], v[20:21], v[12:13]
	v_mul_f64 v[12:13], v[18:19], v[12:13]
	v_fmac_f64_e32 v[12:13], v[20:21], v[10:11]
	v_fma_f64 v[38:39], v[18:19], v[10:11], -v[38:39]
	v_add_f64 v[40:41], v[48:49], v[12:13]
	v_mul_f64 v[10:11], v[20:21], v[16:17]
	v_mul_f64 v[12:13], v[18:19], v[16:17]
	v_fma_f64 v[10:11], v[18:19], v[14:15], -v[10:11]
	v_fmac_f64_e32 v[12:13], v[20:21], v[14:15]
	v_add_f64 v[22:23], v[22:23], v[10:11]
	v_add_f64 v[24:25], v[24:25], v[12:13]
	ds_read_b128 v[10:13], v30 offset:1024
	v_add_f64 v[38:39], v[46:47], v[38:39]
	s_waitcnt lgkmcnt(0)
	v_mul_f64 v[14:15], v[44:45], v[12:13]
	v_mul_f64 v[16:17], v[42:43], v[12:13]
	v_fma_f64 v[14:15], v[42:43], v[10:11], -v[14:15]
	v_fmac_f64_e32 v[16:17], v[44:45], v[10:11]
	v_add_f64 v[46:47], v[50:51], v[14:15]
	v_add_f64 v[48:49], v[52:53], v[16:17]
	ds_read_b128 v[14:17], v30 offset:1280
	s_waitcnt lgkmcnt(0)
	v_mul_f64 v[18:19], v[44:45], v[16:17]
	v_mul_f64 v[20:21], v[42:43], v[16:17]
	v_fma_f64 v[18:19], v[42:43], v[14:15], -v[18:19]
	v_fmac_f64_e32 v[20:21], v[44:45], v[14:15]
	v_add_f64 v[36:37], v[36:37], v[18:19]
	v_add_f64 v[34:35], v[34:35], v[20:21]
	ds_read_b128 v[18:21], v31 offset:2080
	s_waitcnt lgkmcnt(0)
	v_mul_f64 v[42:43], v[20:21], v[12:13]
	v_mul_f64 v[12:13], v[18:19], v[12:13]
	v_fmac_f64_e32 v[12:13], v[20:21], v[10:11]
	v_fma_f64 v[42:43], v[18:19], v[10:11], -v[42:43]
	v_add_f64 v[40:41], v[40:41], v[12:13]
	v_mul_f64 v[10:11], v[20:21], v[16:17]
	v_mul_f64 v[12:13], v[18:19], v[16:17]
	v_fma_f64 v[10:11], v[18:19], v[14:15], -v[10:11]
	v_fmac_f64_e32 v[12:13], v[20:21], v[14:15]
	v_add_f64 v[18:19], v[22:23], v[10:11]
	v_add_f64 v[20:21], v[24:25], v[12:13]
	ds_read_b128 v[10:13], v30 offset:1536
	v_add_f64 v[38:39], v[38:39], v[42:43]
	s_waitcnt lgkmcnt(0)
	v_mul_f64 v[14:15], v[2:3], v[12:13]
	v_mul_f64 v[16:17], v[0:1], v[12:13]
	v_fma_f64 v[14:15], v[0:1], v[10:11], -v[14:15]
	v_fmac_f64_e32 v[16:17], v[2:3], v[10:11]
	v_add_f64 v[22:23], v[46:47], v[14:15]
	v_add_f64 v[24:25], v[48:49], v[16:17]
	ds_read_b128 v[14:17], v30 offset:1792
	s_waitcnt lgkmcnt(0)
	v_mul_f64 v[42:43], v[2:3], v[16:17]
	v_fma_f64 v[42:43], v[0:1], v[14:15], -v[42:43]
	v_mul_f64 v[0:1], v[0:1], v[16:17]
	v_fmac_f64_e32 v[0:1], v[2:3], v[14:15]
	v_add_f64 v[34:35], v[34:35], v[0:1]
	ds_read_b128 v[0:3], v31 offset:2096
	v_add_f64 v[36:37], v[36:37], v[42:43]
	s_waitcnt lgkmcnt(0)
	v_mul_f64 v[42:43], v[2:3], v[12:13]
	v_mul_f64 v[12:13], v[0:1], v[12:13]
	v_fma_f64 v[42:43], v[0:1], v[10:11], -v[42:43]
	v_fmac_f64_e32 v[12:13], v[2:3], v[10:11]
	v_mul_f64 v[10:11], v[2:3], v[16:17]
	v_fma_f64 v[10:11], v[0:1], v[14:15], -v[10:11]
	v_mul_f64 v[0:1], v[0:1], v[16:17]
	v_fmac_f64_e32 v[0:1], v[2:3], v[14:15]
	v_add_f64 v[40:41], v[40:41], v[12:13]
	v_add_f64 v[18:19], v[18:19], v[10:11]
	v_add_f64 v[20:21], v[20:21], v[0:1]
	ds_read_b128 v[0:3], v31 offset:64
	ds_read_b128 v[10:13], v30 offset:2048
	v_add_f64 v[38:39], v[38:39], v[42:43]
	s_waitcnt lgkmcnt(0)
	v_mul_f64 v[14:15], v[2:3], v[12:13]
	v_mul_f64 v[16:17], v[0:1], v[12:13]
	v_fma_f64 v[14:15], v[0:1], v[10:11], -v[14:15]
	v_fmac_f64_e32 v[16:17], v[2:3], v[10:11]
	v_add_f64 v[22:23], v[22:23], v[14:15]
	v_add_f64 v[24:25], v[24:25], v[16:17]
	ds_read_b128 v[14:17], v30 offset:2304
	s_waitcnt lgkmcnt(0)
	v_mul_f64 v[42:43], v[2:3], v[16:17]
	v_fma_f64 v[42:43], v[0:1], v[14:15], -v[42:43]
	v_mul_f64 v[0:1], v[0:1], v[16:17]
	v_fmac_f64_e32 v[0:1], v[2:3], v[14:15]
	v_add_f64 v[34:35], v[34:35], v[0:1]
	ds_read_b128 v[0:3], v31 offset:2112
	v_add_f64 v[36:37], v[36:37], v[42:43]
	s_waitcnt lgkmcnt(0)
	v_mul_f64 v[42:43], v[2:3], v[12:13]
	v_mul_f64 v[12:13], v[0:1], v[12:13]
	v_fma_f64 v[42:43], v[0:1], v[10:11], -v[42:43]
	v_fmac_f64_e32 v[12:13], v[2:3], v[10:11]
	v_mul_f64 v[10:11], v[2:3], v[16:17]
	v_fma_f64 v[10:11], v[0:1], v[14:15], -v[10:11]
	v_mul_f64 v[0:1], v[0:1], v[16:17]
	v_fmac_f64_e32 v[0:1], v[2:3], v[14:15]
	v_add_f64 v[40:41], v[40:41], v[12:13]
	v_add_f64 v[18:19], v[18:19], v[10:11]
	v_add_f64 v[20:21], v[20:21], v[0:1]
	ds_read_b128 v[0:3], v31 offset:80
	;; [unrolled: 31-line block ×4, first 2 shown]
	ds_read_b128 v[10:13], v30 offset:3584
	v_add_f64 v[38:39], v[38:39], v[34:35]
	ds_read_b128 v[34:37], v30 offset:3840
	s_waitcnt lgkmcnt(1)
	v_mul_f64 v[14:15], v[2:3], v[12:13]
	v_fma_f64 v[14:15], v[0:1], v[10:11], -v[14:15]
	v_add_f64 v[22:23], v[22:23], v[14:15]
	s_waitcnt lgkmcnt(0)
	v_mul_f64 v[14:15], v[2:3], v[36:37]
	v_mul_f64 v[16:17], v[0:1], v[12:13]
	v_fma_f64 v[14:15], v[0:1], v[34:35], -v[14:15]
	v_mul_f64 v[0:1], v[0:1], v[36:37]
	v_fmac_f64_e32 v[16:17], v[2:3], v[10:11]
	v_fmac_f64_e32 v[0:1], v[2:3], v[34:35]
	v_add_f64 v[24:25], v[24:25], v[16:17]
	v_add_f64 v[16:17], v[44:45], v[0:1]
	ds_read_b128 v[0:3], v31 offset:2160
	v_add_f64 v[14:15], v[42:43], v[14:15]
	s_waitcnt lgkmcnt(0)
	s_barrier
	v_mul_f64 v[18:19], v[2:3], v[12:13]
	v_mul_f64 v[12:13], v[0:1], v[12:13]
	v_fma_f64 v[18:19], v[0:1], v[10:11], -v[18:19]
	v_fmac_f64_e32 v[12:13], v[2:3], v[10:11]
	v_mul_f64 v[10:11], v[2:3], v[36:37]
	v_fma_f64 v[10:11], v[0:1], v[34:35], -v[10:11]
	v_mul_f64 v[0:1], v[0:1], v[36:37]
	v_fmac_f64_e32 v[0:1], v[2:3], v[34:35]
	v_add_f64 v[18:19], v[38:39], v[18:19]
	v_add_f64 v[20:21], v[40:41], v[12:13]
	v_add_f64 v[12:13], v[46:47], v[10:11]
	v_add_f64 v[10:11], v[48:49], v[0:1]
	s_cbranch_vccnz .LBB135_2
	s_branch .LBB135_4
.LBB135_3:
	v_pk_mov_b32 v[22:23], 0, 0
	v_pk_mov_b32 v[24:25], 0, 0
	;; [unrolled: 1-line block ×8, first 2 shown]
.LBB135_4:
	s_load_dwordx2 s[4:5], s[4:5], 0x90
	v_mov_b32_e32 v0, s3
	v_add_co_u32_e32 v6, vcc, s2, v27
	v_addc_co_u32_e32 v7, vcc, 0, v0, vcc
	s_waitcnt lgkmcnt(0)
	s_mul_i32 s3, s8, s5
	s_mul_hi_u32 s5, s8, s4
	s_mul_i32 s4, s8, s4
	s_add_i32 s5, s5, s3
	s_lshl_b64 s[4:5], s[4:5], 4
	s_add_u32 s4, s24, s4
	v_cmp_neq_f64_e64 s[6:7], s[14:15], 0
	v_cmp_neq_f64_e64 s[10:11], s[16:17], 0
	v_mov_b32_e32 v1, s1
	v_add_co_u32_e32 v0, vcc, s0, v26
	s_addc_u32 s5, s25, s5
	s_or_b64 s[6:7], s[6:7], s[10:11]
	v_addc_co_u32_e32 v1, vcc, 0, v1, vcc
	s_mov_b64 s[2:3], 0
	s_and_b64 vcc, exec, s[6:7]
	s_cbranch_vccnz .LBB135_6
; %bb.5:
	v_mul_lo_u32 v4, v7, s26
	v_mul_lo_u32 v5, v6, s27
	v_mad_u64_u32 v[2:3], s[0:1], v6, s26, 0
	v_add3_u32 v3, v3, v5, v4
	v_lshlrev_b64 v[2:3], 4, v[2:3]
	v_mov_b32_e32 v4, s5
	v_add_co_u32_e32 v26, vcc, s4, v2
	v_addc_co_u32_e32 v27, vcc, v4, v3, vcc
	v_lshlrev_b64 v[8:9], 4, v[0:1]
	v_mul_f64 v[2:3], s[40:41], v[24:25]
	v_mul_f64 v[4:5], s[38:39], v[24:25]
	v_add_co_u32_e32 v8, vcc, v26, v8
	v_fma_f64 v[2:3], s[38:39], v[22:23], -v[2:3]
	v_fmac_f64_e32 v[4:5], s[40:41], v[22:23]
	v_addc_co_u32_e32 v9, vcc, v27, v9, vcc
	global_store_dwordx4 v[8:9], v[2:5], off
	s_lshl_b64 s[0:1], s[26:27], 8
	v_mul_f64 v[2:3], s[40:41], v[16:17]
	v_mul_f64 v[4:5], s[38:39], v[16:17]
	v_fma_f64 v[2:3], s[38:39], v[14:15], -v[2:3]
	v_fmac_f64_e32 v[4:5], s[40:41], v[14:15]
	global_store_dwordx4 v[8:9], v[2:5], off offset:256
	v_mov_b32_e32 v26, s1
	v_mul_f64 v[2:3], s[40:41], v[20:21]
	v_mul_f64 v[4:5], s[38:39], v[20:21]
	v_add_co_u32_e32 v8, vcc, s0, v8
	v_fma_f64 v[2:3], s[38:39], v[18:19], -v[2:3]
	v_fmac_f64_e32 v[4:5], s[40:41], v[18:19]
	v_addc_co_u32_e32 v9, vcc, v9, v26, vcc
	global_store_dwordx4 v[8:9], v[2:5], off
	s_nop 0
	v_mul_f64 v[2:3], s[40:41], v[10:11]
	v_fma_f64 v[26:27], s[38:39], v[12:13], -v[2:3]
	v_mul_f64 v[4:5], s[38:39], v[10:11]
	v_add_co_u32_e32 v2, vcc, 0x100, v8
	v_fmac_f64_e32 v[4:5], s[40:41], v[12:13]
	v_addc_co_u32_e32 v3, vcc, 0, v9, vcc
	global_store_dwordx2 v[8:9], v[26:27], off offset:256
	s_andn2_b64 vcc, exec, s[2:3]
	s_cbranch_vccz .LBB135_7
	s_branch .LBB135_8
.LBB135_6:
                                        ; implicit-def: $vgpr4_vgpr5
                                        ; implicit-def: $vgpr2_vgpr3
.LBB135_7:
	s_mul_i32 s0, s8, s23
	s_mul_hi_u32 s1, s8, s22
	s_add_i32 s1, s1, s0
	s_mul_i32 s0, s8, s22
	s_lshl_b64 s[0:1], s[0:1], 4
	s_add_u32 s2, s18, s0
	s_addc_u32 s3, s19, s1
	v_mul_lo_u32 v4, v7, s20
	v_mul_lo_u32 v5, v6, s21
	v_mad_u64_u32 v[2:3], s[0:1], v6, s20, 0
	v_add3_u32 v3, v3, v5, v4
	v_lshlrev_b64 v[2:3], 4, v[2:3]
	v_mov_b32_e32 v4, s3
	v_add_co_u32_e32 v2, vcc, s2, v2
	v_addc_co_u32_e32 v3, vcc, v4, v3, vcc
	v_lshlrev_b64 v[4:5], 4, v[0:1]
	v_add_co_u32_e32 v8, vcc, v2, v4
	v_addc_co_u32_e32 v9, vcc, v3, v5, vcc
	global_load_dwordx4 v[0:3], v[8:9], off
	v_mul_lo_u32 v28, v7, s26
	v_mul_lo_u32 v29, v6, s27
	v_mad_u64_u32 v[6:7], s[0:1], v6, s26, 0
	v_add3_u32 v7, v7, v29, v28
	v_lshlrev_b64 v[6:7], 4, v[6:7]
	v_mov_b32_e32 v30, s5
	v_add_co_u32_e32 v6, vcc, s4, v6
	v_addc_co_u32_e32 v7, vcc, v30, v7, vcc
	v_add_co_u32_e32 v4, vcc, v6, v4
	v_mul_f64 v[26:27], s[40:41], v[24:25]
	v_mul_f64 v[24:25], s[38:39], v[24:25]
	v_addc_co_u32_e32 v5, vcc, v7, v5, vcc
	v_fma_f64 v[26:27], s[38:39], v[22:23], -v[26:27]
	v_fmac_f64_e32 v[24:25], s[40:41], v[22:23]
	s_lshl_b64 s[0:1], s[20:21], 8
	s_waitcnt vmcnt(0)
	v_mul_f64 v[6:7], s[16:17], v[2:3]
	v_mul_f64 v[2:3], s[14:15], v[2:3]
	v_fma_f64 v[6:7], s[14:15], v[0:1], -v[6:7]
	v_fmac_f64_e32 v[2:3], s[16:17], v[0:1]
	v_add_f64 v[0:1], v[26:27], v[6:7]
	v_add_f64 v[2:3], v[24:25], v[2:3]
	global_store_dwordx4 v[4:5], v[0:3], off
	global_load_dwordx4 v[0:3], v[8:9], off offset:256
	v_mul_f64 v[6:7], s[40:41], v[16:17]
	v_mul_f64 v[16:17], s[38:39], v[16:17]
	v_fma_f64 v[6:7], s[38:39], v[14:15], -v[6:7]
	v_fmac_f64_e32 v[16:17], s[40:41], v[14:15]
	v_mov_b32_e32 v14, s1
	v_add_co_u32_e32 v8, vcc, s0, v8
	v_addc_co_u32_e32 v9, vcc, v9, v14, vcc
	s_lshl_b64 s[0:1], s[26:27], 8
	s_waitcnt vmcnt(0)
	v_mul_f64 v[14:15], s[16:17], v[2:3]
	v_mul_f64 v[2:3], s[14:15], v[2:3]
	v_fma_f64 v[14:15], s[14:15], v[0:1], -v[14:15]
	v_fmac_f64_e32 v[2:3], s[16:17], v[0:1]
	v_add_f64 v[0:1], v[6:7], v[14:15]
	v_add_f64 v[2:3], v[16:17], v[2:3]
	global_store_dwordx4 v[4:5], v[0:3], off offset:256
	global_load_dwordx4 v[0:3], v[8:9], off
	v_mov_b32_e32 v17, s1
	v_add_co_u32_e32 v16, vcc, s0, v4
	v_mul_f64 v[6:7], s[40:41], v[20:21]
	v_mul_f64 v[14:15], s[38:39], v[20:21]
	v_addc_co_u32_e32 v17, vcc, v5, v17, vcc
	v_fma_f64 v[6:7], s[38:39], v[18:19], -v[6:7]
	v_fmac_f64_e32 v[14:15], s[40:41], v[18:19]
	s_waitcnt vmcnt(0)
	v_mul_f64 v[4:5], s[16:17], v[2:3]
	v_mul_f64 v[2:3], s[14:15], v[2:3]
	v_fma_f64 v[4:5], s[14:15], v[0:1], -v[4:5]
	v_fmac_f64_e32 v[2:3], s[16:17], v[0:1]
	v_add_f64 v[0:1], v[6:7], v[4:5]
	v_add_f64 v[2:3], v[14:15], v[2:3]
	global_store_dwordx4 v[16:17], v[0:3], off
	global_load_dwordx4 v[4:7], v[8:9], off offset:256
	v_mul_f64 v[0:1], s[40:41], v[10:11]
	v_mul_f64 v[8:9], s[38:39], v[10:11]
	v_fma_f64 v[0:1], s[38:39], v[12:13], -v[0:1]
	v_fmac_f64_e32 v[8:9], s[40:41], v[12:13]
	v_add_co_u32_e32 v2, vcc, 0x100, v16
	v_addc_co_u32_e32 v3, vcc, 0, v17, vcc
	s_waitcnt vmcnt(0)
	v_mul_f64 v[10:11], s[16:17], v[6:7]
	v_mul_f64 v[6:7], s[14:15], v[6:7]
	v_fma_f64 v[10:11], s[14:15], v[4:5], -v[10:11]
	v_fmac_f64_e32 v[6:7], s[16:17], v[4:5]
	v_add_f64 v[0:1], v[0:1], v[10:11]
	v_add_f64 v[4:5], v[8:9], v[6:7]
	global_store_dwordx2 v[16:17], v[0:1], off offset:256
.LBB135_8:
	global_store_dwordx2 v[2:3], v[4:5], off offset:8
	s_endpgm
	.section	.rodata,"a",@progbits
	.p2align	6, 0x0
	.amdhsa_kernel _ZN12_GLOBAL__N_127rocblas_gemm_batched_kernelI19rocblas_complex_numIdELi16ELi16ELi32ELi32ELi8ELi32ELi8ELi8ELi32ELc84ELc67EKS2_S3_S2_EEvlllT_PT11_llS6_llS4_PT12_llPT13_lli
		.amdhsa_group_segment_fixed_size 8192
		.amdhsa_private_segment_fixed_size 0
		.amdhsa_kernarg_size 156
		.amdhsa_user_sgpr_count 6
		.amdhsa_user_sgpr_private_segment_buffer 1
		.amdhsa_user_sgpr_dispatch_ptr 0
		.amdhsa_user_sgpr_queue_ptr 0
		.amdhsa_user_sgpr_kernarg_segment_ptr 1
		.amdhsa_user_sgpr_dispatch_id 0
		.amdhsa_user_sgpr_flat_scratch_init 0
		.amdhsa_user_sgpr_kernarg_preload_length 0
		.amdhsa_user_sgpr_kernarg_preload_offset 0
		.amdhsa_user_sgpr_private_segment_size 0
		.amdhsa_uses_dynamic_stack 0
		.amdhsa_system_sgpr_private_segment_wavefront_offset 0
		.amdhsa_system_sgpr_workgroup_id_x 1
		.amdhsa_system_sgpr_workgroup_id_y 1
		.amdhsa_system_sgpr_workgroup_id_z 1
		.amdhsa_system_sgpr_workgroup_info 0
		.amdhsa_system_vgpr_workitem_id 1
		.amdhsa_next_free_vgpr 56
		.amdhsa_next_free_sgpr 52
		.amdhsa_accum_offset 56
		.amdhsa_reserve_vcc 1
		.amdhsa_reserve_flat_scratch 0
		.amdhsa_float_round_mode_32 0
		.amdhsa_float_round_mode_16_64 0
		.amdhsa_float_denorm_mode_32 3
		.amdhsa_float_denorm_mode_16_64 3
		.amdhsa_dx10_clamp 1
		.amdhsa_ieee_mode 1
		.amdhsa_fp16_overflow 0
		.amdhsa_tg_split 0
		.amdhsa_exception_fp_ieee_invalid_op 0
		.amdhsa_exception_fp_denorm_src 0
		.amdhsa_exception_fp_ieee_div_zero 0
		.amdhsa_exception_fp_ieee_overflow 0
		.amdhsa_exception_fp_ieee_underflow 0
		.amdhsa_exception_fp_ieee_inexact 0
		.amdhsa_exception_int_div_zero 0
	.end_amdhsa_kernel
	.section	.text._ZN12_GLOBAL__N_127rocblas_gemm_batched_kernelI19rocblas_complex_numIdELi16ELi16ELi32ELi32ELi8ELi32ELi8ELi8ELi32ELc84ELc67EKS2_S3_S2_EEvlllT_PT11_llS6_llS4_PT12_llPT13_lli,"axG",@progbits,_ZN12_GLOBAL__N_127rocblas_gemm_batched_kernelI19rocblas_complex_numIdELi16ELi16ELi32ELi32ELi8ELi32ELi8ELi8ELi32ELc84ELc67EKS2_S3_S2_EEvlllT_PT11_llS6_llS4_PT12_llPT13_lli,comdat
.Lfunc_end135:
	.size	_ZN12_GLOBAL__N_127rocblas_gemm_batched_kernelI19rocblas_complex_numIdELi16ELi16ELi32ELi32ELi8ELi32ELi8ELi8ELi32ELc84ELc67EKS2_S3_S2_EEvlllT_PT11_llS6_llS4_PT12_llPT13_lli, .Lfunc_end135-_ZN12_GLOBAL__N_127rocblas_gemm_batched_kernelI19rocblas_complex_numIdELi16ELi16ELi32ELi32ELi8ELi32ELi8ELi8ELi32ELc84ELc67EKS2_S3_S2_EEvlllT_PT11_llS6_llS4_PT12_llPT13_lli
                                        ; -- End function
	.section	.AMDGPU.csdata,"",@progbits
; Kernel info:
; codeLenInByte = 3292
; NumSgprs: 56
; NumVgprs: 56
; NumAgprs: 0
; TotalNumVgprs: 56
; ScratchSize: 0
; MemoryBound: 0
; FloatMode: 240
; IeeeMode: 1
; LDSByteSize: 8192 bytes/workgroup (compile time only)
; SGPRBlocks: 6
; VGPRBlocks: 6
; NumSGPRsForWavesPerEU: 56
; NumVGPRsForWavesPerEU: 56
; AccumOffset: 56
; Occupancy: 8
; WaveLimiterHint : 1
; COMPUTE_PGM_RSRC2:SCRATCH_EN: 0
; COMPUTE_PGM_RSRC2:USER_SGPR: 6
; COMPUTE_PGM_RSRC2:TRAP_HANDLER: 0
; COMPUTE_PGM_RSRC2:TGID_X_EN: 1
; COMPUTE_PGM_RSRC2:TGID_Y_EN: 1
; COMPUTE_PGM_RSRC2:TGID_Z_EN: 1
; COMPUTE_PGM_RSRC2:TIDIG_COMP_CNT: 1
; COMPUTE_PGM_RSRC3_GFX90A:ACCUM_OFFSET: 13
; COMPUTE_PGM_RSRC3_GFX90A:TG_SPLIT: 0
	.section	.text._ZN12_GLOBAL__N_135rocblas_gemm_batched_general_kernelI19rocblas_complex_numIdELi16ELi16ELi32ELi32ELi8ELi32ELi8ELi8ELi32ELc78ELc78EKS2_S3_S2_EEvlllT_PT11_llS6_llS4_PT12_llPT13_lli,"axG",@progbits,_ZN12_GLOBAL__N_135rocblas_gemm_batched_general_kernelI19rocblas_complex_numIdELi16ELi16ELi32ELi32ELi8ELi32ELi8ELi8ELi32ELc78ELc78EKS2_S3_S2_EEvlllT_PT11_llS6_llS4_PT12_llPT13_lli,comdat
	.globl	_ZN12_GLOBAL__N_135rocblas_gemm_batched_general_kernelI19rocblas_complex_numIdELi16ELi16ELi32ELi32ELi8ELi32ELi8ELi8ELi32ELc78ELc78EKS2_S3_S2_EEvlllT_PT11_llS6_llS4_PT12_llPT13_lli ; -- Begin function _ZN12_GLOBAL__N_135rocblas_gemm_batched_general_kernelI19rocblas_complex_numIdELi16ELi16ELi32ELi32ELi8ELi32ELi8ELi8ELi32ELc78ELc78EKS2_S3_S2_EEvlllT_PT11_llS6_llS4_PT12_llPT13_lli
	.p2align	8
	.type	_ZN12_GLOBAL__N_135rocblas_gemm_batched_general_kernelI19rocblas_complex_numIdELi16ELi16ELi32ELi32ELi8ELi32ELi8ELi8ELi32ELc78ELc78EKS2_S3_S2_EEvlllT_PT11_llS6_llS4_PT12_llPT13_lli,@function
_ZN12_GLOBAL__N_135rocblas_gemm_batched_general_kernelI19rocblas_complex_numIdELi16ELi16ELi32ELi32ELi8ELi32ELi8ELi8ELi32ELc78ELc78EKS2_S3_S2_EEvlllT_PT11_llS6_llS4_PT12_llPT13_lli: ; @_ZN12_GLOBAL__N_135rocblas_gemm_batched_general_kernelI19rocblas_complex_numIdELi16ELi16ELi32ELi32ELi8ELi32ELi8ELi8ELi32ELc78ELc78EKS2_S3_S2_EEvlllT_PT11_llS6_llS4_PT12_llPT13_lli
; %bb.0:
	s_load_dwordx16 s[36:51], s[4:5], 0x0
	s_load_dwordx16 s[12:27], s[4:5], 0x40
	s_mov_b32 s0, s7
	s_ashr_i32 s1, s0, 31
	s_ashr_i32 s7, s6, 31
	s_lshl_b64 s[28:29], s[0:1], 5
	s_waitcnt lgkmcnt(0)
	v_cmp_lt_i64_e64 s[0:1], s[40:41], 1
	v_pk_mov_b32 v[26:27], 0, 0
	v_and_b32_e32 v7, 0x3ff, v0
	v_bfe_u32 v9, v0, 10, 10
	s_lshl_b64 s[10:11], s[6:7], 5
	s_mov_b64 s[30:31], 0
	s_and_b64 vcc, exec, s[0:1]
	v_pk_mov_b32 v[28:29], v[26:27], v[26:27] op_sel:[0,1]
	v_pk_mov_b32 v[22:23], v[26:27], v[26:27] op_sel:[0,1]
	;; [unrolled: 1-line block ×7, first 2 shown]
	s_cbranch_vccnz .LBB136_11
; %bb.1:
	v_lshl_add_u32 v1, v9, 4, v7
	v_lshrrev_b32_e32 v10, 3, v1
	v_lshrrev_b32_e32 v6, 5, v1
	v_mov_b32_e32 v3, s29
	v_add_co_u32_e32 v2, vcc, s28, v10
	v_and_b32_e32 v1, 31, v1
	v_and_b32_e32 v8, 7, v7
	v_addc_co_u32_e32 v3, vcc, 0, v3, vcc
	v_mov_b32_e32 v5, s11
	v_or_b32_e32 v4, s10, v1
	v_cmp_gt_i64_e32 vcc, s[36:37], v[4:5]
	v_lshlrev_b32_e32 v4, 4, v8
	v_lshl_or_b32 v5, v10, 7, v4
	v_add_u32_e32 v31, 0x1000, v5
	v_mov_b32_e32 v5, 0x1000
	v_cmp_gt_i64_e64 s[0:1], s[38:39], v[2:3]
	v_lshl_add_u32 v33, v9, 7, v5
	v_mul_lo_u32 v5, s15, v2
	v_mul_lo_u32 v10, s14, v3
	v_mad_u64_u32 v[2:3], s[2:3], s14, v2, 0
	s_mul_i32 s2, s17, s8
	s_mul_hi_u32 s3, s16, s8
	v_add3_u32 v3, v3, v10, v5
	s_add_i32 s3, s3, s2
	s_mul_i32 s2, s16, s8
	v_lshlrev_b64 v[2:3], 4, v[2:3]
	s_lshl_b64 s[2:3], s[2:3], 4
	v_mov_b32_e32 v5, s3
	v_add_co_u32_e64 v2, s[2:3], s2, v2
	v_addc_co_u32_e64 v3, s[2:3], v3, v5, s[2:3]
	v_add_co_u32_e64 v2, s[2:3], v2, v4
	v_addc_co_u32_e64 v3, s[2:3], 0, v3, s[2:3]
	v_mov_b32_e32 v4, s13
	v_add_co_u32_e64 v10, s[2:3], s12, v2
	v_addc_co_u32_e64 v11, s[2:3], v4, v3, s[2:3]
	v_mad_u64_u32 v[2:3], s[2:3], s48, v6, 0
	v_mov_b32_e32 v4, v3
	v_mad_u64_u32 v[4:5], s[2:3], s49, v6, v[4:5]
	s_mul_i32 s2, s51, s8
	s_mul_hi_u32 s3, s50, s8
	s_add_i32 s3, s3, s2
	s_mul_i32 s2, s50, s8
	s_lshl_b64 s[2:3], s[2:3], 4
	s_lshl_b64 s[6:7], s[6:7], 9
	v_mov_b32_e32 v3, v4
	s_add_u32 s2, s6, s2
	v_lshlrev_b64 v[2:3], 4, v[2:3]
	s_addc_u32 s3, s7, s3
	v_mov_b32_e32 v4, s3
	v_add_co_u32_e64 v2, s[2:3], s2, v2
	v_lshlrev_b32_e32 v1, 4, v1
	v_addc_co_u32_e64 v3, s[2:3], v4, v3, s[2:3]
	v_lshl_or_b32 v30, v6, 9, v1
	v_add_co_u32_e64 v1, s[2:3], v2, v1
	v_addc_co_u32_e64 v2, s[2:3], 0, v3, s[2:3]
	v_mov_b32_e32 v3, s47
	v_add_co_u32_e64 v12, s[2:3], s46, v1
	v_addc_co_u32_e64 v13, s[2:3], v3, v2, s[2:3]
	v_pk_mov_b32 v[14:15], 0, 0
	v_mov_b32_e32 v0, 0
	v_lshlrev_b32_e32 v32, 4, v7
	s_lshl_b64 s[2:3], s[48:49], 7
	s_xor_b64 s[6:7], vcc, -1
	s_xor_b64 s[0:1], s[0:1], -1
	v_pk_mov_b32 v[16:17], v[14:15], v[14:15] op_sel:[0,1]
	v_pk_mov_b32 v[20:21], v[14:15], v[14:15] op_sel:[0,1]
	;; [unrolled: 1-line block ×7, first 2 shown]
	s_branch .LBB136_3
.LBB136_2:                              ;   in Loop: Header=BB136_3 Depth=1
	s_or_b64 exec, exec, s[12:13]
	s_waitcnt lgkmcnt(0)
	s_barrier
	ds_read_b128 v[34:37], v32
	ds_read_b128 v[38:41], v33
	ds_read_b128 v[42:45], v33 offset:16
	ds_read_b128 v[46:49], v33 offset:32
	;; [unrolled: 1-line block ×4, first 2 shown]
	s_waitcnt lgkmcnt(4)
	v_mul_f64 v[54:55], v[40:41], v[36:37]
	v_fma_f64 v[54:55], v[38:39], v[34:35], -v[54:55]
	v_mul_f64 v[56:57], v[38:39], v[36:37]
	v_fmac_f64_e32 v[56:57], v[40:41], v[34:35]
	v_add_f64 v[54:55], v[26:27], v[54:55]
	s_waitcnt lgkmcnt(0)
	v_mul_f64 v[26:27], v[40:41], v[52:53]
	v_add_f64 v[56:57], v[28:29], v[56:57]
	v_fma_f64 v[58:59], v[38:39], v[50:51], -v[26:27]
	ds_read_b128 v[26:29], v33 offset:2048
	v_mul_f64 v[38:39], v[38:39], v[52:53]
	v_fmac_f64_e32 v[38:39], v[40:41], v[50:51]
	v_add_f64 v[40:41], v[22:23], v[58:59]
	v_add_f64 v[38:39], v[24:25], v[38:39]
	ds_read_b128 v[22:25], v33 offset:2064
	s_waitcnt lgkmcnt(1)
	v_mul_f64 v[58:59], v[28:29], v[36:37]
	v_fma_f64 v[58:59], v[26:27], v[34:35], -v[58:59]
	v_mul_f64 v[36:37], v[26:27], v[36:37]
	v_fmac_f64_e32 v[36:37], v[28:29], v[34:35]
	v_add_f64 v[34:35], v[18:19], v[58:59]
	v_mul_f64 v[18:19], v[28:29], v[52:53]
	v_add_f64 v[36:37], v[20:21], v[36:37]
	v_fma_f64 v[58:59], v[26:27], v[50:51], -v[18:19]
	v_mul_f64 v[26:27], v[26:27], v[52:53]
	ds_read_b128 v[18:21], v32 offset:512
	v_fmac_f64_e32 v[26:27], v[28:29], v[50:51]
	v_add_f64 v[28:29], v[16:17], v[58:59]
	v_add_f64 v[26:27], v[14:15], v[26:27]
	ds_read_b128 v[14:17], v32 offset:768
	s_waitcnt lgkmcnt(1)
	v_mul_f64 v[50:51], v[44:45], v[20:21]
	v_fma_f64 v[50:51], v[42:43], v[18:19], -v[50:51]
	v_add_f64 v[50:51], v[54:55], v[50:51]
	v_mul_f64 v[52:53], v[42:43], v[20:21]
	s_waitcnt lgkmcnt(0)
	v_mul_f64 v[54:55], v[44:45], v[16:17]
	v_fma_f64 v[54:55], v[42:43], v[14:15], -v[54:55]
	v_mul_f64 v[42:43], v[42:43], v[16:17]
	v_fmac_f64_e32 v[42:43], v[44:45], v[14:15]
	v_add_f64 v[38:39], v[38:39], v[42:43]
	v_mul_f64 v[42:43], v[24:25], v[20:21]
	v_mul_f64 v[20:21], v[22:23], v[20:21]
	v_fmac_f64_e32 v[52:53], v[44:45], v[18:19]
	v_fma_f64 v[42:43], v[22:23], v[18:19], -v[42:43]
	v_fmac_f64_e32 v[20:21], v[24:25], v[18:19]
	v_mul_f64 v[18:19], v[24:25], v[16:17]
	v_add_f64 v[44:45], v[36:37], v[20:21]
	v_fma_f64 v[20:21], v[22:23], v[14:15], -v[18:19]
	v_mul_f64 v[22:23], v[22:23], v[16:17]
	ds_read_b128 v[16:19], v32 offset:1024
	v_fmac_f64_e32 v[22:23], v[24:25], v[14:15]
	v_add_f64 v[40:41], v[40:41], v[54:55]
	v_add_f64 v[28:29], v[28:29], v[20:21]
	;; [unrolled: 1-line block ×3, first 2 shown]
	ds_read_b128 v[20:23], v32 offset:1280
	s_waitcnt lgkmcnt(1)
	v_mul_f64 v[24:25], v[46:47], v[18:19]
	v_add_f64 v[52:53], v[56:57], v[52:53]
	v_fmac_f64_e32 v[24:25], v[48:49], v[16:17]
	v_add_f64 v[52:53], v[52:53], v[24:25]
	ds_read_b128 v[24:27], v33 offset:2080
	v_mul_f64 v[14:15], v[48:49], v[18:19]
	v_fma_f64 v[14:15], v[46:47], v[16:17], -v[14:15]
	v_add_f64 v[42:43], v[34:35], v[42:43]
	v_add_f64 v[50:51], v[50:51], v[14:15]
	s_waitcnt lgkmcnt(1)
	v_mul_f64 v[14:15], v[48:49], v[22:23]
	v_mul_f64 v[34:35], v[46:47], v[22:23]
	v_fma_f64 v[14:15], v[46:47], v[20:21], -v[14:15]
	v_fmac_f64_e32 v[34:35], v[48:49], v[20:21]
	v_add_f64 v[40:41], v[40:41], v[14:15]
	v_add_f64 v[38:39], v[38:39], v[34:35]
	ds_read_b128 v[34:37], v33 offset:2096
	s_waitcnt lgkmcnt(1)
	v_mul_f64 v[14:15], v[26:27], v[18:19]
	v_fma_f64 v[14:15], v[24:25], v[16:17], -v[14:15]
	v_mul_f64 v[18:19], v[24:25], v[18:19]
	v_fmac_f64_e32 v[18:19], v[26:27], v[16:17]
	v_add_f64 v[42:43], v[42:43], v[14:15]
	v_mul_f64 v[14:15], v[26:27], v[22:23]
	v_add_f64 v[44:45], v[44:45], v[18:19]
	v_fma_f64 v[18:19], v[24:25], v[20:21], -v[14:15]
	v_mul_f64 v[22:23], v[24:25], v[22:23]
	ds_read_b128 v[14:17], v32 offset:1536
	v_fmac_f64_e32 v[22:23], v[26:27], v[20:21]
	v_add_f64 v[24:25], v[28:29], v[18:19]
	ds_read_b128 v[18:21], v32 offset:1792
	v_add_f64 v[22:23], v[54:55], v[22:23]
	s_waitcnt lgkmcnt(1)
	v_mul_f64 v[26:27], v[4:5], v[16:17]
	v_fma_f64 v[26:27], v[2:3], v[14:15], -v[26:27]
	v_mul_f64 v[28:29], v[2:3], v[16:17]
	s_waitcnt lgkmcnt(0)
	v_mul_f64 v[46:47], v[4:5], v[20:21]
	v_fma_f64 v[46:47], v[2:3], v[18:19], -v[46:47]
	v_mul_f64 v[2:3], v[2:3], v[20:21]
	v_fmac_f64_e32 v[2:3], v[4:5], v[18:19]
	v_add_f64 v[38:39], v[38:39], v[2:3]
	v_mul_f64 v[2:3], v[36:37], v[16:17]
	v_fmac_f64_e32 v[28:29], v[4:5], v[14:15]
	v_fma_f64 v[2:3], v[34:35], v[14:15], -v[2:3]
	v_mul_f64 v[4:5], v[34:35], v[16:17]
	v_fmac_f64_e32 v[4:5], v[36:37], v[14:15]
	v_add_f64 v[42:43], v[42:43], v[2:3]
	v_mul_f64 v[2:3], v[36:37], v[20:21]
	v_add_f64 v[40:41], v[40:41], v[46:47]
	v_add_f64 v[44:45], v[44:45], v[4:5]
	v_fma_f64 v[46:47], v[34:35], v[18:19], -v[2:3]
	ds_read_b128 v[2:5], v33 offset:64
	ds_read_b128 v[14:17], v32 offset:2048
	v_mul_f64 v[20:21], v[34:35], v[20:21]
	v_fmac_f64_e32 v[20:21], v[36:37], v[18:19]
	v_add_f64 v[34:35], v[24:25], v[46:47]
	v_add_f64 v[36:37], v[22:23], v[20:21]
	ds_read_b128 v[18:21], v32 offset:2304
	ds_read_b128 v[22:25], v33 offset:80
	s_waitcnt lgkmcnt(2)
	v_mul_f64 v[46:47], v[4:5], v[16:17]
	v_add_f64 v[26:27], v[50:51], v[26:27]
	v_fma_f64 v[46:47], v[2:3], v[14:15], -v[46:47]
	v_mul_f64 v[48:49], v[2:3], v[16:17]
	v_add_f64 v[28:29], v[52:53], v[28:29]
	v_fmac_f64_e32 v[48:49], v[4:5], v[14:15]
	v_add_f64 v[46:47], v[26:27], v[46:47]
	s_waitcnt lgkmcnt(1)
	v_mul_f64 v[26:27], v[4:5], v[20:21]
	v_add_f64 v[48:49], v[28:29], v[48:49]
	v_fma_f64 v[50:51], v[2:3], v[18:19], -v[26:27]
	ds_read_b128 v[26:29], v33 offset:2112
	v_mul_f64 v[2:3], v[2:3], v[20:21]
	v_fmac_f64_e32 v[2:3], v[4:5], v[18:19]
	v_add_f64 v[40:41], v[40:41], v[50:51]
	v_add_f64 v[38:39], v[38:39], v[2:3]
	ds_read_b128 v[2:5], v33 offset:2128
	s_waitcnt lgkmcnt(1)
	v_mul_f64 v[50:51], v[28:29], v[16:17]
	v_mul_f64 v[16:17], v[26:27], v[16:17]
	v_fma_f64 v[50:51], v[26:27], v[14:15], -v[50:51]
	v_fmac_f64_e32 v[16:17], v[28:29], v[14:15]
	v_mul_f64 v[14:15], v[28:29], v[20:21]
	v_add_f64 v[42:43], v[42:43], v[50:51]
	v_add_f64 v[44:45], v[44:45], v[16:17]
	v_fma_f64 v[50:51], v[26:27], v[18:19], -v[14:15]
	v_mul_f64 v[20:21], v[26:27], v[20:21]
	ds_read_b128 v[14:17], v32 offset:2560
	v_fmac_f64_e32 v[20:21], v[28:29], v[18:19]
	v_add_f64 v[28:29], v[36:37], v[20:21]
	ds_read_b128 v[18:21], v32 offset:2816
	v_add_f64 v[26:27], v[34:35], v[50:51]
	s_waitcnt lgkmcnt(1)
	v_mul_f64 v[34:35], v[24:25], v[16:17]
	v_fma_f64 v[34:35], v[22:23], v[14:15], -v[34:35]
	v_add_f64 v[34:35], v[46:47], v[34:35]
	s_waitcnt lgkmcnt(0)
	v_mul_f64 v[46:47], v[24:25], v[20:21]
	v_mul_f64 v[36:37], v[22:23], v[16:17]
	v_fma_f64 v[46:47], v[22:23], v[18:19], -v[46:47]
	v_mul_f64 v[22:23], v[22:23], v[20:21]
	v_fmac_f64_e32 v[22:23], v[24:25], v[18:19]
	v_add_f64 v[38:39], v[38:39], v[22:23]
	v_mul_f64 v[22:23], v[4:5], v[16:17]
	v_mul_f64 v[16:17], v[2:3], v[16:17]
	v_fmac_f64_e32 v[36:37], v[24:25], v[14:15]
	v_fma_f64 v[22:23], v[2:3], v[14:15], -v[22:23]
	v_fmac_f64_e32 v[16:17], v[4:5], v[14:15]
	v_mul_f64 v[14:15], v[4:5], v[20:21]
	v_mul_f64 v[20:21], v[2:3], v[20:21]
	v_add_f64 v[42:43], v[42:43], v[22:23]
	v_add_f64 v[44:45], v[44:45], v[16:17]
	v_fma_f64 v[22:23], v[2:3], v[18:19], -v[14:15]
	v_fmac_f64_e32 v[20:21], v[4:5], v[18:19]
	ds_read_b128 v[2:5], v33 offset:96
	ds_read_b128 v[14:17], v32 offset:3072
	v_add_f64 v[36:37], v[48:49], v[36:37]
	v_add_f64 v[40:41], v[40:41], v[46:47]
	;; [unrolled: 1-line block ×4, first 2 shown]
	ds_read_b128 v[18:21], v32 offset:3328
	ds_read_b128 v[22:25], v33 offset:112
	s_waitcnt lgkmcnt(2)
	v_mul_f64 v[26:27], v[4:5], v[16:17]
	v_fma_f64 v[26:27], v[2:3], v[14:15], -v[26:27]
	v_mul_f64 v[28:29], v[2:3], v[16:17]
	v_fmac_f64_e32 v[28:29], v[4:5], v[14:15]
	v_add_f64 v[50:51], v[34:35], v[26:27]
	s_waitcnt lgkmcnt(1)
	v_mul_f64 v[26:27], v[4:5], v[20:21]
	v_add_f64 v[52:53], v[36:37], v[28:29]
	v_fma_f64 v[34:35], v[2:3], v[18:19], -v[26:27]
	ds_read_b128 v[26:29], v33 offset:2144
	v_mul_f64 v[2:3], v[2:3], v[20:21]
	v_fmac_f64_e32 v[2:3], v[4:5], v[18:19]
	v_add_f64 v[40:41], v[40:41], v[34:35]
	v_add_f64 v[38:39], v[38:39], v[2:3]
	ds_read_b128 v[2:5], v33 offset:2160
	s_waitcnt lgkmcnt(1)
	v_mul_f64 v[34:35], v[28:29], v[16:17]
	v_mul_f64 v[16:17], v[26:27], v[16:17]
	v_fma_f64 v[34:35], v[26:27], v[14:15], -v[34:35]
	v_fmac_f64_e32 v[16:17], v[28:29], v[14:15]
	v_mul_f64 v[14:15], v[28:29], v[20:21]
	v_add_f64 v[42:43], v[42:43], v[34:35]
	v_add_f64 v[44:45], v[44:45], v[16:17]
	v_fma_f64 v[34:35], v[26:27], v[18:19], -v[14:15]
	ds_read_b128 v[14:17], v32 offset:3584
	v_add_f64 v[46:47], v[46:47], v[34:35]
	ds_read_b128 v[34:37], v32 offset:3840
	v_mul_f64 v[20:21], v[26:27], v[20:21]
	v_fmac_f64_e32 v[20:21], v[28:29], v[18:19]
	s_waitcnt lgkmcnt(1)
	v_mul_f64 v[18:19], v[24:25], v[16:17]
	v_fma_f64 v[18:19], v[22:23], v[14:15], -v[18:19]
	v_add_f64 v[48:49], v[48:49], v[20:21]
	v_mul_f64 v[20:21], v[22:23], v[16:17]
	v_add_f64 v[26:27], v[50:51], v[18:19]
	s_waitcnt lgkmcnt(0)
	v_mul_f64 v[18:19], v[24:25], v[36:37]
	v_fmac_f64_e32 v[20:21], v[24:25], v[14:15]
	v_fma_f64 v[18:19], v[22:23], v[34:35], -v[18:19]
	v_add_f64 v[28:29], v[52:53], v[20:21]
	v_mul_f64 v[20:21], v[22:23], v[36:37]
	v_add_f64 v[22:23], v[40:41], v[18:19]
	v_mul_f64 v[18:19], v[4:5], v[16:17]
	v_mul_f64 v[16:17], v[2:3], v[16:17]
	v_fma_f64 v[18:19], v[2:3], v[14:15], -v[18:19]
	v_fmac_f64_e32 v[16:17], v[4:5], v[14:15]
	v_mul_f64 v[14:15], v[4:5], v[36:37]
	v_add_co_u32_e32 v10, vcc, 0x80, v10
	v_fma_f64 v[14:15], v[2:3], v[34:35], -v[14:15]
	v_mul_f64 v[2:3], v[2:3], v[36:37]
	v_addc_co_u32_e32 v11, vcc, 0, v11, vcc
	v_fmac_f64_e32 v[20:21], v[24:25], v[34:35]
	v_fmac_f64_e32 v[2:3], v[4:5], v[34:35]
	s_add_u32 s30, s30, 8
	v_mov_b32_e32 v1, s3
	v_add_co_u32_e32 v12, vcc, s2, v12
	v_add_f64 v[24:25], v[38:39], v[20:21]
	v_add_f64 v[20:21], v[44:45], v[16:17]
	;; [unrolled: 1-line block ×4, first 2 shown]
	s_addc_u32 s31, s31, 0
	v_addc_co_u32_e32 v13, vcc, v13, v1, vcc
	v_pk_mov_b32 v[2:3], s[40:41], s[40:41] op_sel:[0,1]
	v_cmp_lt_i64_e32 vcc, s[30:31], v[2:3]
	v_add_f64 v[18:19], v[42:43], v[18:19]
	s_barrier
	s_cbranch_vccz .LBB136_11
.LBB136_3:                              ; =>This Inner Loop Header: Depth=1
	v_mov_b32_e32 v1, s31
	v_add_co_u32_e32 v2, vcc, s30, v6
	v_addc_co_u32_e32 v3, vcc, 0, v1, vcc
	v_cmp_le_i64_e32 vcc, s[40:41], v[2:3]
	s_or_b64 s[12:13], s[6:7], vcc
	s_and_saveexec_b64 s[14:15], s[12:13]
	s_xor_b64 s[12:13], exec, s[14:15]
	s_cbranch_execz .LBB136_5
; %bb.4:                                ;   in Loop: Header=BB136_3 Depth=1
	v_mov_b32_e32 v1, v0
	v_mov_b32_e32 v2, v0
	;; [unrolled: 1-line block ×3, first 2 shown]
	ds_write_b128 v30, v[0:3]
.LBB136_5:                              ;   in Loop: Header=BB136_3 Depth=1
	s_andn2_saveexec_b64 s[12:13], s[12:13]
	s_cbranch_execz .LBB136_7
; %bb.6:                                ;   in Loop: Header=BB136_3 Depth=1
	global_load_dwordx4 v[2:5], v[12:13], off
	s_waitcnt vmcnt(0)
	ds_write2_b64 v30, v[2:3], v[4:5] offset1:1
.LBB136_7:                              ;   in Loop: Header=BB136_3 Depth=1
	s_or_b64 exec, exec, s[12:13]
	v_mov_b32_e32 v1, s31
	v_add_co_u32_e32 v2, vcc, s30, v8
	v_addc_co_u32_e32 v3, vcc, 0, v1, vcc
	v_cmp_le_i64_e32 vcc, s[40:41], v[2:3]
	s_or_b64 s[12:13], vcc, s[0:1]
	s_and_saveexec_b64 s[14:15], s[12:13]
	s_xor_b64 s[12:13], exec, s[14:15]
	s_cbranch_execz .LBB136_9
; %bb.8:                                ;   in Loop: Header=BB136_3 Depth=1
	v_mov_b32_e32 v1, v0
	v_mov_b32_e32 v2, v0
	;; [unrolled: 1-line block ×3, first 2 shown]
	ds_write_b128 v31, v[0:3]
.LBB136_9:                              ;   in Loop: Header=BB136_3 Depth=1
	s_andn2_saveexec_b64 s[12:13], s[12:13]
	s_cbranch_execz .LBB136_2
; %bb.10:                               ;   in Loop: Header=BB136_3 Depth=1
	global_load_dwordx4 v[2:5], v[10:11], off
	s_waitcnt vmcnt(0)
	ds_write2_b64 v31, v[2:3], v[4:5] offset1:1
	s_branch .LBB136_2
.LBB136_11:
	s_load_dwordx2 s[0:1], s[4:5], 0x90
	s_load_dwordx4 s[12:15], s[4:5], 0x80
	v_mov_b32_e32 v1, s29
	v_add_co_u32_e32 v0, vcc, s28, v9
	s_waitcnt lgkmcnt(0)
	s_mul_i32 s1, s8, s1
	s_mul_hi_u32 s2, s8, s0
	s_mul_i32 s0, s8, s0
	s_add_i32 s1, s2, s1
	s_lshl_b64 s[0:1], s[0:1], 4
	s_add_u32 s9, s12, s0
	s_addc_u32 s16, s13, s1
	v_cmp_neq_f64_e64 s[0:1], s[18:19], 0
	v_cmp_neq_f64_e64 s[2:3], s[20:21], 0
	v_addc_co_u32_e32 v1, vcc, 0, v1, vcc
	s_or_b64 s[4:5], s[0:1], s[2:3]
	v_cmp_gt_i64_e64 s[0:1], s[38:39], v[0:1]
	s_mov_b64 s[2:3], -1
	s_and_b64 vcc, exec, s[4:5]
	s_cbranch_vccnz .LBB136_23
; %bb.12:
	s_and_saveexec_b64 s[6:7], s[0:1]
	s_cbranch_execz .LBB136_22
; %bb.13:
	v_mov_b32_e32 v2, s11
	v_add_co_u32_e32 v4, vcc, s10, v7
	v_addc_co_u32_e32 v5, vcc, 0, v2, vcc
	v_mul_lo_u32 v6, v1, s14
	v_mul_lo_u32 v8, v0, s15
	v_mad_u64_u32 v[2:3], s[2:3], v0, s14, 0
	v_add3_u32 v3, v3, v8, v6
	v_lshlrev_b64 v[2:3], 4, v[2:3]
	v_mov_b32_e32 v8, s16
	v_add_co_u32_e64 v6, s[2:3], s9, v2
	v_cmp_gt_i64_e32 vcc, s[36:37], v[4:5]
	v_addc_co_u32_e64 v8, s[2:3], v8, v3, s[2:3]
	v_lshlrev_b64 v[2:3], 4, v[4:5]
	s_and_saveexec_b64 s[4:5], vcc
	s_cbranch_execz .LBB136_15
; %bb.14:
	v_mul_f64 v[10:11], s[44:45], v[28:29]
	v_mul_f64 v[12:13], s[42:43], v[28:29]
	v_add_co_u32_e64 v30, s[2:3], v6, v2
	v_fma_f64 v[10:11], s[42:43], v[26:27], -v[10:11]
	v_fmac_f64_e32 v[12:13], s[44:45], v[26:27]
	v_addc_co_u32_e64 v31, s[2:3], v8, v3, s[2:3]
	global_store_dwordx4 v[30:31], v[10:13], off
.LBB136_15:
	s_or_b64 exec, exec, s[4:5]
	v_add_co_u32_e64 v4, s[2:3], 16, v4
	v_addc_co_u32_e64 v5, s[2:3], 0, v5, s[2:3]
	v_cmp_gt_i64_e64 s[2:3], s[36:37], v[4:5]
	s_and_saveexec_b64 s[12:13], s[2:3]
	s_cbranch_execz .LBB136_17
; %bb.16:
	v_mul_f64 v[4:5], s[44:45], v[24:25]
	v_fma_f64 v[10:11], s[42:43], v[22:23], -v[4:5]
	v_mul_f64 v[12:13], s[42:43], v[24:25]
	v_add_co_u32_e64 v4, s[4:5], v6, v2
	v_fmac_f64_e32 v[12:13], s[44:45], v[22:23]
	v_addc_co_u32_e64 v5, s[4:5], v8, v3, s[4:5]
	global_store_dwordx4 v[4:5], v[10:13], off offset:256
.LBB136_17:
	s_or_b64 exec, exec, s[12:13]
	v_add_co_u32_e64 v4, s[4:5], 16, v0
	v_addc_co_u32_e64 v5, s[4:5], 0, v1, s[4:5]
	v_cmp_gt_i64_e64 s[4:5], s[38:39], v[4:5]
	s_and_b64 exec, exec, s[4:5]
	s_cbranch_execz .LBB136_22
; %bb.18:
	s_lshl_b64 s[4:5], s[14:15], 8
	v_mov_b32_e32 v4, s5
	v_add_co_u32_e64 v5, s[4:5], s4, v6
	v_addc_co_u32_e64 v4, s[4:5], v8, v4, s[4:5]
	v_add_co_u32_e64 v2, s[4:5], v5, v2
	v_addc_co_u32_e64 v3, s[4:5], v4, v3, s[4:5]
	s_and_saveexec_b64 s[4:5], vcc
	s_cbranch_execz .LBB136_20
; %bb.19:
	v_mul_f64 v[4:5], s[44:45], v[20:21]
	v_mul_f64 v[10:11], s[42:43], v[20:21]
	v_fma_f64 v[8:9], s[42:43], v[18:19], -v[4:5]
	v_fmac_f64_e32 v[10:11], s[44:45], v[18:19]
	global_store_dwordx4 v[2:3], v[8:11], off
.LBB136_20:
	s_or_b64 exec, exec, s[4:5]
	s_and_b64 exec, exec, s[2:3]
	s_cbranch_execz .LBB136_22
; %bb.21:
	v_mul_f64 v[4:5], s[44:45], v[14:15]
	v_mul_f64 v[10:11], s[42:43], v[14:15]
	v_fma_f64 v[8:9], s[42:43], v[16:17], -v[4:5]
	v_fmac_f64_e32 v[10:11], s[44:45], v[16:17]
	global_store_dwordx4 v[2:3], v[8:11], off offset:256
.LBB136_22:
	s_or_b64 exec, exec, s[6:7]
	s_mov_b64 s[2:3], 0
.LBB136_23:
	s_andn2_b64 vcc, exec, s[2:3]
	s_cbranch_vccnz .LBB136_34
; %bb.24:
	s_and_saveexec_b64 s[2:3], s[0:1]
	s_cbranch_execz .LBB136_34
; %bb.25:
	s_mul_i32 s0, s8, s27
	s_mul_hi_u32 s1, s8, s26
	s_add_i32 s1, s1, s0
	s_mul_i32 s0, s8, s26
	s_lshl_b64 s[0:1], s[0:1], 4
	s_add_u32 s2, s22, s0
	v_mov_b32_e32 v2, s11
	v_add_co_u32_e32 v4, vcc, s10, v7
	s_addc_u32 s3, s23, s1
	v_addc_co_u32_e32 v5, vcc, 0, v2, vcc
	v_mul_lo_u32 v6, v1, s24
	v_mul_lo_u32 v7, v0, s25
	v_mad_u64_u32 v[2:3], s[0:1], v0, s24, 0
	v_add3_u32 v3, v3, v7, v6
	v_mul_lo_u32 v6, v1, s14
	v_mul_lo_u32 v7, v0, s15
	v_mad_u64_u32 v[8:9], s[0:1], v0, s14, 0
	v_lshlrev_b64 v[2:3], 4, v[2:3]
	v_add3_u32 v9, v9, v7, v6
	v_mov_b32_e32 v7, s3
	v_add_co_u32_e64 v6, s[0:1], s2, v2
	v_addc_co_u32_e64 v7, s[0:1], v7, v3, s[0:1]
	v_lshlrev_b64 v[2:3], 4, v[8:9]
	v_mov_b32_e32 v9, s16
	v_add_co_u32_e64 v8, s[0:1], s9, v2
	v_cmp_gt_i64_e32 vcc, s[36:37], v[4:5]
	v_addc_co_u32_e64 v9, s[0:1], v9, v3, s[0:1]
	v_lshlrev_b64 v[2:3], 4, v[4:5]
	s_and_saveexec_b64 s[2:3], vcc
	s_cbranch_execz .LBB136_27
; %bb.26:
	v_add_co_u32_e64 v10, s[0:1], v6, v2
	v_addc_co_u32_e64 v11, s[0:1], v7, v3, s[0:1]
	global_load_dwordx4 v[10:13], v[10:11], off
	v_mul_f64 v[30:31], s[44:45], v[28:29]
	v_mul_f64 v[28:29], s[42:43], v[28:29]
	v_fma_f64 v[30:31], s[42:43], v[26:27], -v[30:31]
	v_fmac_f64_e32 v[28:29], s[44:45], v[26:27]
	s_waitcnt vmcnt(0)
	v_mul_f64 v[26:27], s[20:21], v[12:13]
	v_mul_f64 v[12:13], s[18:19], v[12:13]
	v_fma_f64 v[26:27], s[18:19], v[10:11], -v[26:27]
	v_fmac_f64_e32 v[12:13], s[20:21], v[10:11]
	v_add_f64 v[10:11], v[30:31], v[26:27]
	v_add_co_u32_e64 v26, s[0:1], v8, v2
	v_add_f64 v[12:13], v[28:29], v[12:13]
	v_addc_co_u32_e64 v27, s[0:1], v9, v3, s[0:1]
	global_store_dwordx4 v[26:27], v[10:13], off
.LBB136_27:
	s_or_b64 exec, exec, s[2:3]
	v_add_co_u32_e64 v4, s[0:1], 16, v4
	v_addc_co_u32_e64 v5, s[0:1], 0, v5, s[0:1]
	v_cmp_gt_i64_e64 s[0:1], s[36:37], v[4:5]
	s_and_saveexec_b64 s[4:5], s[0:1]
	s_cbranch_execz .LBB136_29
; %bb.28:
	v_add_co_u32_e64 v4, s[2:3], v6, v2
	v_addc_co_u32_e64 v5, s[2:3], v7, v3, s[2:3]
	global_load_dwordx4 v[10:13], v[4:5], off offset:256
	v_mul_f64 v[4:5], s[44:45], v[24:25]
	v_mul_f64 v[24:25], s[42:43], v[24:25]
	v_fma_f64 v[4:5], s[42:43], v[22:23], -v[4:5]
	v_fmac_f64_e32 v[24:25], s[44:45], v[22:23]
	s_waitcnt vmcnt(0)
	v_mul_f64 v[22:23], s[20:21], v[12:13]
	v_mul_f64 v[12:13], s[18:19], v[12:13]
	v_fma_f64 v[22:23], s[18:19], v[10:11], -v[22:23]
	v_fmac_f64_e32 v[12:13], s[20:21], v[10:11]
	v_add_f64 v[10:11], v[4:5], v[22:23]
	v_add_co_u32_e64 v4, s[2:3], v8, v2
	v_add_f64 v[12:13], v[24:25], v[12:13]
	v_addc_co_u32_e64 v5, s[2:3], v9, v3, s[2:3]
	global_store_dwordx4 v[4:5], v[10:13], off offset:256
.LBB136_29:
	s_or_b64 exec, exec, s[4:5]
	v_add_co_u32_e64 v0, s[2:3], 16, v0
	v_addc_co_u32_e64 v1, s[2:3], 0, v1, s[2:3]
	v_cmp_gt_i64_e64 s[2:3], s[38:39], v[0:1]
	s_and_b64 exec, exec, s[2:3]
	s_cbranch_execz .LBB136_34
; %bb.30:
	s_lshl_b64 s[2:3], s[24:25], 8
	v_mov_b32_e32 v0, s3
	v_add_co_u32_e64 v1, s[2:3], s2, v6
	v_addc_co_u32_e64 v0, s[2:3], v7, v0, s[2:3]
	s_lshl_b64 s[2:3], s[14:15], 8
	v_mov_b32_e32 v4, s3
	v_add_co_u32_e64 v6, s[2:3], s2, v8
	v_addc_co_u32_e64 v7, s[2:3], v9, v4, s[2:3]
	v_add_co_u32_e64 v4, s[2:3], v1, v2
	v_addc_co_u32_e64 v5, s[2:3], v0, v3, s[2:3]
	;; [unrolled: 2-line block ×3, first 2 shown]
	s_and_saveexec_b64 s[2:3], vcc
	s_cbranch_execz .LBB136_32
; %bb.31:
	global_load_dwordx4 v[6:9], v[4:5], off
	v_mul_f64 v[2:3], s[44:45], v[20:21]
	v_mul_f64 v[10:11], s[42:43], v[20:21]
	v_fma_f64 v[2:3], s[42:43], v[18:19], -v[2:3]
	v_fmac_f64_e32 v[10:11], s[44:45], v[18:19]
	s_waitcnt vmcnt(0)
	v_mul_f64 v[12:13], s[20:21], v[8:9]
	v_mul_f64 v[8:9], s[18:19], v[8:9]
	v_fma_f64 v[12:13], s[18:19], v[6:7], -v[12:13]
	v_fmac_f64_e32 v[8:9], s[20:21], v[6:7]
	v_add_f64 v[6:7], v[2:3], v[12:13]
	v_add_f64 v[8:9], v[10:11], v[8:9]
	global_store_dwordx4 v[0:1], v[6:9], off
.LBB136_32:
	s_or_b64 exec, exec, s[2:3]
	s_and_b64 exec, exec, s[0:1]
	s_cbranch_execz .LBB136_34
; %bb.33:
	global_load_dwordx4 v[2:5], v[4:5], off offset:256
	v_mul_f64 v[6:7], s[44:45], v[14:15]
	v_mul_f64 v[8:9], s[42:43], v[14:15]
	v_fma_f64 v[6:7], s[42:43], v[16:17], -v[6:7]
	v_fmac_f64_e32 v[8:9], s[44:45], v[16:17]
	s_waitcnt vmcnt(0)
	v_mul_f64 v[10:11], s[20:21], v[4:5]
	v_mul_f64 v[4:5], s[18:19], v[4:5]
	v_fma_f64 v[10:11], s[18:19], v[2:3], -v[10:11]
	v_fmac_f64_e32 v[4:5], s[20:21], v[2:3]
	v_add_f64 v[2:3], v[6:7], v[10:11]
	v_add_f64 v[4:5], v[8:9], v[4:5]
	global_store_dwordx4 v[0:1], v[2:5], off offset:256
.LBB136_34:
	s_endpgm
	.section	.rodata,"a",@progbits
	.p2align	6, 0x0
	.amdhsa_kernel _ZN12_GLOBAL__N_135rocblas_gemm_batched_general_kernelI19rocblas_complex_numIdELi16ELi16ELi32ELi32ELi8ELi32ELi8ELi8ELi32ELc78ELc78EKS2_S3_S2_EEvlllT_PT11_llS6_llS4_PT12_llPT13_lli
		.amdhsa_group_segment_fixed_size 8192
		.amdhsa_private_segment_fixed_size 0
		.amdhsa_kernarg_size 156
		.amdhsa_user_sgpr_count 6
		.amdhsa_user_sgpr_private_segment_buffer 1
		.amdhsa_user_sgpr_dispatch_ptr 0
		.amdhsa_user_sgpr_queue_ptr 0
		.amdhsa_user_sgpr_kernarg_segment_ptr 1
		.amdhsa_user_sgpr_dispatch_id 0
		.amdhsa_user_sgpr_flat_scratch_init 0
		.amdhsa_user_sgpr_kernarg_preload_length 0
		.amdhsa_user_sgpr_kernarg_preload_offset 0
		.amdhsa_user_sgpr_private_segment_size 0
		.amdhsa_uses_dynamic_stack 0
		.amdhsa_system_sgpr_private_segment_wavefront_offset 0
		.amdhsa_system_sgpr_workgroup_id_x 1
		.amdhsa_system_sgpr_workgroup_id_y 1
		.amdhsa_system_sgpr_workgroup_id_z 1
		.amdhsa_system_sgpr_workgroup_info 0
		.amdhsa_system_vgpr_workitem_id 1
		.amdhsa_next_free_vgpr 60
		.amdhsa_next_free_sgpr 52
		.amdhsa_accum_offset 60
		.amdhsa_reserve_vcc 1
		.amdhsa_reserve_flat_scratch 0
		.amdhsa_float_round_mode_32 0
		.amdhsa_float_round_mode_16_64 0
		.amdhsa_float_denorm_mode_32 3
		.amdhsa_float_denorm_mode_16_64 3
		.amdhsa_dx10_clamp 1
		.amdhsa_ieee_mode 1
		.amdhsa_fp16_overflow 0
		.amdhsa_tg_split 0
		.amdhsa_exception_fp_ieee_invalid_op 0
		.amdhsa_exception_fp_denorm_src 0
		.amdhsa_exception_fp_ieee_div_zero 0
		.amdhsa_exception_fp_ieee_overflow 0
		.amdhsa_exception_fp_ieee_underflow 0
		.amdhsa_exception_fp_ieee_inexact 0
		.amdhsa_exception_int_div_zero 0
	.end_amdhsa_kernel
	.section	.text._ZN12_GLOBAL__N_135rocblas_gemm_batched_general_kernelI19rocblas_complex_numIdELi16ELi16ELi32ELi32ELi8ELi32ELi8ELi8ELi32ELc78ELc78EKS2_S3_S2_EEvlllT_PT11_llS6_llS4_PT12_llPT13_lli,"axG",@progbits,_ZN12_GLOBAL__N_135rocblas_gemm_batched_general_kernelI19rocblas_complex_numIdELi16ELi16ELi32ELi32ELi8ELi32ELi8ELi8ELi32ELc78ELc78EKS2_S3_S2_EEvlllT_PT11_llS6_llS4_PT12_llPT13_lli,comdat
.Lfunc_end136:
	.size	_ZN12_GLOBAL__N_135rocblas_gemm_batched_general_kernelI19rocblas_complex_numIdELi16ELi16ELi32ELi32ELi8ELi32ELi8ELi8ELi32ELc78ELc78EKS2_S3_S2_EEvlllT_PT11_llS6_llS4_PT12_llPT13_lli, .Lfunc_end136-_ZN12_GLOBAL__N_135rocblas_gemm_batched_general_kernelI19rocblas_complex_numIdELi16ELi16ELi32ELi32ELi8ELi32ELi8ELi8ELi32ELc78ELc78EKS2_S3_S2_EEvlllT_PT11_llS6_llS4_PT12_llPT13_lli
                                        ; -- End function
	.section	.AMDGPU.csdata,"",@progbits
; Kernel info:
; codeLenInByte = 3864
; NumSgprs: 56
; NumVgprs: 60
; NumAgprs: 0
; TotalNumVgprs: 60
; ScratchSize: 0
; MemoryBound: 0
; FloatMode: 240
; IeeeMode: 1
; LDSByteSize: 8192 bytes/workgroup (compile time only)
; SGPRBlocks: 6
; VGPRBlocks: 7
; NumSGPRsForWavesPerEU: 56
; NumVGPRsForWavesPerEU: 60
; AccumOffset: 60
; Occupancy: 8
; WaveLimiterHint : 0
; COMPUTE_PGM_RSRC2:SCRATCH_EN: 0
; COMPUTE_PGM_RSRC2:USER_SGPR: 6
; COMPUTE_PGM_RSRC2:TRAP_HANDLER: 0
; COMPUTE_PGM_RSRC2:TGID_X_EN: 1
; COMPUTE_PGM_RSRC2:TGID_Y_EN: 1
; COMPUTE_PGM_RSRC2:TGID_Z_EN: 1
; COMPUTE_PGM_RSRC2:TIDIG_COMP_CNT: 1
; COMPUTE_PGM_RSRC3_GFX90A:ACCUM_OFFSET: 14
; COMPUTE_PGM_RSRC3_GFX90A:TG_SPLIT: 0
	.section	.text._ZN12_GLOBAL__N_135rocblas_gemm_batched_general_kernelI19rocblas_complex_numIdELi16ELi16ELi32ELi32ELi8ELi32ELi8ELi8ELi32ELc84ELc78EKS2_S3_S2_EEvlllT_PT11_llS6_llS4_PT12_llPT13_lli,"axG",@progbits,_ZN12_GLOBAL__N_135rocblas_gemm_batched_general_kernelI19rocblas_complex_numIdELi16ELi16ELi32ELi32ELi8ELi32ELi8ELi8ELi32ELc84ELc78EKS2_S3_S2_EEvlllT_PT11_llS6_llS4_PT12_llPT13_lli,comdat
	.globl	_ZN12_GLOBAL__N_135rocblas_gemm_batched_general_kernelI19rocblas_complex_numIdELi16ELi16ELi32ELi32ELi8ELi32ELi8ELi8ELi32ELc84ELc78EKS2_S3_S2_EEvlllT_PT11_llS6_llS4_PT12_llPT13_lli ; -- Begin function _ZN12_GLOBAL__N_135rocblas_gemm_batched_general_kernelI19rocblas_complex_numIdELi16ELi16ELi32ELi32ELi8ELi32ELi8ELi8ELi32ELc84ELc78EKS2_S3_S2_EEvlllT_PT11_llS6_llS4_PT12_llPT13_lli
	.p2align	8
	.type	_ZN12_GLOBAL__N_135rocblas_gemm_batched_general_kernelI19rocblas_complex_numIdELi16ELi16ELi32ELi32ELi8ELi32ELi8ELi8ELi32ELc84ELc78EKS2_S3_S2_EEvlllT_PT11_llS6_llS4_PT12_llPT13_lli,@function
_ZN12_GLOBAL__N_135rocblas_gemm_batched_general_kernelI19rocblas_complex_numIdELi16ELi16ELi32ELi32ELi8ELi32ELi8ELi8ELi32ELc84ELc78EKS2_S3_S2_EEvlllT_PT11_llS6_llS4_PT12_llPT13_lli: ; @_ZN12_GLOBAL__N_135rocblas_gemm_batched_general_kernelI19rocblas_complex_numIdELi16ELi16ELi32ELi32ELi8ELi32ELi8ELi8ELi32ELc84ELc78EKS2_S3_S2_EEvlllT_PT11_llS6_llS4_PT12_llPT13_lli
; %bb.0:
	s_load_dwordx16 s[36:51], s[4:5], 0x0
	s_load_dwordx16 s[12:27], s[4:5], 0x40
	s_mov_b32 s0, s7
	s_ashr_i32 s1, s0, 31
	s_ashr_i32 s7, s6, 31
	s_lshl_b64 s[10:11], s[0:1], 5
	s_waitcnt lgkmcnt(0)
	v_cmp_lt_i64_e64 s[0:1], s[40:41], 1
	v_pk_mov_b32 v[26:27], 0, 0
	v_and_b32_e32 v7, 0x3ff, v0
	v_bfe_u32 v9, v0, 10, 10
	s_lshl_b64 s[6:7], s[6:7], 5
	s_mov_b64 s[28:29], 0
	s_and_b64 vcc, exec, s[0:1]
	v_pk_mov_b32 v[28:29], v[26:27], v[26:27] op_sel:[0,1]
	v_pk_mov_b32 v[22:23], v[26:27], v[26:27] op_sel:[0,1]
	;; [unrolled: 1-line block ×7, first 2 shown]
	s_cbranch_vccnz .LBB137_11
; %bb.1:
	v_lshl_add_u32 v1, v9, 4, v7
	v_lshrrev_b32_e32 v10, 3, v1
	v_lshrrev_b32_e32 v6, 5, v1
	v_mov_b32_e32 v3, s11
	v_add_co_u32_e32 v2, vcc, s10, v10
	v_and_b32_e32 v1, 31, v1
	v_addc_co_u32_e32 v3, vcc, 0, v3, vcc
	v_mov_b32_e32 v5, s7
	v_or_b32_e32 v4, s6, v1
	v_and_b32_e32 v8, 7, v7
	v_cmp_gt_i64_e32 vcc, s[36:37], v[4:5]
	v_lshlrev_b32_e32 v4, 4, v1
	v_lshl_or_b32 v30, v6, 9, v4
	v_lshlrev_b32_e32 v4, 4, v8
	v_lshl_or_b32 v5, v10, 7, v4
	v_add_u32_e32 v31, 0x1000, v5
	v_mov_b32_e32 v5, 0x1000
	v_cmp_gt_i64_e64 s[0:1], s[38:39], v[2:3]
	v_lshl_add_u32 v33, v9, 7, v5
	v_mul_lo_u32 v5, s15, v2
	v_mul_lo_u32 v10, s14, v3
	v_mad_u64_u32 v[2:3], s[2:3], s14, v2, 0
	s_mul_i32 s2, s17, s8
	s_mul_hi_u32 s3, s16, s8
	v_add3_u32 v3, v3, v10, v5
	s_add_i32 s3, s3, s2
	s_mul_i32 s2, s16, s8
	v_lshlrev_b64 v[2:3], 4, v[2:3]
	s_lshl_b64 s[2:3], s[2:3], 4
	v_mov_b32_e32 v5, s3
	v_add_co_u32_e64 v2, s[2:3], s2, v2
	v_addc_co_u32_e64 v3, s[2:3], v3, v5, s[2:3]
	v_add_co_u32_e64 v2, s[2:3], v2, v4
	v_addc_co_u32_e64 v3, s[2:3], 0, v3, s[2:3]
	v_mov_b32_e32 v4, s13
	v_add_co_u32_e64 v10, s[2:3], s12, v2
	v_addc_co_u32_e64 v11, s[2:3], v4, v3, s[2:3]
	v_mov_b32_e32 v2, s7
	v_add_co_u32_e64 v1, s[2:3], s6, v1
	v_addc_co_u32_e64 v2, s[2:3], 0, v2, s[2:3]
	v_mul_lo_u32 v5, s48, v2
	v_mad_u64_u32 v[2:3], s[2:3], s48, v1, 0
	v_mul_lo_u32 v4, s49, v1
	s_mul_i32 s2, s51, s8
	s_mul_hi_u32 s3, s50, s8
	v_add3_u32 v3, v3, v5, v4
	s_add_i32 s3, s3, s2
	s_mul_i32 s2, s50, s8
	v_lshlrev_b64 v[2:3], 4, v[2:3]
	s_lshl_b64 s[2:3], s[2:3], 4
	v_mov_b32_e32 v1, s3
	v_add_co_u32_e64 v2, s[2:3], s2, v2
	v_addc_co_u32_e64 v1, s[2:3], v3, v1, s[2:3]
	v_lshlrev_b32_e32 v3, 4, v6
	v_add_co_u32_e64 v2, s[2:3], v2, v3
	v_addc_co_u32_e64 v1, s[2:3], 0, v1, s[2:3]
	v_mov_b32_e32 v3, s47
	v_add_co_u32_e64 v12, s[2:3], s46, v2
	v_addc_co_u32_e64 v13, s[2:3], v3, v1, s[2:3]
	v_pk_mov_b32 v[14:15], 0, 0
	v_mov_b32_e32 v0, 0
	v_lshlrev_b32_e32 v32, 4, v7
	s_xor_b64 s[2:3], vcc, -1
	s_xor_b64 s[0:1], s[0:1], -1
	v_pk_mov_b32 v[16:17], v[14:15], v[14:15] op_sel:[0,1]
	v_pk_mov_b32 v[20:21], v[14:15], v[14:15] op_sel:[0,1]
	;; [unrolled: 1-line block ×7, first 2 shown]
	s_branch .LBB137_3
.LBB137_2:                              ;   in Loop: Header=BB137_3 Depth=1
	s_or_b64 exec, exec, s[12:13]
	s_waitcnt lgkmcnt(0)
	s_barrier
	ds_read_b128 v[34:37], v32
	ds_read_b128 v[38:41], v33
	ds_read_b128 v[42:45], v33 offset:16
	ds_read_b128 v[46:49], v33 offset:32
	;; [unrolled: 1-line block ×4, first 2 shown]
	s_waitcnt lgkmcnt(4)
	v_mul_f64 v[54:55], v[40:41], v[36:37]
	v_fma_f64 v[54:55], v[38:39], v[34:35], -v[54:55]
	v_mul_f64 v[56:57], v[38:39], v[36:37]
	v_fmac_f64_e32 v[56:57], v[40:41], v[34:35]
	v_add_f64 v[54:55], v[26:27], v[54:55]
	s_waitcnt lgkmcnt(0)
	v_mul_f64 v[26:27], v[40:41], v[52:53]
	v_add_f64 v[56:57], v[28:29], v[56:57]
	v_fma_f64 v[58:59], v[38:39], v[50:51], -v[26:27]
	ds_read_b128 v[26:29], v33 offset:2048
	v_mul_f64 v[38:39], v[38:39], v[52:53]
	v_fmac_f64_e32 v[38:39], v[40:41], v[50:51]
	v_add_f64 v[40:41], v[22:23], v[58:59]
	v_add_f64 v[38:39], v[24:25], v[38:39]
	ds_read_b128 v[22:25], v33 offset:2064
	s_waitcnt lgkmcnt(1)
	v_mul_f64 v[58:59], v[28:29], v[36:37]
	v_fma_f64 v[58:59], v[26:27], v[34:35], -v[58:59]
	v_mul_f64 v[36:37], v[26:27], v[36:37]
	v_fmac_f64_e32 v[36:37], v[28:29], v[34:35]
	v_add_f64 v[34:35], v[18:19], v[58:59]
	v_mul_f64 v[18:19], v[28:29], v[52:53]
	v_add_f64 v[36:37], v[20:21], v[36:37]
	v_fma_f64 v[58:59], v[26:27], v[50:51], -v[18:19]
	v_mul_f64 v[26:27], v[26:27], v[52:53]
	ds_read_b128 v[18:21], v32 offset:512
	v_fmac_f64_e32 v[26:27], v[28:29], v[50:51]
	v_add_f64 v[28:29], v[16:17], v[58:59]
	v_add_f64 v[26:27], v[14:15], v[26:27]
	ds_read_b128 v[14:17], v32 offset:768
	s_waitcnt lgkmcnt(1)
	v_mul_f64 v[50:51], v[44:45], v[20:21]
	v_fma_f64 v[50:51], v[42:43], v[18:19], -v[50:51]
	v_add_f64 v[50:51], v[54:55], v[50:51]
	v_mul_f64 v[52:53], v[42:43], v[20:21]
	s_waitcnt lgkmcnt(0)
	v_mul_f64 v[54:55], v[44:45], v[16:17]
	v_fma_f64 v[54:55], v[42:43], v[14:15], -v[54:55]
	v_mul_f64 v[42:43], v[42:43], v[16:17]
	v_fmac_f64_e32 v[42:43], v[44:45], v[14:15]
	v_add_f64 v[38:39], v[38:39], v[42:43]
	v_mul_f64 v[42:43], v[24:25], v[20:21]
	v_mul_f64 v[20:21], v[22:23], v[20:21]
	v_fmac_f64_e32 v[52:53], v[44:45], v[18:19]
	v_fma_f64 v[42:43], v[22:23], v[18:19], -v[42:43]
	v_fmac_f64_e32 v[20:21], v[24:25], v[18:19]
	v_mul_f64 v[18:19], v[24:25], v[16:17]
	v_add_f64 v[44:45], v[36:37], v[20:21]
	v_fma_f64 v[20:21], v[22:23], v[14:15], -v[18:19]
	v_mul_f64 v[22:23], v[22:23], v[16:17]
	ds_read_b128 v[16:19], v32 offset:1024
	v_fmac_f64_e32 v[22:23], v[24:25], v[14:15]
	v_add_f64 v[40:41], v[40:41], v[54:55]
	v_add_f64 v[28:29], v[28:29], v[20:21]
	;; [unrolled: 1-line block ×3, first 2 shown]
	ds_read_b128 v[20:23], v32 offset:1280
	s_waitcnt lgkmcnt(1)
	v_mul_f64 v[24:25], v[46:47], v[18:19]
	v_add_f64 v[52:53], v[56:57], v[52:53]
	v_fmac_f64_e32 v[24:25], v[48:49], v[16:17]
	v_add_f64 v[52:53], v[52:53], v[24:25]
	ds_read_b128 v[24:27], v33 offset:2080
	v_mul_f64 v[14:15], v[48:49], v[18:19]
	v_fma_f64 v[14:15], v[46:47], v[16:17], -v[14:15]
	v_add_f64 v[42:43], v[34:35], v[42:43]
	v_add_f64 v[50:51], v[50:51], v[14:15]
	s_waitcnt lgkmcnt(1)
	v_mul_f64 v[14:15], v[48:49], v[22:23]
	v_mul_f64 v[34:35], v[46:47], v[22:23]
	v_fma_f64 v[14:15], v[46:47], v[20:21], -v[14:15]
	v_fmac_f64_e32 v[34:35], v[48:49], v[20:21]
	v_add_f64 v[40:41], v[40:41], v[14:15]
	v_add_f64 v[38:39], v[38:39], v[34:35]
	ds_read_b128 v[34:37], v33 offset:2096
	s_waitcnt lgkmcnt(1)
	v_mul_f64 v[14:15], v[26:27], v[18:19]
	v_fma_f64 v[14:15], v[24:25], v[16:17], -v[14:15]
	v_mul_f64 v[18:19], v[24:25], v[18:19]
	v_fmac_f64_e32 v[18:19], v[26:27], v[16:17]
	v_add_f64 v[42:43], v[42:43], v[14:15]
	v_mul_f64 v[14:15], v[26:27], v[22:23]
	v_add_f64 v[44:45], v[44:45], v[18:19]
	v_fma_f64 v[18:19], v[24:25], v[20:21], -v[14:15]
	v_mul_f64 v[22:23], v[24:25], v[22:23]
	ds_read_b128 v[14:17], v32 offset:1536
	v_fmac_f64_e32 v[22:23], v[26:27], v[20:21]
	v_add_f64 v[24:25], v[28:29], v[18:19]
	ds_read_b128 v[18:21], v32 offset:1792
	v_add_f64 v[22:23], v[54:55], v[22:23]
	s_waitcnt lgkmcnt(1)
	v_mul_f64 v[26:27], v[4:5], v[16:17]
	v_fma_f64 v[26:27], v[2:3], v[14:15], -v[26:27]
	v_mul_f64 v[28:29], v[2:3], v[16:17]
	s_waitcnt lgkmcnt(0)
	v_mul_f64 v[46:47], v[4:5], v[20:21]
	v_fma_f64 v[46:47], v[2:3], v[18:19], -v[46:47]
	v_mul_f64 v[2:3], v[2:3], v[20:21]
	v_fmac_f64_e32 v[2:3], v[4:5], v[18:19]
	v_add_f64 v[38:39], v[38:39], v[2:3]
	v_mul_f64 v[2:3], v[36:37], v[16:17]
	v_fmac_f64_e32 v[28:29], v[4:5], v[14:15]
	v_fma_f64 v[2:3], v[34:35], v[14:15], -v[2:3]
	v_mul_f64 v[4:5], v[34:35], v[16:17]
	v_fmac_f64_e32 v[4:5], v[36:37], v[14:15]
	v_add_f64 v[42:43], v[42:43], v[2:3]
	v_mul_f64 v[2:3], v[36:37], v[20:21]
	v_add_f64 v[40:41], v[40:41], v[46:47]
	v_add_f64 v[44:45], v[44:45], v[4:5]
	v_fma_f64 v[46:47], v[34:35], v[18:19], -v[2:3]
	ds_read_b128 v[2:5], v33 offset:64
	ds_read_b128 v[14:17], v32 offset:2048
	v_mul_f64 v[20:21], v[34:35], v[20:21]
	v_fmac_f64_e32 v[20:21], v[36:37], v[18:19]
	v_add_f64 v[34:35], v[24:25], v[46:47]
	v_add_f64 v[36:37], v[22:23], v[20:21]
	ds_read_b128 v[18:21], v32 offset:2304
	ds_read_b128 v[22:25], v33 offset:80
	s_waitcnt lgkmcnt(2)
	v_mul_f64 v[46:47], v[4:5], v[16:17]
	v_add_f64 v[26:27], v[50:51], v[26:27]
	v_fma_f64 v[46:47], v[2:3], v[14:15], -v[46:47]
	v_mul_f64 v[48:49], v[2:3], v[16:17]
	v_add_f64 v[28:29], v[52:53], v[28:29]
	v_fmac_f64_e32 v[48:49], v[4:5], v[14:15]
	v_add_f64 v[46:47], v[26:27], v[46:47]
	s_waitcnt lgkmcnt(1)
	v_mul_f64 v[26:27], v[4:5], v[20:21]
	v_add_f64 v[48:49], v[28:29], v[48:49]
	v_fma_f64 v[50:51], v[2:3], v[18:19], -v[26:27]
	ds_read_b128 v[26:29], v33 offset:2112
	v_mul_f64 v[2:3], v[2:3], v[20:21]
	v_fmac_f64_e32 v[2:3], v[4:5], v[18:19]
	v_add_f64 v[40:41], v[40:41], v[50:51]
	v_add_f64 v[38:39], v[38:39], v[2:3]
	ds_read_b128 v[2:5], v33 offset:2128
	s_waitcnt lgkmcnt(1)
	v_mul_f64 v[50:51], v[28:29], v[16:17]
	v_mul_f64 v[16:17], v[26:27], v[16:17]
	v_fma_f64 v[50:51], v[26:27], v[14:15], -v[50:51]
	v_fmac_f64_e32 v[16:17], v[28:29], v[14:15]
	v_mul_f64 v[14:15], v[28:29], v[20:21]
	v_add_f64 v[42:43], v[42:43], v[50:51]
	v_add_f64 v[44:45], v[44:45], v[16:17]
	v_fma_f64 v[50:51], v[26:27], v[18:19], -v[14:15]
	v_mul_f64 v[20:21], v[26:27], v[20:21]
	ds_read_b128 v[14:17], v32 offset:2560
	v_fmac_f64_e32 v[20:21], v[28:29], v[18:19]
	v_add_f64 v[28:29], v[36:37], v[20:21]
	ds_read_b128 v[18:21], v32 offset:2816
	v_add_f64 v[26:27], v[34:35], v[50:51]
	s_waitcnt lgkmcnt(1)
	v_mul_f64 v[34:35], v[24:25], v[16:17]
	v_fma_f64 v[34:35], v[22:23], v[14:15], -v[34:35]
	v_add_f64 v[34:35], v[46:47], v[34:35]
	s_waitcnt lgkmcnt(0)
	v_mul_f64 v[46:47], v[24:25], v[20:21]
	v_mul_f64 v[36:37], v[22:23], v[16:17]
	v_fma_f64 v[46:47], v[22:23], v[18:19], -v[46:47]
	v_mul_f64 v[22:23], v[22:23], v[20:21]
	v_fmac_f64_e32 v[22:23], v[24:25], v[18:19]
	v_add_f64 v[38:39], v[38:39], v[22:23]
	v_mul_f64 v[22:23], v[4:5], v[16:17]
	v_mul_f64 v[16:17], v[2:3], v[16:17]
	v_fmac_f64_e32 v[36:37], v[24:25], v[14:15]
	v_fma_f64 v[22:23], v[2:3], v[14:15], -v[22:23]
	v_fmac_f64_e32 v[16:17], v[4:5], v[14:15]
	v_mul_f64 v[14:15], v[4:5], v[20:21]
	v_mul_f64 v[20:21], v[2:3], v[20:21]
	v_add_f64 v[42:43], v[42:43], v[22:23]
	v_add_f64 v[44:45], v[44:45], v[16:17]
	v_fma_f64 v[22:23], v[2:3], v[18:19], -v[14:15]
	v_fmac_f64_e32 v[20:21], v[4:5], v[18:19]
	ds_read_b128 v[2:5], v33 offset:96
	ds_read_b128 v[14:17], v32 offset:3072
	v_add_f64 v[36:37], v[48:49], v[36:37]
	v_add_f64 v[40:41], v[40:41], v[46:47]
	;; [unrolled: 1-line block ×4, first 2 shown]
	ds_read_b128 v[18:21], v32 offset:3328
	ds_read_b128 v[22:25], v33 offset:112
	s_waitcnt lgkmcnt(2)
	v_mul_f64 v[26:27], v[4:5], v[16:17]
	v_fma_f64 v[26:27], v[2:3], v[14:15], -v[26:27]
	v_mul_f64 v[28:29], v[2:3], v[16:17]
	v_fmac_f64_e32 v[28:29], v[4:5], v[14:15]
	v_add_f64 v[50:51], v[34:35], v[26:27]
	s_waitcnt lgkmcnt(1)
	v_mul_f64 v[26:27], v[4:5], v[20:21]
	v_add_f64 v[52:53], v[36:37], v[28:29]
	v_fma_f64 v[34:35], v[2:3], v[18:19], -v[26:27]
	ds_read_b128 v[26:29], v33 offset:2144
	v_mul_f64 v[2:3], v[2:3], v[20:21]
	v_fmac_f64_e32 v[2:3], v[4:5], v[18:19]
	v_add_f64 v[40:41], v[40:41], v[34:35]
	v_add_f64 v[38:39], v[38:39], v[2:3]
	ds_read_b128 v[2:5], v33 offset:2160
	s_waitcnt lgkmcnt(1)
	v_mul_f64 v[34:35], v[28:29], v[16:17]
	v_mul_f64 v[16:17], v[26:27], v[16:17]
	v_fma_f64 v[34:35], v[26:27], v[14:15], -v[34:35]
	v_fmac_f64_e32 v[16:17], v[28:29], v[14:15]
	v_mul_f64 v[14:15], v[28:29], v[20:21]
	v_add_f64 v[42:43], v[42:43], v[34:35]
	v_add_f64 v[44:45], v[44:45], v[16:17]
	v_fma_f64 v[34:35], v[26:27], v[18:19], -v[14:15]
	ds_read_b128 v[14:17], v32 offset:3584
	v_add_f64 v[46:47], v[46:47], v[34:35]
	ds_read_b128 v[34:37], v32 offset:3840
	v_mul_f64 v[20:21], v[26:27], v[20:21]
	v_fmac_f64_e32 v[20:21], v[28:29], v[18:19]
	s_waitcnt lgkmcnt(1)
	v_mul_f64 v[18:19], v[24:25], v[16:17]
	v_fma_f64 v[18:19], v[22:23], v[14:15], -v[18:19]
	v_add_f64 v[48:49], v[48:49], v[20:21]
	v_mul_f64 v[20:21], v[22:23], v[16:17]
	v_add_f64 v[26:27], v[50:51], v[18:19]
	s_waitcnt lgkmcnt(0)
	v_mul_f64 v[18:19], v[24:25], v[36:37]
	v_fmac_f64_e32 v[20:21], v[24:25], v[14:15]
	v_fma_f64 v[18:19], v[22:23], v[34:35], -v[18:19]
	v_add_f64 v[28:29], v[52:53], v[20:21]
	v_mul_f64 v[20:21], v[22:23], v[36:37]
	v_add_f64 v[22:23], v[40:41], v[18:19]
	v_mul_f64 v[18:19], v[4:5], v[16:17]
	v_mul_f64 v[16:17], v[2:3], v[16:17]
	v_fma_f64 v[18:19], v[2:3], v[14:15], -v[18:19]
	v_fmac_f64_e32 v[16:17], v[4:5], v[14:15]
	v_mul_f64 v[14:15], v[4:5], v[36:37]
	v_add_co_u32_e32 v10, vcc, 0x80, v10
	v_fma_f64 v[14:15], v[2:3], v[34:35], -v[14:15]
	v_mul_f64 v[2:3], v[2:3], v[36:37]
	v_addc_co_u32_e32 v11, vcc, 0, v11, vcc
	v_fmac_f64_e32 v[20:21], v[24:25], v[34:35]
	v_fmac_f64_e32 v[2:3], v[4:5], v[34:35]
	s_add_u32 s28, s28, 8
	v_add_co_u32_e32 v12, vcc, 0x80, v12
	v_add_f64 v[24:25], v[38:39], v[20:21]
	v_add_f64 v[20:21], v[44:45], v[16:17]
	;; [unrolled: 1-line block ×4, first 2 shown]
	s_addc_u32 s29, s29, 0
	v_addc_co_u32_e32 v13, vcc, 0, v13, vcc
	v_pk_mov_b32 v[2:3], s[40:41], s[40:41] op_sel:[0,1]
	v_cmp_lt_i64_e32 vcc, s[28:29], v[2:3]
	v_add_f64 v[18:19], v[42:43], v[18:19]
	s_barrier
	s_cbranch_vccz .LBB137_11
.LBB137_3:                              ; =>This Inner Loop Header: Depth=1
	v_mov_b32_e32 v1, s29
	v_add_co_u32_e32 v2, vcc, s28, v6
	v_addc_co_u32_e32 v3, vcc, 0, v1, vcc
	v_cmp_le_i64_e32 vcc, s[40:41], v[2:3]
	s_or_b64 s[12:13], s[2:3], vcc
	s_and_saveexec_b64 s[14:15], s[12:13]
	s_xor_b64 s[12:13], exec, s[14:15]
	s_cbranch_execz .LBB137_5
; %bb.4:                                ;   in Loop: Header=BB137_3 Depth=1
	v_mov_b32_e32 v1, v0
	v_mov_b32_e32 v2, v0
	;; [unrolled: 1-line block ×3, first 2 shown]
	ds_write_b128 v30, v[0:3]
.LBB137_5:                              ;   in Loop: Header=BB137_3 Depth=1
	s_andn2_saveexec_b64 s[12:13], s[12:13]
	s_cbranch_execz .LBB137_7
; %bb.6:                                ;   in Loop: Header=BB137_3 Depth=1
	global_load_dwordx4 v[2:5], v[12:13], off
	s_waitcnt vmcnt(0)
	ds_write2_b64 v30, v[2:3], v[4:5] offset1:1
.LBB137_7:                              ;   in Loop: Header=BB137_3 Depth=1
	s_or_b64 exec, exec, s[12:13]
	v_mov_b32_e32 v1, s29
	v_add_co_u32_e32 v2, vcc, s28, v8
	v_addc_co_u32_e32 v3, vcc, 0, v1, vcc
	v_cmp_le_i64_e32 vcc, s[40:41], v[2:3]
	s_or_b64 s[12:13], vcc, s[0:1]
	s_and_saveexec_b64 s[14:15], s[12:13]
	s_xor_b64 s[12:13], exec, s[14:15]
	s_cbranch_execz .LBB137_9
; %bb.8:                                ;   in Loop: Header=BB137_3 Depth=1
	v_mov_b32_e32 v1, v0
	v_mov_b32_e32 v2, v0
	;; [unrolled: 1-line block ×3, first 2 shown]
	ds_write_b128 v31, v[0:3]
.LBB137_9:                              ;   in Loop: Header=BB137_3 Depth=1
	s_andn2_saveexec_b64 s[12:13], s[12:13]
	s_cbranch_execz .LBB137_2
; %bb.10:                               ;   in Loop: Header=BB137_3 Depth=1
	global_load_dwordx4 v[2:5], v[10:11], off
	s_waitcnt vmcnt(0)
	ds_write2_b64 v31, v[2:3], v[4:5] offset1:1
	s_branch .LBB137_2
.LBB137_11:
	s_load_dwordx2 s[0:1], s[4:5], 0x90
	s_load_dwordx4 s[12:15], s[4:5], 0x80
	v_mov_b32_e32 v1, s11
	v_add_co_u32_e32 v0, vcc, s10, v9
	s_waitcnt lgkmcnt(0)
	s_mul_i32 s1, s8, s1
	s_mul_hi_u32 s2, s8, s0
	s_mul_i32 s0, s8, s0
	s_add_i32 s1, s2, s1
	s_lshl_b64 s[0:1], s[0:1], 4
	s_add_u32 s9, s12, s0
	s_addc_u32 s16, s13, s1
	v_cmp_neq_f64_e64 s[0:1], s[18:19], 0
	v_cmp_neq_f64_e64 s[2:3], s[20:21], 0
	v_addc_co_u32_e32 v1, vcc, 0, v1, vcc
	s_or_b64 s[4:5], s[0:1], s[2:3]
	v_cmp_gt_i64_e64 s[0:1], s[38:39], v[0:1]
	s_mov_b64 s[2:3], -1
	s_and_b64 vcc, exec, s[4:5]
	s_cbranch_vccnz .LBB137_23
; %bb.12:
	s_and_saveexec_b64 s[10:11], s[0:1]
	s_cbranch_execz .LBB137_22
; %bb.13:
	v_mov_b32_e32 v2, s7
	v_add_co_u32_e32 v4, vcc, s6, v7
	v_addc_co_u32_e32 v5, vcc, 0, v2, vcc
	v_mul_lo_u32 v6, v1, s14
	v_mul_lo_u32 v8, v0, s15
	v_mad_u64_u32 v[2:3], s[2:3], v0, s14, 0
	v_add3_u32 v3, v3, v8, v6
	v_lshlrev_b64 v[2:3], 4, v[2:3]
	v_mov_b32_e32 v8, s16
	v_add_co_u32_e64 v6, s[2:3], s9, v2
	v_cmp_gt_i64_e32 vcc, s[36:37], v[4:5]
	v_addc_co_u32_e64 v8, s[2:3], v8, v3, s[2:3]
	v_lshlrev_b64 v[2:3], 4, v[4:5]
	s_and_saveexec_b64 s[4:5], vcc
	s_cbranch_execz .LBB137_15
; %bb.14:
	v_mul_f64 v[10:11], s[44:45], v[28:29]
	v_mul_f64 v[12:13], s[42:43], v[28:29]
	v_add_co_u32_e64 v30, s[2:3], v6, v2
	v_fma_f64 v[10:11], s[42:43], v[26:27], -v[10:11]
	v_fmac_f64_e32 v[12:13], s[44:45], v[26:27]
	v_addc_co_u32_e64 v31, s[2:3], v8, v3, s[2:3]
	global_store_dwordx4 v[30:31], v[10:13], off
.LBB137_15:
	s_or_b64 exec, exec, s[4:5]
	v_add_co_u32_e64 v4, s[2:3], 16, v4
	v_addc_co_u32_e64 v5, s[2:3], 0, v5, s[2:3]
	v_cmp_gt_i64_e64 s[2:3], s[36:37], v[4:5]
	s_and_saveexec_b64 s[12:13], s[2:3]
	s_cbranch_execz .LBB137_17
; %bb.16:
	v_mul_f64 v[4:5], s[44:45], v[24:25]
	v_fma_f64 v[10:11], s[42:43], v[22:23], -v[4:5]
	v_mul_f64 v[12:13], s[42:43], v[24:25]
	v_add_co_u32_e64 v4, s[4:5], v6, v2
	v_fmac_f64_e32 v[12:13], s[44:45], v[22:23]
	v_addc_co_u32_e64 v5, s[4:5], v8, v3, s[4:5]
	global_store_dwordx4 v[4:5], v[10:13], off offset:256
.LBB137_17:
	s_or_b64 exec, exec, s[12:13]
	v_add_co_u32_e64 v4, s[4:5], 16, v0
	v_addc_co_u32_e64 v5, s[4:5], 0, v1, s[4:5]
	v_cmp_gt_i64_e64 s[4:5], s[38:39], v[4:5]
	s_and_b64 exec, exec, s[4:5]
	s_cbranch_execz .LBB137_22
; %bb.18:
	s_lshl_b64 s[4:5], s[14:15], 8
	v_mov_b32_e32 v4, s5
	v_add_co_u32_e64 v5, s[4:5], s4, v6
	v_addc_co_u32_e64 v4, s[4:5], v8, v4, s[4:5]
	v_add_co_u32_e64 v2, s[4:5], v5, v2
	v_addc_co_u32_e64 v3, s[4:5], v4, v3, s[4:5]
	s_and_saveexec_b64 s[4:5], vcc
	s_cbranch_execz .LBB137_20
; %bb.19:
	v_mul_f64 v[4:5], s[44:45], v[20:21]
	v_mul_f64 v[10:11], s[42:43], v[20:21]
	v_fma_f64 v[8:9], s[42:43], v[18:19], -v[4:5]
	v_fmac_f64_e32 v[10:11], s[44:45], v[18:19]
	global_store_dwordx4 v[2:3], v[8:11], off
.LBB137_20:
	s_or_b64 exec, exec, s[4:5]
	s_and_b64 exec, exec, s[2:3]
	s_cbranch_execz .LBB137_22
; %bb.21:
	v_mul_f64 v[4:5], s[44:45], v[14:15]
	v_mul_f64 v[10:11], s[42:43], v[14:15]
	v_fma_f64 v[8:9], s[42:43], v[16:17], -v[4:5]
	v_fmac_f64_e32 v[10:11], s[44:45], v[16:17]
	global_store_dwordx4 v[2:3], v[8:11], off offset:256
.LBB137_22:
	s_or_b64 exec, exec, s[10:11]
	s_mov_b64 s[2:3], 0
.LBB137_23:
	s_andn2_b64 vcc, exec, s[2:3]
	s_cbranch_vccnz .LBB137_34
; %bb.24:
	s_and_saveexec_b64 s[2:3], s[0:1]
	s_cbranch_execz .LBB137_34
; %bb.25:
	s_mul_i32 s0, s8, s27
	s_mul_hi_u32 s1, s8, s26
	s_add_i32 s1, s1, s0
	s_mul_i32 s0, s8, s26
	s_lshl_b64 s[0:1], s[0:1], 4
	s_add_u32 s2, s22, s0
	v_mov_b32_e32 v2, s7
	v_add_co_u32_e32 v4, vcc, s6, v7
	s_addc_u32 s3, s23, s1
	v_addc_co_u32_e32 v5, vcc, 0, v2, vcc
	v_mul_lo_u32 v6, v1, s24
	v_mul_lo_u32 v7, v0, s25
	v_mad_u64_u32 v[2:3], s[0:1], v0, s24, 0
	v_add3_u32 v3, v3, v7, v6
	v_mul_lo_u32 v6, v1, s14
	v_mul_lo_u32 v7, v0, s15
	v_mad_u64_u32 v[8:9], s[0:1], v0, s14, 0
	v_lshlrev_b64 v[2:3], 4, v[2:3]
	v_add3_u32 v9, v9, v7, v6
	v_mov_b32_e32 v7, s3
	v_add_co_u32_e64 v6, s[0:1], s2, v2
	v_addc_co_u32_e64 v7, s[0:1], v7, v3, s[0:1]
	v_lshlrev_b64 v[2:3], 4, v[8:9]
	v_mov_b32_e32 v9, s16
	v_add_co_u32_e64 v8, s[0:1], s9, v2
	v_cmp_gt_i64_e32 vcc, s[36:37], v[4:5]
	v_addc_co_u32_e64 v9, s[0:1], v9, v3, s[0:1]
	v_lshlrev_b64 v[2:3], 4, v[4:5]
	s_and_saveexec_b64 s[2:3], vcc
	s_cbranch_execz .LBB137_27
; %bb.26:
	v_add_co_u32_e64 v10, s[0:1], v6, v2
	v_addc_co_u32_e64 v11, s[0:1], v7, v3, s[0:1]
	global_load_dwordx4 v[10:13], v[10:11], off
	v_mul_f64 v[30:31], s[44:45], v[28:29]
	v_mul_f64 v[28:29], s[42:43], v[28:29]
	v_fma_f64 v[30:31], s[42:43], v[26:27], -v[30:31]
	v_fmac_f64_e32 v[28:29], s[44:45], v[26:27]
	s_waitcnt vmcnt(0)
	v_mul_f64 v[26:27], s[20:21], v[12:13]
	v_mul_f64 v[12:13], s[18:19], v[12:13]
	v_fma_f64 v[26:27], s[18:19], v[10:11], -v[26:27]
	v_fmac_f64_e32 v[12:13], s[20:21], v[10:11]
	v_add_f64 v[10:11], v[30:31], v[26:27]
	v_add_co_u32_e64 v26, s[0:1], v8, v2
	v_add_f64 v[12:13], v[28:29], v[12:13]
	v_addc_co_u32_e64 v27, s[0:1], v9, v3, s[0:1]
	global_store_dwordx4 v[26:27], v[10:13], off
.LBB137_27:
	s_or_b64 exec, exec, s[2:3]
	v_add_co_u32_e64 v4, s[0:1], 16, v4
	v_addc_co_u32_e64 v5, s[0:1], 0, v5, s[0:1]
	v_cmp_gt_i64_e64 s[0:1], s[36:37], v[4:5]
	s_and_saveexec_b64 s[4:5], s[0:1]
	s_cbranch_execz .LBB137_29
; %bb.28:
	v_add_co_u32_e64 v4, s[2:3], v6, v2
	v_addc_co_u32_e64 v5, s[2:3], v7, v3, s[2:3]
	global_load_dwordx4 v[10:13], v[4:5], off offset:256
	v_mul_f64 v[4:5], s[44:45], v[24:25]
	v_mul_f64 v[24:25], s[42:43], v[24:25]
	v_fma_f64 v[4:5], s[42:43], v[22:23], -v[4:5]
	v_fmac_f64_e32 v[24:25], s[44:45], v[22:23]
	s_waitcnt vmcnt(0)
	v_mul_f64 v[22:23], s[20:21], v[12:13]
	v_mul_f64 v[12:13], s[18:19], v[12:13]
	v_fma_f64 v[22:23], s[18:19], v[10:11], -v[22:23]
	v_fmac_f64_e32 v[12:13], s[20:21], v[10:11]
	v_add_f64 v[10:11], v[4:5], v[22:23]
	v_add_co_u32_e64 v4, s[2:3], v8, v2
	v_add_f64 v[12:13], v[24:25], v[12:13]
	v_addc_co_u32_e64 v5, s[2:3], v9, v3, s[2:3]
	global_store_dwordx4 v[4:5], v[10:13], off offset:256
.LBB137_29:
	s_or_b64 exec, exec, s[4:5]
	v_add_co_u32_e64 v0, s[2:3], 16, v0
	v_addc_co_u32_e64 v1, s[2:3], 0, v1, s[2:3]
	v_cmp_gt_i64_e64 s[2:3], s[38:39], v[0:1]
	s_and_b64 exec, exec, s[2:3]
	s_cbranch_execz .LBB137_34
; %bb.30:
	s_lshl_b64 s[2:3], s[24:25], 8
	v_mov_b32_e32 v0, s3
	v_add_co_u32_e64 v1, s[2:3], s2, v6
	v_addc_co_u32_e64 v0, s[2:3], v7, v0, s[2:3]
	s_lshl_b64 s[2:3], s[14:15], 8
	v_mov_b32_e32 v4, s3
	v_add_co_u32_e64 v6, s[2:3], s2, v8
	v_addc_co_u32_e64 v7, s[2:3], v9, v4, s[2:3]
	v_add_co_u32_e64 v4, s[2:3], v1, v2
	v_addc_co_u32_e64 v5, s[2:3], v0, v3, s[2:3]
	;; [unrolled: 2-line block ×3, first 2 shown]
	s_and_saveexec_b64 s[2:3], vcc
	s_cbranch_execz .LBB137_32
; %bb.31:
	global_load_dwordx4 v[6:9], v[4:5], off
	v_mul_f64 v[2:3], s[44:45], v[20:21]
	v_mul_f64 v[10:11], s[42:43], v[20:21]
	v_fma_f64 v[2:3], s[42:43], v[18:19], -v[2:3]
	v_fmac_f64_e32 v[10:11], s[44:45], v[18:19]
	s_waitcnt vmcnt(0)
	v_mul_f64 v[12:13], s[20:21], v[8:9]
	v_mul_f64 v[8:9], s[18:19], v[8:9]
	v_fma_f64 v[12:13], s[18:19], v[6:7], -v[12:13]
	v_fmac_f64_e32 v[8:9], s[20:21], v[6:7]
	v_add_f64 v[6:7], v[2:3], v[12:13]
	v_add_f64 v[8:9], v[10:11], v[8:9]
	global_store_dwordx4 v[0:1], v[6:9], off
.LBB137_32:
	s_or_b64 exec, exec, s[2:3]
	s_and_b64 exec, exec, s[0:1]
	s_cbranch_execz .LBB137_34
; %bb.33:
	global_load_dwordx4 v[2:5], v[4:5], off offset:256
	v_mul_f64 v[6:7], s[44:45], v[14:15]
	v_mul_f64 v[8:9], s[42:43], v[14:15]
	v_fma_f64 v[6:7], s[42:43], v[16:17], -v[6:7]
	v_fmac_f64_e32 v[8:9], s[44:45], v[16:17]
	s_waitcnt vmcnt(0)
	v_mul_f64 v[10:11], s[20:21], v[4:5]
	v_mul_f64 v[4:5], s[18:19], v[4:5]
	v_fma_f64 v[10:11], s[18:19], v[2:3], -v[10:11]
	v_fmac_f64_e32 v[4:5], s[20:21], v[2:3]
	v_add_f64 v[2:3], v[6:7], v[10:11]
	v_add_f64 v[4:5], v[8:9], v[4:5]
	global_store_dwordx4 v[0:1], v[2:5], off offset:256
.LBB137_34:
	s_endpgm
	.section	.rodata,"a",@progbits
	.p2align	6, 0x0
	.amdhsa_kernel _ZN12_GLOBAL__N_135rocblas_gemm_batched_general_kernelI19rocblas_complex_numIdELi16ELi16ELi32ELi32ELi8ELi32ELi8ELi8ELi32ELc84ELc78EKS2_S3_S2_EEvlllT_PT11_llS6_llS4_PT12_llPT13_lli
		.amdhsa_group_segment_fixed_size 8192
		.amdhsa_private_segment_fixed_size 0
		.amdhsa_kernarg_size 156
		.amdhsa_user_sgpr_count 6
		.amdhsa_user_sgpr_private_segment_buffer 1
		.amdhsa_user_sgpr_dispatch_ptr 0
		.amdhsa_user_sgpr_queue_ptr 0
		.amdhsa_user_sgpr_kernarg_segment_ptr 1
		.amdhsa_user_sgpr_dispatch_id 0
		.amdhsa_user_sgpr_flat_scratch_init 0
		.amdhsa_user_sgpr_kernarg_preload_length 0
		.amdhsa_user_sgpr_kernarg_preload_offset 0
		.amdhsa_user_sgpr_private_segment_size 0
		.amdhsa_uses_dynamic_stack 0
		.amdhsa_system_sgpr_private_segment_wavefront_offset 0
		.amdhsa_system_sgpr_workgroup_id_x 1
		.amdhsa_system_sgpr_workgroup_id_y 1
		.amdhsa_system_sgpr_workgroup_id_z 1
		.amdhsa_system_sgpr_workgroup_info 0
		.amdhsa_system_vgpr_workitem_id 1
		.amdhsa_next_free_vgpr 60
		.amdhsa_next_free_sgpr 52
		.amdhsa_accum_offset 60
		.amdhsa_reserve_vcc 1
		.amdhsa_reserve_flat_scratch 0
		.amdhsa_float_round_mode_32 0
		.amdhsa_float_round_mode_16_64 0
		.amdhsa_float_denorm_mode_32 3
		.amdhsa_float_denorm_mode_16_64 3
		.amdhsa_dx10_clamp 1
		.amdhsa_ieee_mode 1
		.amdhsa_fp16_overflow 0
		.amdhsa_tg_split 0
		.amdhsa_exception_fp_ieee_invalid_op 0
		.amdhsa_exception_fp_denorm_src 0
		.amdhsa_exception_fp_ieee_div_zero 0
		.amdhsa_exception_fp_ieee_overflow 0
		.amdhsa_exception_fp_ieee_underflow 0
		.amdhsa_exception_fp_ieee_inexact 0
		.amdhsa_exception_int_div_zero 0
	.end_amdhsa_kernel
	.section	.text._ZN12_GLOBAL__N_135rocblas_gemm_batched_general_kernelI19rocblas_complex_numIdELi16ELi16ELi32ELi32ELi8ELi32ELi8ELi8ELi32ELc84ELc78EKS2_S3_S2_EEvlllT_PT11_llS6_llS4_PT12_llPT13_lli,"axG",@progbits,_ZN12_GLOBAL__N_135rocblas_gemm_batched_general_kernelI19rocblas_complex_numIdELi16ELi16ELi32ELi32ELi8ELi32ELi8ELi8ELi32ELc84ELc78EKS2_S3_S2_EEvlllT_PT11_llS6_llS4_PT12_llPT13_lli,comdat
.Lfunc_end137:
	.size	_ZN12_GLOBAL__N_135rocblas_gemm_batched_general_kernelI19rocblas_complex_numIdELi16ELi16ELi32ELi32ELi8ELi32ELi8ELi8ELi32ELc84ELc78EKS2_S3_S2_EEvlllT_PT11_llS6_llS4_PT12_llPT13_lli, .Lfunc_end137-_ZN12_GLOBAL__N_135rocblas_gemm_batched_general_kernelI19rocblas_complex_numIdELi16ELi16ELi32ELi32ELi8ELi32ELi8ELi8ELi32ELc84ELc78EKS2_S3_S2_EEvlllT_PT11_llS6_llS4_PT12_llPT13_lli
                                        ; -- End function
	.section	.AMDGPU.csdata,"",@progbits
; Kernel info:
; codeLenInByte = 3880
; NumSgprs: 56
; NumVgprs: 60
; NumAgprs: 0
; TotalNumVgprs: 60
; ScratchSize: 0
; MemoryBound: 0
; FloatMode: 240
; IeeeMode: 1
; LDSByteSize: 8192 bytes/workgroup (compile time only)
; SGPRBlocks: 6
; VGPRBlocks: 7
; NumSGPRsForWavesPerEU: 56
; NumVGPRsForWavesPerEU: 60
; AccumOffset: 60
; Occupancy: 8
; WaveLimiterHint : 0
; COMPUTE_PGM_RSRC2:SCRATCH_EN: 0
; COMPUTE_PGM_RSRC2:USER_SGPR: 6
; COMPUTE_PGM_RSRC2:TRAP_HANDLER: 0
; COMPUTE_PGM_RSRC2:TGID_X_EN: 1
; COMPUTE_PGM_RSRC2:TGID_Y_EN: 1
; COMPUTE_PGM_RSRC2:TGID_Z_EN: 1
; COMPUTE_PGM_RSRC2:TIDIG_COMP_CNT: 1
; COMPUTE_PGM_RSRC3_GFX90A:ACCUM_OFFSET: 14
; COMPUTE_PGM_RSRC3_GFX90A:TG_SPLIT: 0
	.section	.text._ZN12_GLOBAL__N_135rocblas_gemm_batched_general_kernelI19rocblas_complex_numIdELi16ELi16ELi32ELi32ELi8ELi32ELi8ELi8ELi32ELc78ELc84EKS2_S3_S2_EEvlllT_PT11_llS6_llS4_PT12_llPT13_lli,"axG",@progbits,_ZN12_GLOBAL__N_135rocblas_gemm_batched_general_kernelI19rocblas_complex_numIdELi16ELi16ELi32ELi32ELi8ELi32ELi8ELi8ELi32ELc78ELc84EKS2_S3_S2_EEvlllT_PT11_llS6_llS4_PT12_llPT13_lli,comdat
	.globl	_ZN12_GLOBAL__N_135rocblas_gemm_batched_general_kernelI19rocblas_complex_numIdELi16ELi16ELi32ELi32ELi8ELi32ELi8ELi8ELi32ELc78ELc84EKS2_S3_S2_EEvlllT_PT11_llS6_llS4_PT12_llPT13_lli ; -- Begin function _ZN12_GLOBAL__N_135rocblas_gemm_batched_general_kernelI19rocblas_complex_numIdELi16ELi16ELi32ELi32ELi8ELi32ELi8ELi8ELi32ELc78ELc84EKS2_S3_S2_EEvlllT_PT11_llS6_llS4_PT12_llPT13_lli
	.p2align	8
	.type	_ZN12_GLOBAL__N_135rocblas_gemm_batched_general_kernelI19rocblas_complex_numIdELi16ELi16ELi32ELi32ELi8ELi32ELi8ELi8ELi32ELc78ELc84EKS2_S3_S2_EEvlllT_PT11_llS6_llS4_PT12_llPT13_lli,@function
_ZN12_GLOBAL__N_135rocblas_gemm_batched_general_kernelI19rocblas_complex_numIdELi16ELi16ELi32ELi32ELi8ELi32ELi8ELi8ELi32ELc78ELc84EKS2_S3_S2_EEvlllT_PT11_llS6_llS4_PT12_llPT13_lli: ; @_ZN12_GLOBAL__N_135rocblas_gemm_batched_general_kernelI19rocblas_complex_numIdELi16ELi16ELi32ELi32ELi8ELi32ELi8ELi8ELi32ELc78ELc84EKS2_S3_S2_EEvlllT_PT11_llS6_llS4_PT12_llPT13_lli
; %bb.0:
	s_load_dwordx16 s[36:51], s[4:5], 0x0
	s_load_dwordx16 s[12:27], s[4:5], 0x40
	s_mov_b32 s2, s7
	s_ashr_i32 s7, s6, 31
	s_ashr_i32 s3, s2, 31
	s_waitcnt lgkmcnt(0)
	v_cmp_lt_i64_e64 s[0:1], s[40:41], 1
	v_pk_mov_b32 v[26:27], 0, 0
	v_and_b32_e32 v7, 0x3ff, v0
	v_bfe_u32 v9, v0, 10, 10
	s_lshl_b64 s[10:11], s[6:7], 5
	s_lshl_b64 s[28:29], s[2:3], 5
	s_mov_b64 s[30:31], 0
	s_and_b64 vcc, exec, s[0:1]
	v_pk_mov_b32 v[28:29], v[26:27], v[26:27] op_sel:[0,1]
	v_pk_mov_b32 v[22:23], v[26:27], v[26:27] op_sel:[0,1]
	;; [unrolled: 1-line block ×7, first 2 shown]
	s_cbranch_vccnz .LBB138_11
; %bb.1:
	v_lshl_add_u32 v1, v9, 4, v7
	v_lshrrev_b32_e32 v2, 3, v1
	v_mov_b32_e32 v5, s29
	v_add_co_u32_e32 v4, vcc, s28, v2
	v_and_b32_e32 v8, 7, v7
	v_addc_co_u32_e32 v5, vcc, 0, v5, vcc
	v_cmp_gt_i64_e64 s[0:1], s[38:39], v[4:5]
	v_lshlrev_b32_e32 v4, 4, v8
	v_lshl_or_b32 v4, v2, 7, v4
	v_lshrrev_b32_e32 v6, 5, v1
	v_and_b32_e32 v1, 31, v1
	v_add_u32_e32 v31, 0x1000, v4
	v_mov_b32_e32 v4, 0x1000
	v_mov_b32_e32 v11, s11
	v_or_b32_e32 v10, s10, v1
	v_lshl_add_u32 v33, v9, 7, v4
	s_mul_i32 s9, s17, s8
	s_mul_hi_u32 s17, s16, s8
	v_mad_u64_u32 v[4:5], s[34:35], s14, v8, 0
	v_cmp_gt_i64_e32 vcc, s[36:37], v[10:11]
	s_add_i32 s17, s17, s9
	s_mul_i32 s16, s16, s8
	v_mov_b32_e32 v10, v5
	s_lshl_b64 s[16:17], s[16:17], 4
	v_mad_u64_u32 v[10:11], s[34:35], s15, v8, v[10:11]
	s_lshl_b64 s[2:3], s[2:3], 9
	v_mov_b32_e32 v5, v10
	s_add_u32 s2, s2, s16
	v_mov_b32_e32 v0, 0
	v_lshlrev_b64 v[4:5], 4, v[4:5]
	s_addc_u32 s3, s3, s17
	v_mov_b32_e32 v3, v0
	v_mov_b32_e32 v10, s3
	v_add_co_u32_e64 v4, s[2:3], s2, v4
	v_addc_co_u32_e64 v5, s[2:3], v10, v5, s[2:3]
	v_lshlrev_b64 v[2:3], 4, v[2:3]
	v_add_co_u32_e64 v2, s[2:3], v4, v2
	v_addc_co_u32_e64 v3, s[2:3], v5, v3, s[2:3]
	v_mov_b32_e32 v4, s13
	v_add_co_u32_e64 v10, s[2:3], s12, v2
	v_addc_co_u32_e64 v11, s[2:3], v4, v3, s[2:3]
	v_mad_u64_u32 v[2:3], s[2:3], s48, v6, 0
	v_mov_b32_e32 v4, v3
	v_mad_u64_u32 v[4:5], s[2:3], s49, v6, v[4:5]
	s_mul_i32 s2, s51, s8
	s_mul_hi_u32 s3, s50, s8
	s_add_i32 s3, s3, s2
	s_mul_i32 s2, s50, s8
	s_lshl_b64 s[12:13], s[14:15], 7
	s_lshl_b64 s[2:3], s[2:3], 4
	;; [unrolled: 1-line block ×3, first 2 shown]
	v_mov_b32_e32 v3, v4
	s_add_u32 s2, s6, s2
	v_lshlrev_b64 v[2:3], 4, v[2:3]
	s_addc_u32 s3, s7, s3
	v_mov_b32_e32 v4, s3
	v_add_co_u32_e64 v2, s[2:3], s2, v2
	v_lshlrev_b32_e32 v1, 4, v1
	v_addc_co_u32_e64 v3, s[2:3], v4, v3, s[2:3]
	v_lshl_or_b32 v30, v6, 9, v1
	v_add_co_u32_e64 v1, s[2:3], v2, v1
	v_addc_co_u32_e64 v2, s[2:3], 0, v3, s[2:3]
	v_mov_b32_e32 v3, s47
	v_add_co_u32_e64 v12, s[2:3], s46, v1
	v_addc_co_u32_e64 v13, s[2:3], v3, v2, s[2:3]
	v_pk_mov_b32 v[14:15], 0, 0
	v_lshlrev_b32_e32 v32, 4, v7
	s_lshl_b64 s[2:3], s[48:49], 7
	s_xor_b64 s[6:7], vcc, -1
	s_xor_b64 s[0:1], s[0:1], -1
	v_pk_mov_b32 v[16:17], v[14:15], v[14:15] op_sel:[0,1]
	v_pk_mov_b32 v[20:21], v[14:15], v[14:15] op_sel:[0,1]
	;; [unrolled: 1-line block ×7, first 2 shown]
	s_branch .LBB138_3
.LBB138_2:                              ;   in Loop: Header=BB138_3 Depth=1
	s_or_b64 exec, exec, s[14:15]
	s_waitcnt lgkmcnt(0)
	s_barrier
	ds_read_b128 v[34:37], v32
	ds_read_b128 v[38:41], v33
	ds_read_b128 v[42:45], v33 offset:16
	ds_read_b128 v[46:49], v33 offset:32
	;; [unrolled: 1-line block ×4, first 2 shown]
	s_waitcnt lgkmcnt(4)
	v_mul_f64 v[54:55], v[40:41], v[36:37]
	v_fma_f64 v[54:55], v[38:39], v[34:35], -v[54:55]
	v_mul_f64 v[56:57], v[38:39], v[36:37]
	v_fmac_f64_e32 v[56:57], v[40:41], v[34:35]
	v_add_f64 v[54:55], v[26:27], v[54:55]
	s_waitcnt lgkmcnt(0)
	v_mul_f64 v[26:27], v[40:41], v[52:53]
	v_add_f64 v[56:57], v[28:29], v[56:57]
	v_fma_f64 v[58:59], v[38:39], v[50:51], -v[26:27]
	ds_read_b128 v[26:29], v33 offset:2048
	v_mul_f64 v[38:39], v[38:39], v[52:53]
	v_fmac_f64_e32 v[38:39], v[40:41], v[50:51]
	v_add_f64 v[40:41], v[22:23], v[58:59]
	v_add_f64 v[38:39], v[24:25], v[38:39]
	ds_read_b128 v[22:25], v33 offset:2064
	s_waitcnt lgkmcnt(1)
	v_mul_f64 v[58:59], v[28:29], v[36:37]
	v_fma_f64 v[58:59], v[26:27], v[34:35], -v[58:59]
	v_mul_f64 v[36:37], v[26:27], v[36:37]
	v_fmac_f64_e32 v[36:37], v[28:29], v[34:35]
	v_add_f64 v[34:35], v[18:19], v[58:59]
	v_mul_f64 v[18:19], v[28:29], v[52:53]
	v_add_f64 v[36:37], v[20:21], v[36:37]
	v_fma_f64 v[58:59], v[26:27], v[50:51], -v[18:19]
	v_mul_f64 v[26:27], v[26:27], v[52:53]
	ds_read_b128 v[18:21], v32 offset:512
	v_fmac_f64_e32 v[26:27], v[28:29], v[50:51]
	v_add_f64 v[28:29], v[16:17], v[58:59]
	v_add_f64 v[26:27], v[14:15], v[26:27]
	ds_read_b128 v[14:17], v32 offset:768
	s_waitcnt lgkmcnt(1)
	v_mul_f64 v[50:51], v[44:45], v[20:21]
	v_fma_f64 v[50:51], v[42:43], v[18:19], -v[50:51]
	v_add_f64 v[50:51], v[54:55], v[50:51]
	v_mul_f64 v[52:53], v[42:43], v[20:21]
	s_waitcnt lgkmcnt(0)
	v_mul_f64 v[54:55], v[44:45], v[16:17]
	v_fma_f64 v[54:55], v[42:43], v[14:15], -v[54:55]
	v_mul_f64 v[42:43], v[42:43], v[16:17]
	v_fmac_f64_e32 v[42:43], v[44:45], v[14:15]
	v_add_f64 v[38:39], v[38:39], v[42:43]
	v_mul_f64 v[42:43], v[24:25], v[20:21]
	v_mul_f64 v[20:21], v[22:23], v[20:21]
	v_fmac_f64_e32 v[52:53], v[44:45], v[18:19]
	v_fma_f64 v[42:43], v[22:23], v[18:19], -v[42:43]
	v_fmac_f64_e32 v[20:21], v[24:25], v[18:19]
	v_mul_f64 v[18:19], v[24:25], v[16:17]
	v_add_f64 v[44:45], v[36:37], v[20:21]
	v_fma_f64 v[20:21], v[22:23], v[14:15], -v[18:19]
	v_mul_f64 v[22:23], v[22:23], v[16:17]
	ds_read_b128 v[16:19], v32 offset:1024
	v_fmac_f64_e32 v[22:23], v[24:25], v[14:15]
	v_add_f64 v[40:41], v[40:41], v[54:55]
	v_add_f64 v[28:29], v[28:29], v[20:21]
	;; [unrolled: 1-line block ×3, first 2 shown]
	ds_read_b128 v[20:23], v32 offset:1280
	s_waitcnt lgkmcnt(1)
	v_mul_f64 v[24:25], v[46:47], v[18:19]
	v_add_f64 v[52:53], v[56:57], v[52:53]
	v_fmac_f64_e32 v[24:25], v[48:49], v[16:17]
	v_add_f64 v[52:53], v[52:53], v[24:25]
	ds_read_b128 v[24:27], v33 offset:2080
	v_mul_f64 v[14:15], v[48:49], v[18:19]
	v_fma_f64 v[14:15], v[46:47], v[16:17], -v[14:15]
	v_add_f64 v[42:43], v[34:35], v[42:43]
	v_add_f64 v[50:51], v[50:51], v[14:15]
	s_waitcnt lgkmcnt(1)
	v_mul_f64 v[14:15], v[48:49], v[22:23]
	v_mul_f64 v[34:35], v[46:47], v[22:23]
	v_fma_f64 v[14:15], v[46:47], v[20:21], -v[14:15]
	v_fmac_f64_e32 v[34:35], v[48:49], v[20:21]
	v_add_f64 v[40:41], v[40:41], v[14:15]
	v_add_f64 v[38:39], v[38:39], v[34:35]
	ds_read_b128 v[34:37], v33 offset:2096
	s_waitcnt lgkmcnt(1)
	v_mul_f64 v[14:15], v[26:27], v[18:19]
	v_fma_f64 v[14:15], v[24:25], v[16:17], -v[14:15]
	v_mul_f64 v[18:19], v[24:25], v[18:19]
	v_fmac_f64_e32 v[18:19], v[26:27], v[16:17]
	v_add_f64 v[42:43], v[42:43], v[14:15]
	v_mul_f64 v[14:15], v[26:27], v[22:23]
	v_add_f64 v[44:45], v[44:45], v[18:19]
	v_fma_f64 v[18:19], v[24:25], v[20:21], -v[14:15]
	v_mul_f64 v[22:23], v[24:25], v[22:23]
	ds_read_b128 v[14:17], v32 offset:1536
	v_fmac_f64_e32 v[22:23], v[26:27], v[20:21]
	v_add_f64 v[24:25], v[28:29], v[18:19]
	ds_read_b128 v[18:21], v32 offset:1792
	v_add_f64 v[22:23], v[54:55], v[22:23]
	s_waitcnt lgkmcnt(1)
	v_mul_f64 v[26:27], v[4:5], v[16:17]
	v_fma_f64 v[26:27], v[2:3], v[14:15], -v[26:27]
	v_mul_f64 v[28:29], v[2:3], v[16:17]
	s_waitcnt lgkmcnt(0)
	v_mul_f64 v[46:47], v[4:5], v[20:21]
	v_fma_f64 v[46:47], v[2:3], v[18:19], -v[46:47]
	v_mul_f64 v[2:3], v[2:3], v[20:21]
	v_fmac_f64_e32 v[2:3], v[4:5], v[18:19]
	v_add_f64 v[38:39], v[38:39], v[2:3]
	v_mul_f64 v[2:3], v[36:37], v[16:17]
	v_fmac_f64_e32 v[28:29], v[4:5], v[14:15]
	v_fma_f64 v[2:3], v[34:35], v[14:15], -v[2:3]
	v_mul_f64 v[4:5], v[34:35], v[16:17]
	v_fmac_f64_e32 v[4:5], v[36:37], v[14:15]
	v_add_f64 v[42:43], v[42:43], v[2:3]
	v_mul_f64 v[2:3], v[36:37], v[20:21]
	v_add_f64 v[40:41], v[40:41], v[46:47]
	v_add_f64 v[44:45], v[44:45], v[4:5]
	v_fma_f64 v[46:47], v[34:35], v[18:19], -v[2:3]
	ds_read_b128 v[2:5], v33 offset:64
	ds_read_b128 v[14:17], v32 offset:2048
	v_mul_f64 v[20:21], v[34:35], v[20:21]
	v_fmac_f64_e32 v[20:21], v[36:37], v[18:19]
	v_add_f64 v[34:35], v[24:25], v[46:47]
	v_add_f64 v[36:37], v[22:23], v[20:21]
	ds_read_b128 v[18:21], v32 offset:2304
	ds_read_b128 v[22:25], v33 offset:80
	s_waitcnt lgkmcnt(2)
	v_mul_f64 v[46:47], v[4:5], v[16:17]
	v_add_f64 v[26:27], v[50:51], v[26:27]
	v_fma_f64 v[46:47], v[2:3], v[14:15], -v[46:47]
	v_mul_f64 v[48:49], v[2:3], v[16:17]
	v_add_f64 v[28:29], v[52:53], v[28:29]
	v_fmac_f64_e32 v[48:49], v[4:5], v[14:15]
	v_add_f64 v[46:47], v[26:27], v[46:47]
	s_waitcnt lgkmcnt(1)
	v_mul_f64 v[26:27], v[4:5], v[20:21]
	v_add_f64 v[48:49], v[28:29], v[48:49]
	v_fma_f64 v[50:51], v[2:3], v[18:19], -v[26:27]
	ds_read_b128 v[26:29], v33 offset:2112
	v_mul_f64 v[2:3], v[2:3], v[20:21]
	v_fmac_f64_e32 v[2:3], v[4:5], v[18:19]
	v_add_f64 v[40:41], v[40:41], v[50:51]
	v_add_f64 v[38:39], v[38:39], v[2:3]
	ds_read_b128 v[2:5], v33 offset:2128
	s_waitcnt lgkmcnt(1)
	v_mul_f64 v[50:51], v[28:29], v[16:17]
	v_mul_f64 v[16:17], v[26:27], v[16:17]
	v_fma_f64 v[50:51], v[26:27], v[14:15], -v[50:51]
	v_fmac_f64_e32 v[16:17], v[28:29], v[14:15]
	v_mul_f64 v[14:15], v[28:29], v[20:21]
	v_add_f64 v[42:43], v[42:43], v[50:51]
	v_add_f64 v[44:45], v[44:45], v[16:17]
	v_fma_f64 v[50:51], v[26:27], v[18:19], -v[14:15]
	v_mul_f64 v[20:21], v[26:27], v[20:21]
	ds_read_b128 v[14:17], v32 offset:2560
	v_fmac_f64_e32 v[20:21], v[28:29], v[18:19]
	v_add_f64 v[28:29], v[36:37], v[20:21]
	ds_read_b128 v[18:21], v32 offset:2816
	v_add_f64 v[26:27], v[34:35], v[50:51]
	s_waitcnt lgkmcnt(1)
	v_mul_f64 v[34:35], v[24:25], v[16:17]
	v_fma_f64 v[34:35], v[22:23], v[14:15], -v[34:35]
	v_add_f64 v[34:35], v[46:47], v[34:35]
	s_waitcnt lgkmcnt(0)
	v_mul_f64 v[46:47], v[24:25], v[20:21]
	v_mul_f64 v[36:37], v[22:23], v[16:17]
	v_fma_f64 v[46:47], v[22:23], v[18:19], -v[46:47]
	v_mul_f64 v[22:23], v[22:23], v[20:21]
	v_fmac_f64_e32 v[22:23], v[24:25], v[18:19]
	v_add_f64 v[38:39], v[38:39], v[22:23]
	v_mul_f64 v[22:23], v[4:5], v[16:17]
	v_mul_f64 v[16:17], v[2:3], v[16:17]
	v_fmac_f64_e32 v[36:37], v[24:25], v[14:15]
	v_fma_f64 v[22:23], v[2:3], v[14:15], -v[22:23]
	v_fmac_f64_e32 v[16:17], v[4:5], v[14:15]
	v_mul_f64 v[14:15], v[4:5], v[20:21]
	v_mul_f64 v[20:21], v[2:3], v[20:21]
	v_add_f64 v[42:43], v[42:43], v[22:23]
	v_add_f64 v[44:45], v[44:45], v[16:17]
	v_fma_f64 v[22:23], v[2:3], v[18:19], -v[14:15]
	v_fmac_f64_e32 v[20:21], v[4:5], v[18:19]
	ds_read_b128 v[2:5], v33 offset:96
	ds_read_b128 v[14:17], v32 offset:3072
	v_add_f64 v[36:37], v[48:49], v[36:37]
	v_add_f64 v[40:41], v[40:41], v[46:47]
	;; [unrolled: 1-line block ×4, first 2 shown]
	ds_read_b128 v[18:21], v32 offset:3328
	ds_read_b128 v[22:25], v33 offset:112
	s_waitcnt lgkmcnt(2)
	v_mul_f64 v[26:27], v[4:5], v[16:17]
	v_fma_f64 v[26:27], v[2:3], v[14:15], -v[26:27]
	v_mul_f64 v[28:29], v[2:3], v[16:17]
	v_fmac_f64_e32 v[28:29], v[4:5], v[14:15]
	v_add_f64 v[50:51], v[34:35], v[26:27]
	s_waitcnt lgkmcnt(1)
	v_mul_f64 v[26:27], v[4:5], v[20:21]
	v_add_f64 v[52:53], v[36:37], v[28:29]
	v_fma_f64 v[34:35], v[2:3], v[18:19], -v[26:27]
	ds_read_b128 v[26:29], v33 offset:2144
	v_mul_f64 v[2:3], v[2:3], v[20:21]
	v_fmac_f64_e32 v[2:3], v[4:5], v[18:19]
	v_add_f64 v[40:41], v[40:41], v[34:35]
	v_add_f64 v[38:39], v[38:39], v[2:3]
	ds_read_b128 v[2:5], v33 offset:2160
	s_waitcnt lgkmcnt(1)
	v_mul_f64 v[34:35], v[28:29], v[16:17]
	v_mul_f64 v[16:17], v[26:27], v[16:17]
	v_fma_f64 v[34:35], v[26:27], v[14:15], -v[34:35]
	v_fmac_f64_e32 v[16:17], v[28:29], v[14:15]
	v_mul_f64 v[14:15], v[28:29], v[20:21]
	v_add_f64 v[42:43], v[42:43], v[34:35]
	v_add_f64 v[44:45], v[44:45], v[16:17]
	v_fma_f64 v[34:35], v[26:27], v[18:19], -v[14:15]
	ds_read_b128 v[14:17], v32 offset:3584
	v_add_f64 v[46:47], v[46:47], v[34:35]
	ds_read_b128 v[34:37], v32 offset:3840
	v_mul_f64 v[20:21], v[26:27], v[20:21]
	v_fmac_f64_e32 v[20:21], v[28:29], v[18:19]
	s_waitcnt lgkmcnt(1)
	v_mul_f64 v[18:19], v[24:25], v[16:17]
	v_fma_f64 v[18:19], v[22:23], v[14:15], -v[18:19]
	v_add_f64 v[48:49], v[48:49], v[20:21]
	v_mul_f64 v[20:21], v[22:23], v[16:17]
	v_add_f64 v[26:27], v[50:51], v[18:19]
	s_waitcnt lgkmcnt(0)
	v_mul_f64 v[18:19], v[24:25], v[36:37]
	v_fmac_f64_e32 v[20:21], v[24:25], v[14:15]
	v_fma_f64 v[18:19], v[22:23], v[34:35], -v[18:19]
	v_add_f64 v[28:29], v[52:53], v[20:21]
	v_mul_f64 v[20:21], v[22:23], v[36:37]
	v_add_f64 v[22:23], v[40:41], v[18:19]
	v_mul_f64 v[18:19], v[4:5], v[16:17]
	v_mul_f64 v[16:17], v[2:3], v[16:17]
	v_fma_f64 v[18:19], v[2:3], v[14:15], -v[18:19]
	v_fmac_f64_e32 v[16:17], v[4:5], v[14:15]
	v_mul_f64 v[14:15], v[4:5], v[36:37]
	v_mov_b32_e32 v1, s13
	v_add_co_u32_e32 v10, vcc, s12, v10
	v_fma_f64 v[14:15], v[2:3], v[34:35], -v[14:15]
	v_mul_f64 v[2:3], v[2:3], v[36:37]
	v_addc_co_u32_e32 v11, vcc, v11, v1, vcc
	v_fmac_f64_e32 v[20:21], v[24:25], v[34:35]
	v_fmac_f64_e32 v[2:3], v[4:5], v[34:35]
	s_add_u32 s30, s30, 8
	v_mov_b32_e32 v1, s3
	v_add_co_u32_e32 v12, vcc, s2, v12
	v_add_f64 v[24:25], v[38:39], v[20:21]
	v_add_f64 v[20:21], v[44:45], v[16:17]
	;; [unrolled: 1-line block ×4, first 2 shown]
	s_addc_u32 s31, s31, 0
	v_addc_co_u32_e32 v13, vcc, v13, v1, vcc
	v_pk_mov_b32 v[2:3], s[40:41], s[40:41] op_sel:[0,1]
	v_cmp_lt_i64_e32 vcc, s[30:31], v[2:3]
	v_add_f64 v[18:19], v[42:43], v[18:19]
	s_barrier
	s_cbranch_vccz .LBB138_11
.LBB138_3:                              ; =>This Inner Loop Header: Depth=1
	v_mov_b32_e32 v1, s31
	v_add_co_u32_e32 v2, vcc, s30, v6
	v_addc_co_u32_e32 v3, vcc, 0, v1, vcc
	v_cmp_le_i64_e32 vcc, s[40:41], v[2:3]
	s_or_b64 s[14:15], s[6:7], vcc
	s_and_saveexec_b64 s[16:17], s[14:15]
	s_xor_b64 s[14:15], exec, s[16:17]
	s_cbranch_execz .LBB138_5
; %bb.4:                                ;   in Loop: Header=BB138_3 Depth=1
	v_mov_b32_e32 v1, v0
	v_mov_b32_e32 v2, v0
	;; [unrolled: 1-line block ×3, first 2 shown]
	ds_write_b128 v30, v[0:3]
.LBB138_5:                              ;   in Loop: Header=BB138_3 Depth=1
	s_andn2_saveexec_b64 s[14:15], s[14:15]
	s_cbranch_execz .LBB138_7
; %bb.6:                                ;   in Loop: Header=BB138_3 Depth=1
	global_load_dwordx4 v[2:5], v[12:13], off
	s_waitcnt vmcnt(0)
	ds_write2_b64 v30, v[2:3], v[4:5] offset1:1
.LBB138_7:                              ;   in Loop: Header=BB138_3 Depth=1
	s_or_b64 exec, exec, s[14:15]
	v_mov_b32_e32 v1, s31
	v_add_co_u32_e32 v2, vcc, s30, v8
	v_addc_co_u32_e32 v3, vcc, 0, v1, vcc
	v_cmp_le_i64_e32 vcc, s[40:41], v[2:3]
	s_or_b64 s[14:15], vcc, s[0:1]
	s_and_saveexec_b64 s[16:17], s[14:15]
	s_xor_b64 s[14:15], exec, s[16:17]
	s_cbranch_execz .LBB138_9
; %bb.8:                                ;   in Loop: Header=BB138_3 Depth=1
	v_mov_b32_e32 v1, v0
	v_mov_b32_e32 v2, v0
	;; [unrolled: 1-line block ×3, first 2 shown]
	ds_write_b128 v31, v[0:3]
.LBB138_9:                              ;   in Loop: Header=BB138_3 Depth=1
	s_andn2_saveexec_b64 s[14:15], s[14:15]
	s_cbranch_execz .LBB138_2
; %bb.10:                               ;   in Loop: Header=BB138_3 Depth=1
	global_load_dwordx4 v[2:5], v[10:11], off
	s_waitcnt vmcnt(0)
	ds_write2_b64 v31, v[2:3], v[4:5] offset1:1
	s_branch .LBB138_2
.LBB138_11:
	s_load_dwordx2 s[0:1], s[4:5], 0x90
	s_load_dwordx4 s[12:15], s[4:5], 0x80
	v_mov_b32_e32 v1, s29
	v_add_co_u32_e32 v0, vcc, s28, v9
	s_waitcnt lgkmcnt(0)
	s_mul_i32 s1, s8, s1
	s_mul_hi_u32 s2, s8, s0
	s_mul_i32 s0, s8, s0
	s_add_i32 s1, s2, s1
	s_lshl_b64 s[0:1], s[0:1], 4
	s_add_u32 s9, s12, s0
	s_addc_u32 s16, s13, s1
	v_cmp_neq_f64_e64 s[0:1], s[18:19], 0
	v_cmp_neq_f64_e64 s[2:3], s[20:21], 0
	v_addc_co_u32_e32 v1, vcc, 0, v1, vcc
	s_or_b64 s[4:5], s[0:1], s[2:3]
	v_cmp_gt_i64_e64 s[0:1], s[38:39], v[0:1]
	s_mov_b64 s[2:3], -1
	s_and_b64 vcc, exec, s[4:5]
	s_cbranch_vccnz .LBB138_23
; %bb.12:
	s_and_saveexec_b64 s[6:7], s[0:1]
	s_cbranch_execz .LBB138_22
; %bb.13:
	v_mov_b32_e32 v2, s11
	v_add_co_u32_e32 v4, vcc, s10, v7
	v_addc_co_u32_e32 v5, vcc, 0, v2, vcc
	v_mul_lo_u32 v6, v1, s14
	v_mul_lo_u32 v8, v0, s15
	v_mad_u64_u32 v[2:3], s[2:3], v0, s14, 0
	v_add3_u32 v3, v3, v8, v6
	v_lshlrev_b64 v[2:3], 4, v[2:3]
	v_mov_b32_e32 v8, s16
	v_add_co_u32_e64 v6, s[2:3], s9, v2
	v_cmp_gt_i64_e32 vcc, s[36:37], v[4:5]
	v_addc_co_u32_e64 v8, s[2:3], v8, v3, s[2:3]
	v_lshlrev_b64 v[2:3], 4, v[4:5]
	s_and_saveexec_b64 s[4:5], vcc
	s_cbranch_execz .LBB138_15
; %bb.14:
	v_mul_f64 v[10:11], s[44:45], v[28:29]
	v_mul_f64 v[12:13], s[42:43], v[28:29]
	v_add_co_u32_e64 v30, s[2:3], v6, v2
	v_fma_f64 v[10:11], s[42:43], v[26:27], -v[10:11]
	v_fmac_f64_e32 v[12:13], s[44:45], v[26:27]
	v_addc_co_u32_e64 v31, s[2:3], v8, v3, s[2:3]
	global_store_dwordx4 v[30:31], v[10:13], off
.LBB138_15:
	s_or_b64 exec, exec, s[4:5]
	v_add_co_u32_e64 v4, s[2:3], 16, v4
	v_addc_co_u32_e64 v5, s[2:3], 0, v5, s[2:3]
	v_cmp_gt_i64_e64 s[2:3], s[36:37], v[4:5]
	s_and_saveexec_b64 s[12:13], s[2:3]
	s_cbranch_execz .LBB138_17
; %bb.16:
	v_mul_f64 v[4:5], s[44:45], v[24:25]
	v_fma_f64 v[10:11], s[42:43], v[22:23], -v[4:5]
	v_mul_f64 v[12:13], s[42:43], v[24:25]
	v_add_co_u32_e64 v4, s[4:5], v6, v2
	v_fmac_f64_e32 v[12:13], s[44:45], v[22:23]
	v_addc_co_u32_e64 v5, s[4:5], v8, v3, s[4:5]
	global_store_dwordx4 v[4:5], v[10:13], off offset:256
.LBB138_17:
	s_or_b64 exec, exec, s[12:13]
	v_add_co_u32_e64 v4, s[4:5], 16, v0
	v_addc_co_u32_e64 v5, s[4:5], 0, v1, s[4:5]
	v_cmp_gt_i64_e64 s[4:5], s[38:39], v[4:5]
	s_and_b64 exec, exec, s[4:5]
	s_cbranch_execz .LBB138_22
; %bb.18:
	s_lshl_b64 s[4:5], s[14:15], 8
	v_mov_b32_e32 v4, s5
	v_add_co_u32_e64 v5, s[4:5], s4, v6
	v_addc_co_u32_e64 v4, s[4:5], v8, v4, s[4:5]
	v_add_co_u32_e64 v2, s[4:5], v5, v2
	v_addc_co_u32_e64 v3, s[4:5], v4, v3, s[4:5]
	s_and_saveexec_b64 s[4:5], vcc
	s_cbranch_execz .LBB138_20
; %bb.19:
	v_mul_f64 v[4:5], s[44:45], v[20:21]
	v_mul_f64 v[10:11], s[42:43], v[20:21]
	v_fma_f64 v[8:9], s[42:43], v[18:19], -v[4:5]
	v_fmac_f64_e32 v[10:11], s[44:45], v[18:19]
	global_store_dwordx4 v[2:3], v[8:11], off
.LBB138_20:
	s_or_b64 exec, exec, s[4:5]
	s_and_b64 exec, exec, s[2:3]
	s_cbranch_execz .LBB138_22
; %bb.21:
	v_mul_f64 v[4:5], s[44:45], v[14:15]
	v_mul_f64 v[10:11], s[42:43], v[14:15]
	v_fma_f64 v[8:9], s[42:43], v[16:17], -v[4:5]
	v_fmac_f64_e32 v[10:11], s[44:45], v[16:17]
	global_store_dwordx4 v[2:3], v[8:11], off offset:256
.LBB138_22:
	s_or_b64 exec, exec, s[6:7]
	s_mov_b64 s[2:3], 0
.LBB138_23:
	s_andn2_b64 vcc, exec, s[2:3]
	s_cbranch_vccnz .LBB138_34
; %bb.24:
	s_and_saveexec_b64 s[2:3], s[0:1]
	s_cbranch_execz .LBB138_34
; %bb.25:
	s_mul_i32 s0, s8, s27
	s_mul_hi_u32 s1, s8, s26
	s_add_i32 s1, s1, s0
	s_mul_i32 s0, s8, s26
	s_lshl_b64 s[0:1], s[0:1], 4
	s_add_u32 s2, s22, s0
	v_mov_b32_e32 v2, s11
	v_add_co_u32_e32 v4, vcc, s10, v7
	s_addc_u32 s3, s23, s1
	v_addc_co_u32_e32 v5, vcc, 0, v2, vcc
	v_mul_lo_u32 v6, v1, s24
	v_mul_lo_u32 v7, v0, s25
	v_mad_u64_u32 v[2:3], s[0:1], v0, s24, 0
	v_add3_u32 v3, v3, v7, v6
	v_mul_lo_u32 v6, v1, s14
	v_mul_lo_u32 v7, v0, s15
	v_mad_u64_u32 v[8:9], s[0:1], v0, s14, 0
	v_lshlrev_b64 v[2:3], 4, v[2:3]
	v_add3_u32 v9, v9, v7, v6
	v_mov_b32_e32 v7, s3
	v_add_co_u32_e64 v6, s[0:1], s2, v2
	v_addc_co_u32_e64 v7, s[0:1], v7, v3, s[0:1]
	v_lshlrev_b64 v[2:3], 4, v[8:9]
	v_mov_b32_e32 v9, s16
	v_add_co_u32_e64 v8, s[0:1], s9, v2
	v_cmp_gt_i64_e32 vcc, s[36:37], v[4:5]
	v_addc_co_u32_e64 v9, s[0:1], v9, v3, s[0:1]
	v_lshlrev_b64 v[2:3], 4, v[4:5]
	s_and_saveexec_b64 s[2:3], vcc
	s_cbranch_execz .LBB138_27
; %bb.26:
	v_add_co_u32_e64 v10, s[0:1], v6, v2
	v_addc_co_u32_e64 v11, s[0:1], v7, v3, s[0:1]
	global_load_dwordx4 v[10:13], v[10:11], off
	v_mul_f64 v[30:31], s[44:45], v[28:29]
	v_mul_f64 v[28:29], s[42:43], v[28:29]
	v_fma_f64 v[30:31], s[42:43], v[26:27], -v[30:31]
	v_fmac_f64_e32 v[28:29], s[44:45], v[26:27]
	s_waitcnt vmcnt(0)
	v_mul_f64 v[26:27], s[20:21], v[12:13]
	v_mul_f64 v[12:13], s[18:19], v[12:13]
	v_fma_f64 v[26:27], s[18:19], v[10:11], -v[26:27]
	v_fmac_f64_e32 v[12:13], s[20:21], v[10:11]
	v_add_f64 v[10:11], v[30:31], v[26:27]
	v_add_co_u32_e64 v26, s[0:1], v8, v2
	v_add_f64 v[12:13], v[28:29], v[12:13]
	v_addc_co_u32_e64 v27, s[0:1], v9, v3, s[0:1]
	global_store_dwordx4 v[26:27], v[10:13], off
.LBB138_27:
	s_or_b64 exec, exec, s[2:3]
	v_add_co_u32_e64 v4, s[0:1], 16, v4
	v_addc_co_u32_e64 v5, s[0:1], 0, v5, s[0:1]
	v_cmp_gt_i64_e64 s[0:1], s[36:37], v[4:5]
	s_and_saveexec_b64 s[4:5], s[0:1]
	s_cbranch_execz .LBB138_29
; %bb.28:
	v_add_co_u32_e64 v4, s[2:3], v6, v2
	v_addc_co_u32_e64 v5, s[2:3], v7, v3, s[2:3]
	global_load_dwordx4 v[10:13], v[4:5], off offset:256
	v_mul_f64 v[4:5], s[44:45], v[24:25]
	v_mul_f64 v[24:25], s[42:43], v[24:25]
	v_fma_f64 v[4:5], s[42:43], v[22:23], -v[4:5]
	v_fmac_f64_e32 v[24:25], s[44:45], v[22:23]
	s_waitcnt vmcnt(0)
	v_mul_f64 v[22:23], s[20:21], v[12:13]
	v_mul_f64 v[12:13], s[18:19], v[12:13]
	v_fma_f64 v[22:23], s[18:19], v[10:11], -v[22:23]
	v_fmac_f64_e32 v[12:13], s[20:21], v[10:11]
	v_add_f64 v[10:11], v[4:5], v[22:23]
	v_add_co_u32_e64 v4, s[2:3], v8, v2
	v_add_f64 v[12:13], v[24:25], v[12:13]
	v_addc_co_u32_e64 v5, s[2:3], v9, v3, s[2:3]
	global_store_dwordx4 v[4:5], v[10:13], off offset:256
.LBB138_29:
	s_or_b64 exec, exec, s[4:5]
	v_add_co_u32_e64 v0, s[2:3], 16, v0
	v_addc_co_u32_e64 v1, s[2:3], 0, v1, s[2:3]
	v_cmp_gt_i64_e64 s[2:3], s[38:39], v[0:1]
	s_and_b64 exec, exec, s[2:3]
	s_cbranch_execz .LBB138_34
; %bb.30:
	s_lshl_b64 s[2:3], s[24:25], 8
	v_mov_b32_e32 v0, s3
	v_add_co_u32_e64 v1, s[2:3], s2, v6
	v_addc_co_u32_e64 v0, s[2:3], v7, v0, s[2:3]
	s_lshl_b64 s[2:3], s[14:15], 8
	v_mov_b32_e32 v4, s3
	v_add_co_u32_e64 v6, s[2:3], s2, v8
	v_addc_co_u32_e64 v7, s[2:3], v9, v4, s[2:3]
	v_add_co_u32_e64 v4, s[2:3], v1, v2
	v_addc_co_u32_e64 v5, s[2:3], v0, v3, s[2:3]
	v_add_co_u32_e64 v0, s[2:3], v6, v2
	v_addc_co_u32_e64 v1, s[2:3], v7, v3, s[2:3]
	s_and_saveexec_b64 s[2:3], vcc
	s_cbranch_execz .LBB138_32
; %bb.31:
	global_load_dwordx4 v[6:9], v[4:5], off
	v_mul_f64 v[2:3], s[44:45], v[20:21]
	v_mul_f64 v[10:11], s[42:43], v[20:21]
	v_fma_f64 v[2:3], s[42:43], v[18:19], -v[2:3]
	v_fmac_f64_e32 v[10:11], s[44:45], v[18:19]
	s_waitcnt vmcnt(0)
	v_mul_f64 v[12:13], s[20:21], v[8:9]
	v_mul_f64 v[8:9], s[18:19], v[8:9]
	v_fma_f64 v[12:13], s[18:19], v[6:7], -v[12:13]
	v_fmac_f64_e32 v[8:9], s[20:21], v[6:7]
	v_add_f64 v[6:7], v[2:3], v[12:13]
	v_add_f64 v[8:9], v[10:11], v[8:9]
	global_store_dwordx4 v[0:1], v[6:9], off
.LBB138_32:
	s_or_b64 exec, exec, s[2:3]
	s_and_b64 exec, exec, s[0:1]
	s_cbranch_execz .LBB138_34
; %bb.33:
	global_load_dwordx4 v[2:5], v[4:5], off offset:256
	v_mul_f64 v[6:7], s[44:45], v[14:15]
	v_mul_f64 v[8:9], s[42:43], v[14:15]
	v_fma_f64 v[6:7], s[42:43], v[16:17], -v[6:7]
	v_fmac_f64_e32 v[8:9], s[44:45], v[16:17]
	s_waitcnt vmcnt(0)
	v_mul_f64 v[10:11], s[20:21], v[4:5]
	v_mul_f64 v[4:5], s[18:19], v[4:5]
	v_fma_f64 v[10:11], s[18:19], v[2:3], -v[10:11]
	v_fmac_f64_e32 v[4:5], s[20:21], v[2:3]
	v_add_f64 v[2:3], v[6:7], v[10:11]
	v_add_f64 v[4:5], v[8:9], v[4:5]
	global_store_dwordx4 v[0:1], v[2:5], off offset:256
.LBB138_34:
	s_endpgm
	.section	.rodata,"a",@progbits
	.p2align	6, 0x0
	.amdhsa_kernel _ZN12_GLOBAL__N_135rocblas_gemm_batched_general_kernelI19rocblas_complex_numIdELi16ELi16ELi32ELi32ELi8ELi32ELi8ELi8ELi32ELc78ELc84EKS2_S3_S2_EEvlllT_PT11_llS6_llS4_PT12_llPT13_lli
		.amdhsa_group_segment_fixed_size 8192
		.amdhsa_private_segment_fixed_size 0
		.amdhsa_kernarg_size 156
		.amdhsa_user_sgpr_count 6
		.amdhsa_user_sgpr_private_segment_buffer 1
		.amdhsa_user_sgpr_dispatch_ptr 0
		.amdhsa_user_sgpr_queue_ptr 0
		.amdhsa_user_sgpr_kernarg_segment_ptr 1
		.amdhsa_user_sgpr_dispatch_id 0
		.amdhsa_user_sgpr_flat_scratch_init 0
		.amdhsa_user_sgpr_kernarg_preload_length 0
		.amdhsa_user_sgpr_kernarg_preload_offset 0
		.amdhsa_user_sgpr_private_segment_size 0
		.amdhsa_uses_dynamic_stack 0
		.amdhsa_system_sgpr_private_segment_wavefront_offset 0
		.amdhsa_system_sgpr_workgroup_id_x 1
		.amdhsa_system_sgpr_workgroup_id_y 1
		.amdhsa_system_sgpr_workgroup_id_z 1
		.amdhsa_system_sgpr_workgroup_info 0
		.amdhsa_system_vgpr_workitem_id 1
		.amdhsa_next_free_vgpr 60
		.amdhsa_next_free_sgpr 52
		.amdhsa_accum_offset 60
		.amdhsa_reserve_vcc 1
		.amdhsa_reserve_flat_scratch 0
		.amdhsa_float_round_mode_32 0
		.amdhsa_float_round_mode_16_64 0
		.amdhsa_float_denorm_mode_32 3
		.amdhsa_float_denorm_mode_16_64 3
		.amdhsa_dx10_clamp 1
		.amdhsa_ieee_mode 1
		.amdhsa_fp16_overflow 0
		.amdhsa_tg_split 0
		.amdhsa_exception_fp_ieee_invalid_op 0
		.amdhsa_exception_fp_denorm_src 0
		.amdhsa_exception_fp_ieee_div_zero 0
		.amdhsa_exception_fp_ieee_overflow 0
		.amdhsa_exception_fp_ieee_underflow 0
		.amdhsa_exception_fp_ieee_inexact 0
		.amdhsa_exception_int_div_zero 0
	.end_amdhsa_kernel
	.section	.text._ZN12_GLOBAL__N_135rocblas_gemm_batched_general_kernelI19rocblas_complex_numIdELi16ELi16ELi32ELi32ELi8ELi32ELi8ELi8ELi32ELc78ELc84EKS2_S3_S2_EEvlllT_PT11_llS6_llS4_PT12_llPT13_lli,"axG",@progbits,_ZN12_GLOBAL__N_135rocblas_gemm_batched_general_kernelI19rocblas_complex_numIdELi16ELi16ELi32ELi32ELi8ELi32ELi8ELi8ELi32ELc78ELc84EKS2_S3_S2_EEvlllT_PT11_llS6_llS4_PT12_llPT13_lli,comdat
.Lfunc_end138:
	.size	_ZN12_GLOBAL__N_135rocblas_gemm_batched_general_kernelI19rocblas_complex_numIdELi16ELi16ELi32ELi32ELi8ELi32ELi8ELi8ELi32ELc78ELc84EKS2_S3_S2_EEvlllT_PT11_llS6_llS4_PT12_llPT13_lli, .Lfunc_end138-_ZN12_GLOBAL__N_135rocblas_gemm_batched_general_kernelI19rocblas_complex_numIdELi16ELi16ELi32ELi32ELi8ELi32ELi8ELi8ELi32ELc78ELc84EKS2_S3_S2_EEvlllT_PT11_llS6_llS4_PT12_llPT13_lli
                                        ; -- End function
	.section	.AMDGPU.csdata,"",@progbits
; Kernel info:
; codeLenInByte = 3884
; NumSgprs: 56
; NumVgprs: 60
; NumAgprs: 0
; TotalNumVgprs: 60
; ScratchSize: 0
; MemoryBound: 0
; FloatMode: 240
; IeeeMode: 1
; LDSByteSize: 8192 bytes/workgroup (compile time only)
; SGPRBlocks: 6
; VGPRBlocks: 7
; NumSGPRsForWavesPerEU: 56
; NumVGPRsForWavesPerEU: 60
; AccumOffset: 60
; Occupancy: 8
; WaveLimiterHint : 0
; COMPUTE_PGM_RSRC2:SCRATCH_EN: 0
; COMPUTE_PGM_RSRC2:USER_SGPR: 6
; COMPUTE_PGM_RSRC2:TRAP_HANDLER: 0
; COMPUTE_PGM_RSRC2:TGID_X_EN: 1
; COMPUTE_PGM_RSRC2:TGID_Y_EN: 1
; COMPUTE_PGM_RSRC2:TGID_Z_EN: 1
; COMPUTE_PGM_RSRC2:TIDIG_COMP_CNT: 1
; COMPUTE_PGM_RSRC3_GFX90A:ACCUM_OFFSET: 14
; COMPUTE_PGM_RSRC3_GFX90A:TG_SPLIT: 0
	.section	.text._ZN12_GLOBAL__N_135rocblas_gemm_batched_general_kernelI19rocblas_complex_numIdELi16ELi16ELi32ELi32ELi8ELi32ELi8ELi8ELi32ELc84ELc84EKS2_S3_S2_EEvlllT_PT11_llS6_llS4_PT12_llPT13_lli,"axG",@progbits,_ZN12_GLOBAL__N_135rocblas_gemm_batched_general_kernelI19rocblas_complex_numIdELi16ELi16ELi32ELi32ELi8ELi32ELi8ELi8ELi32ELc84ELc84EKS2_S3_S2_EEvlllT_PT11_llS6_llS4_PT12_llPT13_lli,comdat
	.globl	_ZN12_GLOBAL__N_135rocblas_gemm_batched_general_kernelI19rocblas_complex_numIdELi16ELi16ELi32ELi32ELi8ELi32ELi8ELi8ELi32ELc84ELc84EKS2_S3_S2_EEvlllT_PT11_llS6_llS4_PT12_llPT13_lli ; -- Begin function _ZN12_GLOBAL__N_135rocblas_gemm_batched_general_kernelI19rocblas_complex_numIdELi16ELi16ELi32ELi32ELi8ELi32ELi8ELi8ELi32ELc84ELc84EKS2_S3_S2_EEvlllT_PT11_llS6_llS4_PT12_llPT13_lli
	.p2align	8
	.type	_ZN12_GLOBAL__N_135rocblas_gemm_batched_general_kernelI19rocblas_complex_numIdELi16ELi16ELi32ELi32ELi8ELi32ELi8ELi8ELi32ELc84ELc84EKS2_S3_S2_EEvlllT_PT11_llS6_llS4_PT12_llPT13_lli,@function
_ZN12_GLOBAL__N_135rocblas_gemm_batched_general_kernelI19rocblas_complex_numIdELi16ELi16ELi32ELi32ELi8ELi32ELi8ELi8ELi32ELc84ELc84EKS2_S3_S2_EEvlllT_PT11_llS6_llS4_PT12_llPT13_lli: ; @_ZN12_GLOBAL__N_135rocblas_gemm_batched_general_kernelI19rocblas_complex_numIdELi16ELi16ELi32ELi32ELi8ELi32ELi8ELi8ELi32ELc84ELc84EKS2_S3_S2_EEvlllT_PT11_llS6_llS4_PT12_llPT13_lli
; %bb.0:
	s_load_dwordx16 s[36:51], s[4:5], 0x0
	s_load_dwordx16 s[12:27], s[4:5], 0x40
	s_mov_b32 s2, s7
	s_ashr_i32 s7, s6, 31
	s_ashr_i32 s3, s2, 31
	s_waitcnt lgkmcnt(0)
	v_cmp_lt_i64_e64 s[0:1], s[40:41], 1
	v_pk_mov_b32 v[26:27], 0, 0
	v_and_b32_e32 v7, 0x3ff, v0
	v_bfe_u32 v9, v0, 10, 10
	s_lshl_b64 s[6:7], s[6:7], 5
	s_lshl_b64 s[10:11], s[2:3], 5
	s_mov_b64 s[28:29], 0
	s_and_b64 vcc, exec, s[0:1]
	v_pk_mov_b32 v[28:29], v[26:27], v[26:27] op_sel:[0,1]
	v_pk_mov_b32 v[22:23], v[26:27], v[26:27] op_sel:[0,1]
	;; [unrolled: 1-line block ×7, first 2 shown]
	s_cbranch_vccnz .LBB139_11
; %bb.1:
	v_lshl_add_u32 v1, v9, 4, v7
	v_lshrrev_b32_e32 v2, 3, v1
	v_mov_b32_e32 v5, s11
	v_add_co_u32_e32 v4, vcc, s10, v2
	v_and_b32_e32 v8, 7, v7
	v_addc_co_u32_e32 v5, vcc, 0, v5, vcc
	v_cmp_gt_i64_e64 s[0:1], s[38:39], v[4:5]
	v_lshlrev_b32_e32 v4, 4, v8
	v_lshrrev_b32_e32 v6, 5, v1
	v_and_b32_e32 v1, 31, v1
	v_lshl_or_b32 v4, v2, 7, v4
	v_mov_b32_e32 v11, s7
	v_or_b32_e32 v10, s6, v1
	v_add_u32_e32 v31, 0x1000, v4
	v_mov_b32_e32 v4, 0x1000
	v_cmp_gt_i64_e32 vcc, s[36:37], v[10:11]
	v_lshlrev_b32_e32 v10, 4, v1
	v_lshl_add_u32 v33, v9, 7, v4
	s_mul_i32 s9, s17, s8
	s_mul_hi_u32 s17, s16, s8
	v_mad_u64_u32 v[4:5], s[30:31], s14, v8, 0
	v_lshl_or_b32 v30, v6, 9, v10
	s_add_i32 s17, s17, s9
	s_mul_i32 s16, s16, s8
	v_mov_b32_e32 v10, v5
	s_lshl_b64 s[16:17], s[16:17], 4
	v_mad_u64_u32 v[10:11], s[30:31], s15, v8, v[10:11]
	s_lshl_b64 s[2:3], s[2:3], 9
	v_mov_b32_e32 v5, v10
	s_add_u32 s2, s2, s16
	v_mov_b32_e32 v0, 0
	v_lshlrev_b64 v[4:5], 4, v[4:5]
	s_addc_u32 s3, s3, s17
	v_mov_b32_e32 v3, v0
	v_mov_b32_e32 v10, s3
	v_add_co_u32_e64 v4, s[2:3], s2, v4
	v_addc_co_u32_e64 v5, s[2:3], v10, v5, s[2:3]
	v_lshlrev_b64 v[2:3], 4, v[2:3]
	v_add_co_u32_e64 v2, s[2:3], v4, v2
	v_addc_co_u32_e64 v3, s[2:3], v5, v3, s[2:3]
	v_mov_b32_e32 v4, s13
	v_add_co_u32_e64 v10, s[2:3], s12, v2
	v_addc_co_u32_e64 v11, s[2:3], v4, v3, s[2:3]
	v_mov_b32_e32 v2, s7
	v_add_co_u32_e64 v1, s[2:3], s6, v1
	v_addc_co_u32_e64 v2, s[2:3], 0, v2, s[2:3]
	v_mul_lo_u32 v5, s48, v2
	v_mad_u64_u32 v[2:3], s[2:3], s48, v1, 0
	v_mul_lo_u32 v4, s49, v1
	s_mul_i32 s2, s51, s8
	s_mul_hi_u32 s3, s50, s8
	v_add3_u32 v3, v3, v5, v4
	s_add_i32 s3, s3, s2
	s_mul_i32 s2, s50, s8
	v_lshlrev_b64 v[2:3], 4, v[2:3]
	s_lshl_b64 s[2:3], s[2:3], 4
	v_mov_b32_e32 v1, s3
	v_add_co_u32_e64 v2, s[2:3], s2, v2
	v_addc_co_u32_e64 v1, s[2:3], v3, v1, s[2:3]
	v_lshlrev_b32_e32 v3, 4, v6
	v_add_co_u32_e64 v2, s[2:3], v2, v3
	v_addc_co_u32_e64 v1, s[2:3], 0, v1, s[2:3]
	v_mov_b32_e32 v3, s47
	v_add_co_u32_e64 v12, s[2:3], s46, v2
	v_addc_co_u32_e64 v13, s[2:3], v3, v1, s[2:3]
	v_pk_mov_b32 v[14:15], 0, 0
	v_lshlrev_b32_e32 v32, 4, v7
	s_lshl_b64 s[12:13], s[14:15], 7
	s_xor_b64 s[2:3], vcc, -1
	s_xor_b64 s[0:1], s[0:1], -1
	v_pk_mov_b32 v[16:17], v[14:15], v[14:15] op_sel:[0,1]
	v_pk_mov_b32 v[20:21], v[14:15], v[14:15] op_sel:[0,1]
	;; [unrolled: 1-line block ×7, first 2 shown]
	s_branch .LBB139_3
.LBB139_2:                              ;   in Loop: Header=BB139_3 Depth=1
	s_or_b64 exec, exec, s[14:15]
	s_waitcnt lgkmcnt(0)
	s_barrier
	ds_read_b128 v[34:37], v32
	ds_read_b128 v[38:41], v33
	ds_read_b128 v[42:45], v33 offset:16
	ds_read_b128 v[46:49], v33 offset:32
	;; [unrolled: 1-line block ×4, first 2 shown]
	s_waitcnt lgkmcnt(4)
	v_mul_f64 v[54:55], v[40:41], v[36:37]
	v_fma_f64 v[54:55], v[38:39], v[34:35], -v[54:55]
	v_mul_f64 v[56:57], v[38:39], v[36:37]
	v_fmac_f64_e32 v[56:57], v[40:41], v[34:35]
	v_add_f64 v[54:55], v[26:27], v[54:55]
	s_waitcnt lgkmcnt(0)
	v_mul_f64 v[26:27], v[40:41], v[52:53]
	v_add_f64 v[56:57], v[28:29], v[56:57]
	v_fma_f64 v[58:59], v[38:39], v[50:51], -v[26:27]
	ds_read_b128 v[26:29], v33 offset:2048
	v_mul_f64 v[38:39], v[38:39], v[52:53]
	v_fmac_f64_e32 v[38:39], v[40:41], v[50:51]
	v_add_f64 v[40:41], v[22:23], v[58:59]
	v_add_f64 v[38:39], v[24:25], v[38:39]
	ds_read_b128 v[22:25], v33 offset:2064
	s_waitcnt lgkmcnt(1)
	v_mul_f64 v[58:59], v[28:29], v[36:37]
	v_fma_f64 v[58:59], v[26:27], v[34:35], -v[58:59]
	v_mul_f64 v[36:37], v[26:27], v[36:37]
	v_fmac_f64_e32 v[36:37], v[28:29], v[34:35]
	v_add_f64 v[34:35], v[18:19], v[58:59]
	v_mul_f64 v[18:19], v[28:29], v[52:53]
	v_add_f64 v[36:37], v[20:21], v[36:37]
	v_fma_f64 v[58:59], v[26:27], v[50:51], -v[18:19]
	v_mul_f64 v[26:27], v[26:27], v[52:53]
	ds_read_b128 v[18:21], v32 offset:512
	v_fmac_f64_e32 v[26:27], v[28:29], v[50:51]
	v_add_f64 v[28:29], v[16:17], v[58:59]
	v_add_f64 v[26:27], v[14:15], v[26:27]
	ds_read_b128 v[14:17], v32 offset:768
	s_waitcnt lgkmcnt(1)
	v_mul_f64 v[50:51], v[44:45], v[20:21]
	v_fma_f64 v[50:51], v[42:43], v[18:19], -v[50:51]
	v_add_f64 v[50:51], v[54:55], v[50:51]
	v_mul_f64 v[52:53], v[42:43], v[20:21]
	s_waitcnt lgkmcnt(0)
	v_mul_f64 v[54:55], v[44:45], v[16:17]
	v_fma_f64 v[54:55], v[42:43], v[14:15], -v[54:55]
	v_mul_f64 v[42:43], v[42:43], v[16:17]
	v_fmac_f64_e32 v[42:43], v[44:45], v[14:15]
	v_add_f64 v[38:39], v[38:39], v[42:43]
	v_mul_f64 v[42:43], v[24:25], v[20:21]
	v_mul_f64 v[20:21], v[22:23], v[20:21]
	v_fmac_f64_e32 v[52:53], v[44:45], v[18:19]
	v_fma_f64 v[42:43], v[22:23], v[18:19], -v[42:43]
	v_fmac_f64_e32 v[20:21], v[24:25], v[18:19]
	v_mul_f64 v[18:19], v[24:25], v[16:17]
	v_add_f64 v[44:45], v[36:37], v[20:21]
	v_fma_f64 v[20:21], v[22:23], v[14:15], -v[18:19]
	v_mul_f64 v[22:23], v[22:23], v[16:17]
	ds_read_b128 v[16:19], v32 offset:1024
	v_fmac_f64_e32 v[22:23], v[24:25], v[14:15]
	v_add_f64 v[40:41], v[40:41], v[54:55]
	v_add_f64 v[28:29], v[28:29], v[20:21]
	;; [unrolled: 1-line block ×3, first 2 shown]
	ds_read_b128 v[20:23], v32 offset:1280
	s_waitcnt lgkmcnt(1)
	v_mul_f64 v[24:25], v[46:47], v[18:19]
	v_add_f64 v[52:53], v[56:57], v[52:53]
	v_fmac_f64_e32 v[24:25], v[48:49], v[16:17]
	v_add_f64 v[52:53], v[52:53], v[24:25]
	ds_read_b128 v[24:27], v33 offset:2080
	v_mul_f64 v[14:15], v[48:49], v[18:19]
	v_fma_f64 v[14:15], v[46:47], v[16:17], -v[14:15]
	v_add_f64 v[42:43], v[34:35], v[42:43]
	v_add_f64 v[50:51], v[50:51], v[14:15]
	s_waitcnt lgkmcnt(1)
	v_mul_f64 v[14:15], v[48:49], v[22:23]
	v_mul_f64 v[34:35], v[46:47], v[22:23]
	v_fma_f64 v[14:15], v[46:47], v[20:21], -v[14:15]
	v_fmac_f64_e32 v[34:35], v[48:49], v[20:21]
	v_add_f64 v[40:41], v[40:41], v[14:15]
	v_add_f64 v[38:39], v[38:39], v[34:35]
	ds_read_b128 v[34:37], v33 offset:2096
	s_waitcnt lgkmcnt(1)
	v_mul_f64 v[14:15], v[26:27], v[18:19]
	v_fma_f64 v[14:15], v[24:25], v[16:17], -v[14:15]
	v_mul_f64 v[18:19], v[24:25], v[18:19]
	v_fmac_f64_e32 v[18:19], v[26:27], v[16:17]
	v_add_f64 v[42:43], v[42:43], v[14:15]
	v_mul_f64 v[14:15], v[26:27], v[22:23]
	v_add_f64 v[44:45], v[44:45], v[18:19]
	v_fma_f64 v[18:19], v[24:25], v[20:21], -v[14:15]
	v_mul_f64 v[22:23], v[24:25], v[22:23]
	ds_read_b128 v[14:17], v32 offset:1536
	v_fmac_f64_e32 v[22:23], v[26:27], v[20:21]
	v_add_f64 v[24:25], v[28:29], v[18:19]
	ds_read_b128 v[18:21], v32 offset:1792
	v_add_f64 v[22:23], v[54:55], v[22:23]
	s_waitcnt lgkmcnt(1)
	v_mul_f64 v[26:27], v[4:5], v[16:17]
	v_fma_f64 v[26:27], v[2:3], v[14:15], -v[26:27]
	v_mul_f64 v[28:29], v[2:3], v[16:17]
	s_waitcnt lgkmcnt(0)
	v_mul_f64 v[46:47], v[4:5], v[20:21]
	v_fma_f64 v[46:47], v[2:3], v[18:19], -v[46:47]
	v_mul_f64 v[2:3], v[2:3], v[20:21]
	v_fmac_f64_e32 v[2:3], v[4:5], v[18:19]
	v_add_f64 v[38:39], v[38:39], v[2:3]
	v_mul_f64 v[2:3], v[36:37], v[16:17]
	v_fmac_f64_e32 v[28:29], v[4:5], v[14:15]
	v_fma_f64 v[2:3], v[34:35], v[14:15], -v[2:3]
	v_mul_f64 v[4:5], v[34:35], v[16:17]
	v_fmac_f64_e32 v[4:5], v[36:37], v[14:15]
	v_add_f64 v[42:43], v[42:43], v[2:3]
	v_mul_f64 v[2:3], v[36:37], v[20:21]
	v_add_f64 v[40:41], v[40:41], v[46:47]
	v_add_f64 v[44:45], v[44:45], v[4:5]
	v_fma_f64 v[46:47], v[34:35], v[18:19], -v[2:3]
	ds_read_b128 v[2:5], v33 offset:64
	ds_read_b128 v[14:17], v32 offset:2048
	v_mul_f64 v[20:21], v[34:35], v[20:21]
	v_fmac_f64_e32 v[20:21], v[36:37], v[18:19]
	v_add_f64 v[34:35], v[24:25], v[46:47]
	v_add_f64 v[36:37], v[22:23], v[20:21]
	ds_read_b128 v[18:21], v32 offset:2304
	ds_read_b128 v[22:25], v33 offset:80
	s_waitcnt lgkmcnt(2)
	v_mul_f64 v[46:47], v[4:5], v[16:17]
	v_add_f64 v[26:27], v[50:51], v[26:27]
	v_fma_f64 v[46:47], v[2:3], v[14:15], -v[46:47]
	v_mul_f64 v[48:49], v[2:3], v[16:17]
	v_add_f64 v[28:29], v[52:53], v[28:29]
	v_fmac_f64_e32 v[48:49], v[4:5], v[14:15]
	v_add_f64 v[46:47], v[26:27], v[46:47]
	s_waitcnt lgkmcnt(1)
	v_mul_f64 v[26:27], v[4:5], v[20:21]
	v_add_f64 v[48:49], v[28:29], v[48:49]
	v_fma_f64 v[50:51], v[2:3], v[18:19], -v[26:27]
	ds_read_b128 v[26:29], v33 offset:2112
	v_mul_f64 v[2:3], v[2:3], v[20:21]
	v_fmac_f64_e32 v[2:3], v[4:5], v[18:19]
	v_add_f64 v[40:41], v[40:41], v[50:51]
	v_add_f64 v[38:39], v[38:39], v[2:3]
	ds_read_b128 v[2:5], v33 offset:2128
	s_waitcnt lgkmcnt(1)
	v_mul_f64 v[50:51], v[28:29], v[16:17]
	v_mul_f64 v[16:17], v[26:27], v[16:17]
	v_fma_f64 v[50:51], v[26:27], v[14:15], -v[50:51]
	v_fmac_f64_e32 v[16:17], v[28:29], v[14:15]
	v_mul_f64 v[14:15], v[28:29], v[20:21]
	v_add_f64 v[42:43], v[42:43], v[50:51]
	v_add_f64 v[44:45], v[44:45], v[16:17]
	v_fma_f64 v[50:51], v[26:27], v[18:19], -v[14:15]
	v_mul_f64 v[20:21], v[26:27], v[20:21]
	ds_read_b128 v[14:17], v32 offset:2560
	v_fmac_f64_e32 v[20:21], v[28:29], v[18:19]
	v_add_f64 v[28:29], v[36:37], v[20:21]
	ds_read_b128 v[18:21], v32 offset:2816
	v_add_f64 v[26:27], v[34:35], v[50:51]
	s_waitcnt lgkmcnt(1)
	v_mul_f64 v[34:35], v[24:25], v[16:17]
	v_fma_f64 v[34:35], v[22:23], v[14:15], -v[34:35]
	v_add_f64 v[34:35], v[46:47], v[34:35]
	s_waitcnt lgkmcnt(0)
	v_mul_f64 v[46:47], v[24:25], v[20:21]
	v_mul_f64 v[36:37], v[22:23], v[16:17]
	v_fma_f64 v[46:47], v[22:23], v[18:19], -v[46:47]
	v_mul_f64 v[22:23], v[22:23], v[20:21]
	v_fmac_f64_e32 v[22:23], v[24:25], v[18:19]
	v_add_f64 v[38:39], v[38:39], v[22:23]
	v_mul_f64 v[22:23], v[4:5], v[16:17]
	v_mul_f64 v[16:17], v[2:3], v[16:17]
	v_fmac_f64_e32 v[36:37], v[24:25], v[14:15]
	v_fma_f64 v[22:23], v[2:3], v[14:15], -v[22:23]
	v_fmac_f64_e32 v[16:17], v[4:5], v[14:15]
	v_mul_f64 v[14:15], v[4:5], v[20:21]
	v_mul_f64 v[20:21], v[2:3], v[20:21]
	v_add_f64 v[42:43], v[42:43], v[22:23]
	v_add_f64 v[44:45], v[44:45], v[16:17]
	v_fma_f64 v[22:23], v[2:3], v[18:19], -v[14:15]
	v_fmac_f64_e32 v[20:21], v[4:5], v[18:19]
	ds_read_b128 v[2:5], v33 offset:96
	ds_read_b128 v[14:17], v32 offset:3072
	v_add_f64 v[36:37], v[48:49], v[36:37]
	v_add_f64 v[40:41], v[40:41], v[46:47]
	;; [unrolled: 1-line block ×4, first 2 shown]
	ds_read_b128 v[18:21], v32 offset:3328
	ds_read_b128 v[22:25], v33 offset:112
	s_waitcnt lgkmcnt(2)
	v_mul_f64 v[26:27], v[4:5], v[16:17]
	v_fma_f64 v[26:27], v[2:3], v[14:15], -v[26:27]
	v_mul_f64 v[28:29], v[2:3], v[16:17]
	v_fmac_f64_e32 v[28:29], v[4:5], v[14:15]
	v_add_f64 v[50:51], v[34:35], v[26:27]
	s_waitcnt lgkmcnt(1)
	v_mul_f64 v[26:27], v[4:5], v[20:21]
	v_add_f64 v[52:53], v[36:37], v[28:29]
	v_fma_f64 v[34:35], v[2:3], v[18:19], -v[26:27]
	ds_read_b128 v[26:29], v33 offset:2144
	v_mul_f64 v[2:3], v[2:3], v[20:21]
	v_fmac_f64_e32 v[2:3], v[4:5], v[18:19]
	v_add_f64 v[40:41], v[40:41], v[34:35]
	v_add_f64 v[38:39], v[38:39], v[2:3]
	ds_read_b128 v[2:5], v33 offset:2160
	s_waitcnt lgkmcnt(1)
	v_mul_f64 v[34:35], v[28:29], v[16:17]
	v_mul_f64 v[16:17], v[26:27], v[16:17]
	v_fma_f64 v[34:35], v[26:27], v[14:15], -v[34:35]
	v_fmac_f64_e32 v[16:17], v[28:29], v[14:15]
	v_mul_f64 v[14:15], v[28:29], v[20:21]
	v_add_f64 v[42:43], v[42:43], v[34:35]
	v_add_f64 v[44:45], v[44:45], v[16:17]
	v_fma_f64 v[34:35], v[26:27], v[18:19], -v[14:15]
	ds_read_b128 v[14:17], v32 offset:3584
	v_add_f64 v[46:47], v[46:47], v[34:35]
	ds_read_b128 v[34:37], v32 offset:3840
	v_mul_f64 v[20:21], v[26:27], v[20:21]
	v_fmac_f64_e32 v[20:21], v[28:29], v[18:19]
	s_waitcnt lgkmcnt(1)
	v_mul_f64 v[18:19], v[24:25], v[16:17]
	v_fma_f64 v[18:19], v[22:23], v[14:15], -v[18:19]
	v_add_f64 v[48:49], v[48:49], v[20:21]
	v_mul_f64 v[20:21], v[22:23], v[16:17]
	v_add_f64 v[26:27], v[50:51], v[18:19]
	s_waitcnt lgkmcnt(0)
	v_mul_f64 v[18:19], v[24:25], v[36:37]
	v_fmac_f64_e32 v[20:21], v[24:25], v[14:15]
	v_fma_f64 v[18:19], v[22:23], v[34:35], -v[18:19]
	v_add_f64 v[28:29], v[52:53], v[20:21]
	v_mul_f64 v[20:21], v[22:23], v[36:37]
	v_add_f64 v[22:23], v[40:41], v[18:19]
	v_mul_f64 v[18:19], v[4:5], v[16:17]
	v_mul_f64 v[16:17], v[2:3], v[16:17]
	v_fma_f64 v[18:19], v[2:3], v[14:15], -v[18:19]
	v_fmac_f64_e32 v[16:17], v[4:5], v[14:15]
	v_mul_f64 v[14:15], v[4:5], v[36:37]
	v_mov_b32_e32 v1, s13
	v_add_co_u32_e32 v10, vcc, s12, v10
	v_fma_f64 v[14:15], v[2:3], v[34:35], -v[14:15]
	v_mul_f64 v[2:3], v[2:3], v[36:37]
	v_addc_co_u32_e32 v11, vcc, v11, v1, vcc
	v_fmac_f64_e32 v[20:21], v[24:25], v[34:35]
	v_fmac_f64_e32 v[2:3], v[4:5], v[34:35]
	s_add_u32 s28, s28, 8
	v_add_co_u32_e32 v12, vcc, 0x80, v12
	v_add_f64 v[24:25], v[38:39], v[20:21]
	v_add_f64 v[20:21], v[44:45], v[16:17]
	;; [unrolled: 1-line block ×4, first 2 shown]
	s_addc_u32 s29, s29, 0
	v_addc_co_u32_e32 v13, vcc, 0, v13, vcc
	v_pk_mov_b32 v[2:3], s[40:41], s[40:41] op_sel:[0,1]
	v_cmp_lt_i64_e32 vcc, s[28:29], v[2:3]
	v_add_f64 v[18:19], v[42:43], v[18:19]
	s_barrier
	s_cbranch_vccz .LBB139_11
.LBB139_3:                              ; =>This Inner Loop Header: Depth=1
	v_mov_b32_e32 v1, s29
	v_add_co_u32_e32 v2, vcc, s28, v6
	v_addc_co_u32_e32 v3, vcc, 0, v1, vcc
	v_cmp_le_i64_e32 vcc, s[40:41], v[2:3]
	s_or_b64 s[14:15], s[2:3], vcc
	s_and_saveexec_b64 s[16:17], s[14:15]
	s_xor_b64 s[14:15], exec, s[16:17]
	s_cbranch_execz .LBB139_5
; %bb.4:                                ;   in Loop: Header=BB139_3 Depth=1
	v_mov_b32_e32 v1, v0
	v_mov_b32_e32 v2, v0
	;; [unrolled: 1-line block ×3, first 2 shown]
	ds_write_b128 v30, v[0:3]
.LBB139_5:                              ;   in Loop: Header=BB139_3 Depth=1
	s_andn2_saveexec_b64 s[14:15], s[14:15]
	s_cbranch_execz .LBB139_7
; %bb.6:                                ;   in Loop: Header=BB139_3 Depth=1
	global_load_dwordx4 v[2:5], v[12:13], off
	s_waitcnt vmcnt(0)
	ds_write2_b64 v30, v[2:3], v[4:5] offset1:1
.LBB139_7:                              ;   in Loop: Header=BB139_3 Depth=1
	s_or_b64 exec, exec, s[14:15]
	v_mov_b32_e32 v1, s29
	v_add_co_u32_e32 v2, vcc, s28, v8
	v_addc_co_u32_e32 v3, vcc, 0, v1, vcc
	v_cmp_le_i64_e32 vcc, s[40:41], v[2:3]
	s_or_b64 s[14:15], vcc, s[0:1]
	s_and_saveexec_b64 s[16:17], s[14:15]
	s_xor_b64 s[14:15], exec, s[16:17]
	s_cbranch_execz .LBB139_9
; %bb.8:                                ;   in Loop: Header=BB139_3 Depth=1
	v_mov_b32_e32 v1, v0
	v_mov_b32_e32 v2, v0
	;; [unrolled: 1-line block ×3, first 2 shown]
	ds_write_b128 v31, v[0:3]
.LBB139_9:                              ;   in Loop: Header=BB139_3 Depth=1
	s_andn2_saveexec_b64 s[14:15], s[14:15]
	s_cbranch_execz .LBB139_2
; %bb.10:                               ;   in Loop: Header=BB139_3 Depth=1
	global_load_dwordx4 v[2:5], v[10:11], off
	s_waitcnt vmcnt(0)
	ds_write2_b64 v31, v[2:3], v[4:5] offset1:1
	s_branch .LBB139_2
.LBB139_11:
	s_load_dwordx2 s[0:1], s[4:5], 0x90
	s_load_dwordx4 s[12:15], s[4:5], 0x80
	v_mov_b32_e32 v1, s11
	v_add_co_u32_e32 v0, vcc, s10, v9
	s_waitcnt lgkmcnt(0)
	s_mul_i32 s1, s8, s1
	s_mul_hi_u32 s2, s8, s0
	s_mul_i32 s0, s8, s0
	s_add_i32 s1, s2, s1
	s_lshl_b64 s[0:1], s[0:1], 4
	s_add_u32 s9, s12, s0
	s_addc_u32 s16, s13, s1
	v_cmp_neq_f64_e64 s[0:1], s[18:19], 0
	v_cmp_neq_f64_e64 s[2:3], s[20:21], 0
	v_addc_co_u32_e32 v1, vcc, 0, v1, vcc
	s_or_b64 s[4:5], s[0:1], s[2:3]
	v_cmp_gt_i64_e64 s[0:1], s[38:39], v[0:1]
	s_mov_b64 s[2:3], -1
	s_and_b64 vcc, exec, s[4:5]
	s_cbranch_vccnz .LBB139_23
; %bb.12:
	s_and_saveexec_b64 s[10:11], s[0:1]
	s_cbranch_execz .LBB139_22
; %bb.13:
	v_mov_b32_e32 v2, s7
	v_add_co_u32_e32 v4, vcc, s6, v7
	v_addc_co_u32_e32 v5, vcc, 0, v2, vcc
	v_mul_lo_u32 v6, v1, s14
	v_mul_lo_u32 v8, v0, s15
	v_mad_u64_u32 v[2:3], s[2:3], v0, s14, 0
	v_add3_u32 v3, v3, v8, v6
	v_lshlrev_b64 v[2:3], 4, v[2:3]
	v_mov_b32_e32 v8, s16
	v_add_co_u32_e64 v6, s[2:3], s9, v2
	v_cmp_gt_i64_e32 vcc, s[36:37], v[4:5]
	v_addc_co_u32_e64 v8, s[2:3], v8, v3, s[2:3]
	v_lshlrev_b64 v[2:3], 4, v[4:5]
	s_and_saveexec_b64 s[4:5], vcc
	s_cbranch_execz .LBB139_15
; %bb.14:
	v_mul_f64 v[10:11], s[44:45], v[28:29]
	v_mul_f64 v[12:13], s[42:43], v[28:29]
	v_add_co_u32_e64 v30, s[2:3], v6, v2
	v_fma_f64 v[10:11], s[42:43], v[26:27], -v[10:11]
	v_fmac_f64_e32 v[12:13], s[44:45], v[26:27]
	v_addc_co_u32_e64 v31, s[2:3], v8, v3, s[2:3]
	global_store_dwordx4 v[30:31], v[10:13], off
.LBB139_15:
	s_or_b64 exec, exec, s[4:5]
	v_add_co_u32_e64 v4, s[2:3], 16, v4
	v_addc_co_u32_e64 v5, s[2:3], 0, v5, s[2:3]
	v_cmp_gt_i64_e64 s[2:3], s[36:37], v[4:5]
	s_and_saveexec_b64 s[12:13], s[2:3]
	s_cbranch_execz .LBB139_17
; %bb.16:
	v_mul_f64 v[4:5], s[44:45], v[24:25]
	v_fma_f64 v[10:11], s[42:43], v[22:23], -v[4:5]
	v_mul_f64 v[12:13], s[42:43], v[24:25]
	v_add_co_u32_e64 v4, s[4:5], v6, v2
	v_fmac_f64_e32 v[12:13], s[44:45], v[22:23]
	v_addc_co_u32_e64 v5, s[4:5], v8, v3, s[4:5]
	global_store_dwordx4 v[4:5], v[10:13], off offset:256
.LBB139_17:
	s_or_b64 exec, exec, s[12:13]
	v_add_co_u32_e64 v4, s[4:5], 16, v0
	v_addc_co_u32_e64 v5, s[4:5], 0, v1, s[4:5]
	v_cmp_gt_i64_e64 s[4:5], s[38:39], v[4:5]
	s_and_b64 exec, exec, s[4:5]
	s_cbranch_execz .LBB139_22
; %bb.18:
	s_lshl_b64 s[4:5], s[14:15], 8
	v_mov_b32_e32 v4, s5
	v_add_co_u32_e64 v5, s[4:5], s4, v6
	v_addc_co_u32_e64 v4, s[4:5], v8, v4, s[4:5]
	v_add_co_u32_e64 v2, s[4:5], v5, v2
	v_addc_co_u32_e64 v3, s[4:5], v4, v3, s[4:5]
	s_and_saveexec_b64 s[4:5], vcc
	s_cbranch_execz .LBB139_20
; %bb.19:
	v_mul_f64 v[4:5], s[44:45], v[20:21]
	v_mul_f64 v[10:11], s[42:43], v[20:21]
	v_fma_f64 v[8:9], s[42:43], v[18:19], -v[4:5]
	v_fmac_f64_e32 v[10:11], s[44:45], v[18:19]
	global_store_dwordx4 v[2:3], v[8:11], off
.LBB139_20:
	s_or_b64 exec, exec, s[4:5]
	s_and_b64 exec, exec, s[2:3]
	s_cbranch_execz .LBB139_22
; %bb.21:
	v_mul_f64 v[4:5], s[44:45], v[14:15]
	v_mul_f64 v[10:11], s[42:43], v[14:15]
	v_fma_f64 v[8:9], s[42:43], v[16:17], -v[4:5]
	v_fmac_f64_e32 v[10:11], s[44:45], v[16:17]
	global_store_dwordx4 v[2:3], v[8:11], off offset:256
.LBB139_22:
	s_or_b64 exec, exec, s[10:11]
	s_mov_b64 s[2:3], 0
.LBB139_23:
	s_andn2_b64 vcc, exec, s[2:3]
	s_cbranch_vccnz .LBB139_34
; %bb.24:
	s_and_saveexec_b64 s[2:3], s[0:1]
	s_cbranch_execz .LBB139_34
; %bb.25:
	s_mul_i32 s0, s8, s27
	s_mul_hi_u32 s1, s8, s26
	s_add_i32 s1, s1, s0
	s_mul_i32 s0, s8, s26
	s_lshl_b64 s[0:1], s[0:1], 4
	s_add_u32 s2, s22, s0
	v_mov_b32_e32 v2, s7
	v_add_co_u32_e32 v4, vcc, s6, v7
	s_addc_u32 s3, s23, s1
	v_addc_co_u32_e32 v5, vcc, 0, v2, vcc
	v_mul_lo_u32 v6, v1, s24
	v_mul_lo_u32 v7, v0, s25
	v_mad_u64_u32 v[2:3], s[0:1], v0, s24, 0
	v_add3_u32 v3, v3, v7, v6
	v_mul_lo_u32 v6, v1, s14
	v_mul_lo_u32 v7, v0, s15
	v_mad_u64_u32 v[8:9], s[0:1], v0, s14, 0
	v_lshlrev_b64 v[2:3], 4, v[2:3]
	v_add3_u32 v9, v9, v7, v6
	v_mov_b32_e32 v7, s3
	v_add_co_u32_e64 v6, s[0:1], s2, v2
	v_addc_co_u32_e64 v7, s[0:1], v7, v3, s[0:1]
	v_lshlrev_b64 v[2:3], 4, v[8:9]
	v_mov_b32_e32 v9, s16
	v_add_co_u32_e64 v8, s[0:1], s9, v2
	v_cmp_gt_i64_e32 vcc, s[36:37], v[4:5]
	v_addc_co_u32_e64 v9, s[0:1], v9, v3, s[0:1]
	v_lshlrev_b64 v[2:3], 4, v[4:5]
	s_and_saveexec_b64 s[2:3], vcc
	s_cbranch_execz .LBB139_27
; %bb.26:
	v_add_co_u32_e64 v10, s[0:1], v6, v2
	v_addc_co_u32_e64 v11, s[0:1], v7, v3, s[0:1]
	global_load_dwordx4 v[10:13], v[10:11], off
	v_mul_f64 v[30:31], s[44:45], v[28:29]
	v_mul_f64 v[28:29], s[42:43], v[28:29]
	v_fma_f64 v[30:31], s[42:43], v[26:27], -v[30:31]
	v_fmac_f64_e32 v[28:29], s[44:45], v[26:27]
	s_waitcnt vmcnt(0)
	v_mul_f64 v[26:27], s[20:21], v[12:13]
	v_mul_f64 v[12:13], s[18:19], v[12:13]
	v_fma_f64 v[26:27], s[18:19], v[10:11], -v[26:27]
	v_fmac_f64_e32 v[12:13], s[20:21], v[10:11]
	v_add_f64 v[10:11], v[30:31], v[26:27]
	v_add_co_u32_e64 v26, s[0:1], v8, v2
	v_add_f64 v[12:13], v[28:29], v[12:13]
	v_addc_co_u32_e64 v27, s[0:1], v9, v3, s[0:1]
	global_store_dwordx4 v[26:27], v[10:13], off
.LBB139_27:
	s_or_b64 exec, exec, s[2:3]
	v_add_co_u32_e64 v4, s[0:1], 16, v4
	v_addc_co_u32_e64 v5, s[0:1], 0, v5, s[0:1]
	v_cmp_gt_i64_e64 s[0:1], s[36:37], v[4:5]
	s_and_saveexec_b64 s[4:5], s[0:1]
	s_cbranch_execz .LBB139_29
; %bb.28:
	v_add_co_u32_e64 v4, s[2:3], v6, v2
	v_addc_co_u32_e64 v5, s[2:3], v7, v3, s[2:3]
	global_load_dwordx4 v[10:13], v[4:5], off offset:256
	v_mul_f64 v[4:5], s[44:45], v[24:25]
	v_mul_f64 v[24:25], s[42:43], v[24:25]
	v_fma_f64 v[4:5], s[42:43], v[22:23], -v[4:5]
	v_fmac_f64_e32 v[24:25], s[44:45], v[22:23]
	s_waitcnt vmcnt(0)
	v_mul_f64 v[22:23], s[20:21], v[12:13]
	v_mul_f64 v[12:13], s[18:19], v[12:13]
	v_fma_f64 v[22:23], s[18:19], v[10:11], -v[22:23]
	v_fmac_f64_e32 v[12:13], s[20:21], v[10:11]
	v_add_f64 v[10:11], v[4:5], v[22:23]
	v_add_co_u32_e64 v4, s[2:3], v8, v2
	v_add_f64 v[12:13], v[24:25], v[12:13]
	v_addc_co_u32_e64 v5, s[2:3], v9, v3, s[2:3]
	global_store_dwordx4 v[4:5], v[10:13], off offset:256
.LBB139_29:
	s_or_b64 exec, exec, s[4:5]
	v_add_co_u32_e64 v0, s[2:3], 16, v0
	v_addc_co_u32_e64 v1, s[2:3], 0, v1, s[2:3]
	v_cmp_gt_i64_e64 s[2:3], s[38:39], v[0:1]
	s_and_b64 exec, exec, s[2:3]
	s_cbranch_execz .LBB139_34
; %bb.30:
	s_lshl_b64 s[2:3], s[24:25], 8
	v_mov_b32_e32 v0, s3
	v_add_co_u32_e64 v1, s[2:3], s2, v6
	v_addc_co_u32_e64 v0, s[2:3], v7, v0, s[2:3]
	s_lshl_b64 s[2:3], s[14:15], 8
	v_mov_b32_e32 v4, s3
	v_add_co_u32_e64 v6, s[2:3], s2, v8
	v_addc_co_u32_e64 v7, s[2:3], v9, v4, s[2:3]
	v_add_co_u32_e64 v4, s[2:3], v1, v2
	v_addc_co_u32_e64 v5, s[2:3], v0, v3, s[2:3]
	;; [unrolled: 2-line block ×3, first 2 shown]
	s_and_saveexec_b64 s[2:3], vcc
	s_cbranch_execz .LBB139_32
; %bb.31:
	global_load_dwordx4 v[6:9], v[4:5], off
	v_mul_f64 v[2:3], s[44:45], v[20:21]
	v_mul_f64 v[10:11], s[42:43], v[20:21]
	v_fma_f64 v[2:3], s[42:43], v[18:19], -v[2:3]
	v_fmac_f64_e32 v[10:11], s[44:45], v[18:19]
	s_waitcnt vmcnt(0)
	v_mul_f64 v[12:13], s[20:21], v[8:9]
	v_mul_f64 v[8:9], s[18:19], v[8:9]
	v_fma_f64 v[12:13], s[18:19], v[6:7], -v[12:13]
	v_fmac_f64_e32 v[8:9], s[20:21], v[6:7]
	v_add_f64 v[6:7], v[2:3], v[12:13]
	v_add_f64 v[8:9], v[10:11], v[8:9]
	global_store_dwordx4 v[0:1], v[6:9], off
.LBB139_32:
	s_or_b64 exec, exec, s[2:3]
	s_and_b64 exec, exec, s[0:1]
	s_cbranch_execz .LBB139_34
; %bb.33:
	global_load_dwordx4 v[2:5], v[4:5], off offset:256
	v_mul_f64 v[6:7], s[44:45], v[14:15]
	v_mul_f64 v[8:9], s[42:43], v[14:15]
	v_fma_f64 v[6:7], s[42:43], v[16:17], -v[6:7]
	v_fmac_f64_e32 v[8:9], s[44:45], v[16:17]
	s_waitcnt vmcnt(0)
	v_mul_f64 v[10:11], s[20:21], v[4:5]
	v_mul_f64 v[4:5], s[18:19], v[4:5]
	v_fma_f64 v[10:11], s[18:19], v[2:3], -v[10:11]
	v_fmac_f64_e32 v[4:5], s[20:21], v[2:3]
	v_add_f64 v[2:3], v[6:7], v[10:11]
	v_add_f64 v[4:5], v[8:9], v[4:5]
	global_store_dwordx4 v[0:1], v[2:5], off offset:256
.LBB139_34:
	s_endpgm
	.section	.rodata,"a",@progbits
	.p2align	6, 0x0
	.amdhsa_kernel _ZN12_GLOBAL__N_135rocblas_gemm_batched_general_kernelI19rocblas_complex_numIdELi16ELi16ELi32ELi32ELi8ELi32ELi8ELi8ELi32ELc84ELc84EKS2_S3_S2_EEvlllT_PT11_llS6_llS4_PT12_llPT13_lli
		.amdhsa_group_segment_fixed_size 8192
		.amdhsa_private_segment_fixed_size 0
		.amdhsa_kernarg_size 156
		.amdhsa_user_sgpr_count 6
		.amdhsa_user_sgpr_private_segment_buffer 1
		.amdhsa_user_sgpr_dispatch_ptr 0
		.amdhsa_user_sgpr_queue_ptr 0
		.amdhsa_user_sgpr_kernarg_segment_ptr 1
		.amdhsa_user_sgpr_dispatch_id 0
		.amdhsa_user_sgpr_flat_scratch_init 0
		.amdhsa_user_sgpr_kernarg_preload_length 0
		.amdhsa_user_sgpr_kernarg_preload_offset 0
		.amdhsa_user_sgpr_private_segment_size 0
		.amdhsa_uses_dynamic_stack 0
		.amdhsa_system_sgpr_private_segment_wavefront_offset 0
		.amdhsa_system_sgpr_workgroup_id_x 1
		.amdhsa_system_sgpr_workgroup_id_y 1
		.amdhsa_system_sgpr_workgroup_id_z 1
		.amdhsa_system_sgpr_workgroup_info 0
		.amdhsa_system_vgpr_workitem_id 1
		.amdhsa_next_free_vgpr 60
		.amdhsa_next_free_sgpr 52
		.amdhsa_accum_offset 60
		.amdhsa_reserve_vcc 1
		.amdhsa_reserve_flat_scratch 0
		.amdhsa_float_round_mode_32 0
		.amdhsa_float_round_mode_16_64 0
		.amdhsa_float_denorm_mode_32 3
		.amdhsa_float_denorm_mode_16_64 3
		.amdhsa_dx10_clamp 1
		.amdhsa_ieee_mode 1
		.amdhsa_fp16_overflow 0
		.amdhsa_tg_split 0
		.amdhsa_exception_fp_ieee_invalid_op 0
		.amdhsa_exception_fp_denorm_src 0
		.amdhsa_exception_fp_ieee_div_zero 0
		.amdhsa_exception_fp_ieee_overflow 0
		.amdhsa_exception_fp_ieee_underflow 0
		.amdhsa_exception_fp_ieee_inexact 0
		.amdhsa_exception_int_div_zero 0
	.end_amdhsa_kernel
	.section	.text._ZN12_GLOBAL__N_135rocblas_gemm_batched_general_kernelI19rocblas_complex_numIdELi16ELi16ELi32ELi32ELi8ELi32ELi8ELi8ELi32ELc84ELc84EKS2_S3_S2_EEvlllT_PT11_llS6_llS4_PT12_llPT13_lli,"axG",@progbits,_ZN12_GLOBAL__N_135rocblas_gemm_batched_general_kernelI19rocblas_complex_numIdELi16ELi16ELi32ELi32ELi8ELi32ELi8ELi8ELi32ELc84ELc84EKS2_S3_S2_EEvlllT_PT11_llS6_llS4_PT12_llPT13_lli,comdat
.Lfunc_end139:
	.size	_ZN12_GLOBAL__N_135rocblas_gemm_batched_general_kernelI19rocblas_complex_numIdELi16ELi16ELi32ELi32ELi8ELi32ELi8ELi8ELi32ELc84ELc84EKS2_S3_S2_EEvlllT_PT11_llS6_llS4_PT12_llPT13_lli, .Lfunc_end139-_ZN12_GLOBAL__N_135rocblas_gemm_batched_general_kernelI19rocblas_complex_numIdELi16ELi16ELi32ELi32ELi8ELi32ELi8ELi8ELi32ELc84ELc84EKS2_S3_S2_EEvlllT_PT11_llS6_llS4_PT12_llPT13_lli
                                        ; -- End function
	.section	.AMDGPU.csdata,"",@progbits
; Kernel info:
; codeLenInByte = 3900
; NumSgprs: 56
; NumVgprs: 60
; NumAgprs: 0
; TotalNumVgprs: 60
; ScratchSize: 0
; MemoryBound: 0
; FloatMode: 240
; IeeeMode: 1
; LDSByteSize: 8192 bytes/workgroup (compile time only)
; SGPRBlocks: 6
; VGPRBlocks: 7
; NumSGPRsForWavesPerEU: 56
; NumVGPRsForWavesPerEU: 60
; AccumOffset: 60
; Occupancy: 8
; WaveLimiterHint : 0
; COMPUTE_PGM_RSRC2:SCRATCH_EN: 0
; COMPUTE_PGM_RSRC2:USER_SGPR: 6
; COMPUTE_PGM_RSRC2:TRAP_HANDLER: 0
; COMPUTE_PGM_RSRC2:TGID_X_EN: 1
; COMPUTE_PGM_RSRC2:TGID_Y_EN: 1
; COMPUTE_PGM_RSRC2:TGID_Z_EN: 1
; COMPUTE_PGM_RSRC2:TIDIG_COMP_CNT: 1
; COMPUTE_PGM_RSRC3_GFX90A:ACCUM_OFFSET: 14
; COMPUTE_PGM_RSRC3_GFX90A:TG_SPLIT: 0
	.section	.text._ZN12_GLOBAL__N_135rocblas_gemm_batched_general_kernelI19rocblas_complex_numIdELi16ELi16ELi32ELi32ELi8ELi32ELi8ELi8ELi32ELc67ELc67EKS2_S3_S2_EEvlllT_PT11_llS6_llS4_PT12_llPT13_lli,"axG",@progbits,_ZN12_GLOBAL__N_135rocblas_gemm_batched_general_kernelI19rocblas_complex_numIdELi16ELi16ELi32ELi32ELi8ELi32ELi8ELi8ELi32ELc67ELc67EKS2_S3_S2_EEvlllT_PT11_llS6_llS4_PT12_llPT13_lli,comdat
	.globl	_ZN12_GLOBAL__N_135rocblas_gemm_batched_general_kernelI19rocblas_complex_numIdELi16ELi16ELi32ELi32ELi8ELi32ELi8ELi8ELi32ELc67ELc67EKS2_S3_S2_EEvlllT_PT11_llS6_llS4_PT12_llPT13_lli ; -- Begin function _ZN12_GLOBAL__N_135rocblas_gemm_batched_general_kernelI19rocblas_complex_numIdELi16ELi16ELi32ELi32ELi8ELi32ELi8ELi8ELi32ELc67ELc67EKS2_S3_S2_EEvlllT_PT11_llS6_llS4_PT12_llPT13_lli
	.p2align	8
	.type	_ZN12_GLOBAL__N_135rocblas_gemm_batched_general_kernelI19rocblas_complex_numIdELi16ELi16ELi32ELi32ELi8ELi32ELi8ELi8ELi32ELc67ELc67EKS2_S3_S2_EEvlllT_PT11_llS6_llS4_PT12_llPT13_lli,@function
_ZN12_GLOBAL__N_135rocblas_gemm_batched_general_kernelI19rocblas_complex_numIdELi16ELi16ELi32ELi32ELi8ELi32ELi8ELi8ELi32ELc67ELc67EKS2_S3_S2_EEvlllT_PT11_llS6_llS4_PT12_llPT13_lli: ; @_ZN12_GLOBAL__N_135rocblas_gemm_batched_general_kernelI19rocblas_complex_numIdELi16ELi16ELi32ELi32ELi8ELi32ELi8ELi8ELi32ELc67ELc67EKS2_S3_S2_EEvlllT_PT11_llS6_llS4_PT12_llPT13_lli
; %bb.0:
	s_load_dwordx16 s[36:51], s[4:5], 0x0
	s_load_dwordx16 s[12:27], s[4:5], 0x40
	s_mov_b32 s30, s7
	s_ashr_i32 s7, s6, 31
	s_ashr_i32 s31, s30, 31
	s_waitcnt lgkmcnt(0)
	v_cmp_lt_i64_e64 s[0:1], s[40:41], 1
	v_pk_mov_b32 v[26:27], 0, 0
	v_and_b32_e32 v7, 0x3ff, v0
	v_bfe_u32 v5, v0, 10, 10
	s_lshl_b64 s[6:7], s[6:7], 5
	s_lshl_b64 s[10:11], s[30:31], 5
	s_mov_b64 s[28:29], 0
	s_and_b64 vcc, exec, s[0:1]
	v_pk_mov_b32 v[28:29], v[26:27], v[26:27] op_sel:[0,1]
	v_pk_mov_b32 v[22:23], v[26:27], v[26:27] op_sel:[0,1]
	;; [unrolled: 1-line block ×7, first 2 shown]
	s_cbranch_vccnz .LBB140_7
; %bb.1:
	v_lshl_add_u32 v8, v5, 4, v7
	v_lshrrev_b32_e32 v0, 3, v8
	v_mov_b32_e32 v3, s11
	v_add_co_u32_e32 v2, vcc, s10, v0
	v_and_b32_e32 v6, 7, v7
	v_addc_co_u32_e32 v3, vcc, 0, v3, vcc
	v_cmp_gt_i64_e64 s[2:3], s[38:39], v[2:3]
	v_lshlrev_b32_e32 v2, 4, v6
	v_and_b32_e32 v10, 31, v8
	v_lshl_or_b32 v2, v0, 7, v2
	v_lshrrev_b32_e32 v4, 5, v8
	v_mov_b32_e32 v9, s7
	v_or_b32_e32 v8, s6, v10
	v_add_u32_e32 v31, 0x1000, v2
	v_mov_b32_e32 v2, 0x1000
	v_cmp_gt_i64_e64 s[0:1], s[36:37], v[8:9]
	v_lshlrev_b32_e32 v8, 4, v10
	v_lshl_add_u32 v33, v5, 7, v2
	s_mul_i32 s9, s17, s8
	s_mul_hi_u32 s17, s16, s8
	v_mad_u64_u32 v[2:3], s[34:35], s14, v6, 0
	v_lshl_or_b32 v30, v4, 9, v8
	s_add_i32 s17, s17, s9
	s_mul_i32 s16, s16, s8
	v_mov_b32_e32 v8, v3
	s_lshl_b64 s[16:17], s[16:17], 4
	v_mad_u64_u32 v[8:9], s[34:35], s15, v6, v[8:9]
	s_lshl_b64 s[30:31], s[30:31], 9
	v_mov_b32_e32 v3, v8
	s_add_u32 s9, s30, s16
	v_lshlrev_b64 v[2:3], 4, v[2:3]
	s_addc_u32 s16, s31, s17
	v_mov_b32_e32 v1, 0
	v_mov_b32_e32 v8, s16
	v_add_co_u32_e32 v2, vcc, s9, v2
	v_addc_co_u32_e32 v3, vcc, v8, v3, vcc
	v_lshlrev_b64 v[0:1], 4, v[0:1]
	v_add_co_u32_e32 v0, vcc, v2, v0
	v_addc_co_u32_e32 v1, vcc, v3, v1, vcc
	v_mov_b32_e32 v2, s13
	v_add_co_u32_e32 v0, vcc, s12, v0
	v_addc_co_u32_e32 v1, vcc, v1, v2, vcc
	v_add_co_u32_e32 v8, vcc, 8, v0
	v_addc_co_u32_e32 v9, vcc, 0, v1, vcc
	v_mov_b32_e32 v0, s7
	v_add_co_u32_e32 v1, vcc, s6, v10
	v_addc_co_u32_e32 v0, vcc, 0, v0, vcc
	s_lshl_b64 s[12:13], s[14:15], 7
	v_mul_lo_u32 v2, s49, v1
	v_mul_lo_u32 v3, s48, v0
	v_mad_u64_u32 v[0:1], s[14:15], s48, v1, 0
	s_mul_i32 s9, s51, s8
	s_mul_hi_u32 s14, s50, s8
	v_add3_u32 v1, v1, v3, v2
	s_add_i32 s15, s14, s9
	s_mul_i32 s14, s50, s8
	v_lshlrev_b64 v[0:1], 4, v[0:1]
	s_lshl_b64 s[14:15], s[14:15], 4
	v_mov_b32_e32 v2, s15
	v_add_co_u32_e32 v0, vcc, s14, v0
	v_addc_co_u32_e32 v1, vcc, v1, v2, vcc
	v_lshlrev_b32_e32 v2, 4, v4
	v_add_co_u32_e32 v0, vcc, v0, v2
	v_addc_co_u32_e32 v1, vcc, 0, v1, vcc
	v_mov_b32_e32 v2, s47
	v_add_co_u32_e32 v0, vcc, s46, v0
	v_addc_co_u32_e32 v1, vcc, v1, v2, vcc
	v_add_co_u32_e32 v10, vcc, 8, v0
	v_pk_mov_b32 v[12:13], 0, 0
	v_lshlrev_b32_e32 v32, 4, v7
	v_addc_co_u32_e32 v11, vcc, 0, v1, vcc
	v_pk_mov_b32 v[16:17], v[12:13], v[12:13] op_sel:[0,1]
	v_pk_mov_b32 v[14:15], v[12:13], v[12:13] op_sel:[0,1]
	;; [unrolled: 1-line block ×8, first 2 shown]
	s_branch .LBB140_3
.LBB140_2:                              ;   in Loop: Header=BB140_3 Depth=1
	s_or_b64 exec, exec, s[14:15]
	ds_write_b128 v31, v[0:3]
	s_waitcnt lgkmcnt(0)
	s_barrier
	ds_read_b128 v[34:37], v32
	ds_read_b128 v[38:41], v33
	ds_read_b128 v[42:45], v33 offset:16
	ds_read_b128 v[46:49], v33 offset:32
	;; [unrolled: 1-line block ×4, first 2 shown]
	s_waitcnt lgkmcnt(4)
	v_mul_f64 v[54:55], v[40:41], v[36:37]
	v_fma_f64 v[54:55], v[38:39], v[34:35], -v[54:55]
	v_mul_f64 v[56:57], v[38:39], v[36:37]
	v_fmac_f64_e32 v[56:57], v[40:41], v[34:35]
	v_add_f64 v[54:55], v[26:27], v[54:55]
	s_waitcnt lgkmcnt(0)
	v_mul_f64 v[26:27], v[40:41], v[52:53]
	v_add_f64 v[56:57], v[28:29], v[56:57]
	v_fma_f64 v[58:59], v[38:39], v[50:51], -v[26:27]
	ds_read_b128 v[26:29], v33 offset:2048
	v_mul_f64 v[38:39], v[38:39], v[52:53]
	v_fmac_f64_e32 v[38:39], v[40:41], v[50:51]
	v_add_f64 v[40:41], v[22:23], v[58:59]
	v_add_f64 v[38:39], v[24:25], v[38:39]
	ds_read_b128 v[22:25], v33 offset:2064
	s_waitcnt lgkmcnt(1)
	v_mul_f64 v[58:59], v[28:29], v[36:37]
	v_fma_f64 v[58:59], v[26:27], v[34:35], -v[58:59]
	v_mul_f64 v[36:37], v[26:27], v[36:37]
	v_fmac_f64_e32 v[36:37], v[28:29], v[34:35]
	v_add_f64 v[34:35], v[18:19], v[58:59]
	v_mul_f64 v[18:19], v[28:29], v[52:53]
	v_add_f64 v[36:37], v[20:21], v[36:37]
	v_fma_f64 v[58:59], v[26:27], v[50:51], -v[18:19]
	v_mul_f64 v[26:27], v[26:27], v[52:53]
	ds_read_b128 v[18:21], v32 offset:512
	v_fmac_f64_e32 v[26:27], v[28:29], v[50:51]
	v_add_f64 v[28:29], v[14:15], v[58:59]
	v_add_f64 v[26:27], v[16:17], v[26:27]
	ds_read_b128 v[14:17], v32 offset:768
	s_waitcnt lgkmcnt(1)
	v_mul_f64 v[50:51], v[44:45], v[20:21]
	v_fma_f64 v[50:51], v[42:43], v[18:19], -v[50:51]
	v_add_f64 v[50:51], v[54:55], v[50:51]
	v_mul_f64 v[52:53], v[42:43], v[20:21]
	s_waitcnt lgkmcnt(0)
	v_mul_f64 v[54:55], v[44:45], v[16:17]
	v_fma_f64 v[54:55], v[42:43], v[14:15], -v[54:55]
	v_mul_f64 v[42:43], v[42:43], v[16:17]
	v_fmac_f64_e32 v[42:43], v[44:45], v[14:15]
	v_add_f64 v[38:39], v[38:39], v[42:43]
	v_mul_f64 v[42:43], v[24:25], v[20:21]
	v_mul_f64 v[20:21], v[22:23], v[20:21]
	v_fmac_f64_e32 v[52:53], v[44:45], v[18:19]
	v_fma_f64 v[42:43], v[22:23], v[18:19], -v[42:43]
	v_fmac_f64_e32 v[20:21], v[24:25], v[18:19]
	v_mul_f64 v[18:19], v[24:25], v[16:17]
	v_add_f64 v[44:45], v[36:37], v[20:21]
	v_fma_f64 v[20:21], v[22:23], v[14:15], -v[18:19]
	v_mul_f64 v[22:23], v[22:23], v[16:17]
	ds_read_b128 v[16:19], v32 offset:1024
	v_fmac_f64_e32 v[22:23], v[24:25], v[14:15]
	v_add_f64 v[40:41], v[40:41], v[54:55]
	v_add_f64 v[28:29], v[28:29], v[20:21]
	;; [unrolled: 1-line block ×3, first 2 shown]
	ds_read_b128 v[20:23], v32 offset:1280
	s_waitcnt lgkmcnt(1)
	v_mul_f64 v[24:25], v[46:47], v[18:19]
	v_add_f64 v[52:53], v[56:57], v[52:53]
	v_fmac_f64_e32 v[24:25], v[48:49], v[16:17]
	v_add_f64 v[52:53], v[52:53], v[24:25]
	ds_read_b128 v[24:27], v33 offset:2080
	v_mul_f64 v[14:15], v[48:49], v[18:19]
	v_fma_f64 v[14:15], v[46:47], v[16:17], -v[14:15]
	v_add_f64 v[42:43], v[34:35], v[42:43]
	v_add_f64 v[50:51], v[50:51], v[14:15]
	s_waitcnt lgkmcnt(1)
	v_mul_f64 v[14:15], v[48:49], v[22:23]
	v_mul_f64 v[34:35], v[46:47], v[22:23]
	v_fma_f64 v[14:15], v[46:47], v[20:21], -v[14:15]
	v_fmac_f64_e32 v[34:35], v[48:49], v[20:21]
	v_add_f64 v[40:41], v[40:41], v[14:15]
	v_add_f64 v[38:39], v[38:39], v[34:35]
	ds_read_b128 v[34:37], v33 offset:2096
	s_waitcnt lgkmcnt(1)
	v_mul_f64 v[14:15], v[26:27], v[18:19]
	v_fma_f64 v[14:15], v[24:25], v[16:17], -v[14:15]
	v_mul_f64 v[18:19], v[24:25], v[18:19]
	v_fmac_f64_e32 v[18:19], v[26:27], v[16:17]
	v_add_f64 v[42:43], v[42:43], v[14:15]
	v_mul_f64 v[14:15], v[26:27], v[22:23]
	v_add_f64 v[44:45], v[44:45], v[18:19]
	v_fma_f64 v[18:19], v[24:25], v[20:21], -v[14:15]
	v_mul_f64 v[22:23], v[24:25], v[22:23]
	ds_read_b128 v[14:17], v32 offset:1536
	v_fmac_f64_e32 v[22:23], v[26:27], v[20:21]
	v_add_f64 v[24:25], v[28:29], v[18:19]
	ds_read_b128 v[18:21], v32 offset:1792
	v_add_f64 v[22:23], v[54:55], v[22:23]
	s_waitcnt lgkmcnt(1)
	v_mul_f64 v[26:27], v[2:3], v[16:17]
	v_fma_f64 v[26:27], v[0:1], v[14:15], -v[26:27]
	v_mul_f64 v[28:29], v[0:1], v[16:17]
	s_waitcnt lgkmcnt(0)
	v_mul_f64 v[46:47], v[2:3], v[20:21]
	v_fma_f64 v[46:47], v[0:1], v[18:19], -v[46:47]
	v_mul_f64 v[0:1], v[0:1], v[20:21]
	v_fmac_f64_e32 v[0:1], v[2:3], v[18:19]
	v_add_f64 v[38:39], v[38:39], v[0:1]
	v_mul_f64 v[0:1], v[36:37], v[16:17]
	v_fmac_f64_e32 v[28:29], v[2:3], v[14:15]
	v_fma_f64 v[0:1], v[34:35], v[14:15], -v[0:1]
	v_mul_f64 v[2:3], v[34:35], v[16:17]
	v_fmac_f64_e32 v[2:3], v[36:37], v[14:15]
	v_add_f64 v[42:43], v[42:43], v[0:1]
	v_mul_f64 v[0:1], v[36:37], v[20:21]
	v_add_f64 v[40:41], v[40:41], v[46:47]
	v_add_f64 v[44:45], v[44:45], v[2:3]
	v_fma_f64 v[46:47], v[34:35], v[18:19], -v[0:1]
	ds_read_b128 v[0:3], v33 offset:64
	ds_read_b128 v[14:17], v32 offset:2048
	v_mul_f64 v[20:21], v[34:35], v[20:21]
	v_fmac_f64_e32 v[20:21], v[36:37], v[18:19]
	v_add_f64 v[34:35], v[24:25], v[46:47]
	v_add_f64 v[36:37], v[22:23], v[20:21]
	ds_read_b128 v[18:21], v32 offset:2304
	ds_read_b128 v[22:25], v33 offset:80
	s_waitcnt lgkmcnt(2)
	v_mul_f64 v[46:47], v[2:3], v[16:17]
	v_add_f64 v[26:27], v[50:51], v[26:27]
	v_fma_f64 v[46:47], v[0:1], v[14:15], -v[46:47]
	v_mul_f64 v[48:49], v[0:1], v[16:17]
	v_add_f64 v[28:29], v[52:53], v[28:29]
	v_fmac_f64_e32 v[48:49], v[2:3], v[14:15]
	v_add_f64 v[46:47], v[26:27], v[46:47]
	s_waitcnt lgkmcnt(1)
	v_mul_f64 v[26:27], v[2:3], v[20:21]
	v_add_f64 v[48:49], v[28:29], v[48:49]
	v_fma_f64 v[50:51], v[0:1], v[18:19], -v[26:27]
	ds_read_b128 v[26:29], v33 offset:2112
	v_mul_f64 v[0:1], v[0:1], v[20:21]
	v_fmac_f64_e32 v[0:1], v[2:3], v[18:19]
	v_add_f64 v[40:41], v[40:41], v[50:51]
	v_add_f64 v[38:39], v[38:39], v[0:1]
	ds_read_b128 v[0:3], v33 offset:2128
	s_waitcnt lgkmcnt(1)
	v_mul_f64 v[50:51], v[28:29], v[16:17]
	v_mul_f64 v[16:17], v[26:27], v[16:17]
	v_fma_f64 v[50:51], v[26:27], v[14:15], -v[50:51]
	v_fmac_f64_e32 v[16:17], v[28:29], v[14:15]
	v_mul_f64 v[14:15], v[28:29], v[20:21]
	v_add_f64 v[42:43], v[42:43], v[50:51]
	v_add_f64 v[44:45], v[44:45], v[16:17]
	v_fma_f64 v[50:51], v[26:27], v[18:19], -v[14:15]
	v_mul_f64 v[20:21], v[26:27], v[20:21]
	ds_read_b128 v[14:17], v32 offset:2560
	v_fmac_f64_e32 v[20:21], v[28:29], v[18:19]
	v_add_f64 v[28:29], v[36:37], v[20:21]
	ds_read_b128 v[18:21], v32 offset:2816
	v_add_f64 v[26:27], v[34:35], v[50:51]
	s_waitcnt lgkmcnt(1)
	v_mul_f64 v[34:35], v[24:25], v[16:17]
	v_fma_f64 v[34:35], v[22:23], v[14:15], -v[34:35]
	v_add_f64 v[34:35], v[46:47], v[34:35]
	s_waitcnt lgkmcnt(0)
	v_mul_f64 v[46:47], v[24:25], v[20:21]
	v_mul_f64 v[36:37], v[22:23], v[16:17]
	v_fma_f64 v[46:47], v[22:23], v[18:19], -v[46:47]
	v_mul_f64 v[22:23], v[22:23], v[20:21]
	v_fmac_f64_e32 v[22:23], v[24:25], v[18:19]
	v_add_f64 v[38:39], v[38:39], v[22:23]
	v_mul_f64 v[22:23], v[2:3], v[16:17]
	v_mul_f64 v[16:17], v[0:1], v[16:17]
	v_fmac_f64_e32 v[36:37], v[24:25], v[14:15]
	v_fma_f64 v[22:23], v[0:1], v[14:15], -v[22:23]
	v_fmac_f64_e32 v[16:17], v[2:3], v[14:15]
	v_mul_f64 v[14:15], v[2:3], v[20:21]
	v_mul_f64 v[20:21], v[0:1], v[20:21]
	v_add_f64 v[42:43], v[42:43], v[22:23]
	v_add_f64 v[44:45], v[44:45], v[16:17]
	v_fma_f64 v[22:23], v[0:1], v[18:19], -v[14:15]
	v_fmac_f64_e32 v[20:21], v[2:3], v[18:19]
	ds_read_b128 v[0:3], v33 offset:96
	ds_read_b128 v[14:17], v32 offset:3072
	v_add_f64 v[36:37], v[48:49], v[36:37]
	v_add_f64 v[40:41], v[40:41], v[46:47]
	;; [unrolled: 1-line block ×4, first 2 shown]
	ds_read_b128 v[18:21], v32 offset:3328
	ds_read_b128 v[22:25], v33 offset:112
	s_waitcnt lgkmcnt(2)
	v_mul_f64 v[26:27], v[2:3], v[16:17]
	v_fma_f64 v[26:27], v[0:1], v[14:15], -v[26:27]
	v_mul_f64 v[28:29], v[0:1], v[16:17]
	v_fmac_f64_e32 v[28:29], v[2:3], v[14:15]
	v_add_f64 v[50:51], v[34:35], v[26:27]
	s_waitcnt lgkmcnt(1)
	v_mul_f64 v[26:27], v[2:3], v[20:21]
	v_add_f64 v[52:53], v[36:37], v[28:29]
	v_fma_f64 v[34:35], v[0:1], v[18:19], -v[26:27]
	ds_read_b128 v[26:29], v33 offset:2144
	v_mul_f64 v[0:1], v[0:1], v[20:21]
	v_fmac_f64_e32 v[0:1], v[2:3], v[18:19]
	v_add_f64 v[40:41], v[40:41], v[34:35]
	v_add_f64 v[38:39], v[38:39], v[0:1]
	ds_read_b128 v[0:3], v33 offset:2160
	s_waitcnt lgkmcnt(1)
	v_mul_f64 v[34:35], v[28:29], v[16:17]
	v_mul_f64 v[16:17], v[26:27], v[16:17]
	v_fma_f64 v[34:35], v[26:27], v[14:15], -v[34:35]
	v_fmac_f64_e32 v[16:17], v[28:29], v[14:15]
	v_mul_f64 v[14:15], v[28:29], v[20:21]
	v_add_f64 v[42:43], v[42:43], v[34:35]
	v_add_f64 v[44:45], v[44:45], v[16:17]
	v_fma_f64 v[34:35], v[26:27], v[18:19], -v[14:15]
	ds_read_b128 v[14:17], v32 offset:3584
	v_add_f64 v[46:47], v[46:47], v[34:35]
	ds_read_b128 v[34:37], v32 offset:3840
	v_mul_f64 v[20:21], v[26:27], v[20:21]
	v_fmac_f64_e32 v[20:21], v[28:29], v[18:19]
	s_waitcnt lgkmcnt(1)
	v_mul_f64 v[18:19], v[24:25], v[16:17]
	v_fma_f64 v[18:19], v[22:23], v[14:15], -v[18:19]
	v_add_f64 v[48:49], v[48:49], v[20:21]
	v_mul_f64 v[20:21], v[22:23], v[16:17]
	v_add_f64 v[26:27], v[50:51], v[18:19]
	s_waitcnt lgkmcnt(0)
	v_mul_f64 v[18:19], v[24:25], v[36:37]
	v_fmac_f64_e32 v[20:21], v[24:25], v[14:15]
	v_fma_f64 v[18:19], v[22:23], v[34:35], -v[18:19]
	v_add_f64 v[28:29], v[52:53], v[20:21]
	v_mul_f64 v[20:21], v[22:23], v[36:37]
	v_add_f64 v[22:23], v[40:41], v[18:19]
	v_mul_f64 v[18:19], v[2:3], v[16:17]
	v_mul_f64 v[16:17], v[0:1], v[16:17]
	v_fma_f64 v[18:19], v[0:1], v[14:15], -v[18:19]
	v_fmac_f64_e32 v[16:17], v[2:3], v[14:15]
	v_mul_f64 v[14:15], v[2:3], v[36:37]
	v_fma_f64 v[14:15], v[0:1], v[34:35], -v[14:15]
	v_mul_f64 v[0:1], v[0:1], v[36:37]
	v_fmac_f64_e32 v[20:21], v[24:25], v[34:35]
	v_fmac_f64_e32 v[0:1], v[2:3], v[34:35]
	v_add_f64 v[24:25], v[38:39], v[20:21]
	v_add_f64 v[20:21], v[44:45], v[16:17]
	;; [unrolled: 1-line block ×3, first 2 shown]
	v_mov_b32_e32 v0, s13
	v_add_co_u32_e32 v8, vcc, s12, v8
	v_addc_co_u32_e32 v9, vcc, v9, v0, vcc
	s_add_u32 s28, s28, 8
	v_add_co_u32_e32 v10, vcc, 0x80, v10
	s_addc_u32 s29, s29, 0
	v_addc_co_u32_e32 v11, vcc, 0, v11, vcc
	v_pk_mov_b32 v[0:1], s[40:41], s[40:41] op_sel:[0,1]
	v_cmp_lt_i64_e32 vcc, s[28:29], v[0:1]
	v_add_f64 v[18:19], v[42:43], v[18:19]
	v_add_f64 v[14:15], v[46:47], v[14:15]
	s_barrier
	s_cbranch_vccz .LBB140_7
.LBB140_3:                              ; =>This Inner Loop Header: Depth=1
	v_mov_b32_e32 v1, s29
	v_add_co_u32_e32 v0, vcc, s28, v4
	v_addc_co_u32_e32 v1, vcc, 0, v1, vcc
	v_cmp_gt_i64_e32 vcc, s[40:41], v[0:1]
	s_and_b64 s[16:17], s[0:1], vcc
	v_pk_mov_b32 v[0:1], v[12:13], v[12:13] op_sel:[0,1]
	v_pk_mov_b32 v[2:3], v[12:13], v[12:13] op_sel:[0,1]
	s_and_saveexec_b64 s[14:15], s[16:17]
	s_cbranch_execz .LBB140_5
; %bb.4:                                ;   in Loop: Header=BB140_3 Depth=1
	global_load_dwordx4 v[0:3], v[10:11], off offset:-8
	s_waitcnt vmcnt(0)
	v_xor_b32_e32 v3, 0x80000000, v3
.LBB140_5:                              ;   in Loop: Header=BB140_3 Depth=1
	s_or_b64 exec, exec, s[14:15]
	ds_write_b128 v30, v[0:3]
	v_mov_b32_e32 v1, s29
	v_add_co_u32_e32 v0, vcc, s28, v6
	v_addc_co_u32_e32 v1, vcc, 0, v1, vcc
	v_cmp_gt_i64_e32 vcc, s[40:41], v[0:1]
	v_pk_mov_b32 v[0:1], 0, 0
	s_and_b64 s[16:17], vcc, s[2:3]
	v_pk_mov_b32 v[2:3], v[0:1], v[0:1] op_sel:[0,1]
	s_and_saveexec_b64 s[14:15], s[16:17]
	s_cbranch_execz .LBB140_2
; %bb.6:                                ;   in Loop: Header=BB140_3 Depth=1
	global_load_dwordx4 v[0:3], v[8:9], off offset:-8
	s_waitcnt vmcnt(0)
	v_xor_b32_e32 v3, 0x80000000, v3
	s_branch .LBB140_2
.LBB140_7:
	s_load_dwordx2 s[0:1], s[4:5], 0x90
	s_load_dwordx4 s[12:15], s[4:5], 0x80
	v_mov_b32_e32 v1, s11
	v_add_co_u32_e32 v0, vcc, s10, v5
	s_waitcnt lgkmcnt(0)
	s_mul_i32 s1, s8, s1
	s_mul_hi_u32 s2, s8, s0
	s_mul_i32 s0, s8, s0
	s_add_i32 s1, s2, s1
	s_lshl_b64 s[0:1], s[0:1], 4
	s_add_u32 s9, s12, s0
	s_addc_u32 s16, s13, s1
	v_cmp_neq_f64_e64 s[0:1], s[18:19], 0
	v_cmp_neq_f64_e64 s[2:3], s[20:21], 0
	v_addc_co_u32_e32 v1, vcc, 0, v1, vcc
	s_or_b64 s[4:5], s[0:1], s[2:3]
	v_cmp_gt_i64_e64 s[0:1], s[38:39], v[0:1]
	s_mov_b64 s[2:3], -1
	s_and_b64 vcc, exec, s[4:5]
	s_cbranch_vccnz .LBB140_19
; %bb.8:
	s_and_saveexec_b64 s[10:11], s[0:1]
	s_cbranch_execz .LBB140_18
; %bb.9:
	v_mov_b32_e32 v2, s7
	v_add_co_u32_e32 v4, vcc, s6, v7
	v_addc_co_u32_e32 v5, vcc, 0, v2, vcc
	v_mul_lo_u32 v6, v1, s14
	v_mul_lo_u32 v8, v0, s15
	v_mad_u64_u32 v[2:3], s[2:3], v0, s14, 0
	v_add3_u32 v3, v3, v8, v6
	v_lshlrev_b64 v[2:3], 4, v[2:3]
	v_mov_b32_e32 v8, s16
	v_add_co_u32_e64 v6, s[2:3], s9, v2
	v_cmp_gt_i64_e32 vcc, s[36:37], v[4:5]
	v_addc_co_u32_e64 v8, s[2:3], v8, v3, s[2:3]
	v_lshlrev_b64 v[2:3], 4, v[4:5]
	s_and_saveexec_b64 s[4:5], vcc
	s_cbranch_execz .LBB140_11
; %bb.10:
	v_mul_f64 v[10:11], s[44:45], v[28:29]
	v_mul_f64 v[12:13], s[42:43], v[28:29]
	v_add_co_u32_e64 v30, s[2:3], v6, v2
	v_fma_f64 v[10:11], s[42:43], v[26:27], -v[10:11]
	v_fmac_f64_e32 v[12:13], s[44:45], v[26:27]
	v_addc_co_u32_e64 v31, s[2:3], v8, v3, s[2:3]
	global_store_dwordx4 v[30:31], v[10:13], off
.LBB140_11:
	s_or_b64 exec, exec, s[4:5]
	v_add_co_u32_e64 v4, s[2:3], 16, v4
	v_addc_co_u32_e64 v5, s[2:3], 0, v5, s[2:3]
	v_cmp_gt_i64_e64 s[2:3], s[36:37], v[4:5]
	s_and_saveexec_b64 s[12:13], s[2:3]
	s_cbranch_execz .LBB140_13
; %bb.12:
	v_mul_f64 v[4:5], s[44:45], v[24:25]
	v_fma_f64 v[10:11], s[42:43], v[22:23], -v[4:5]
	v_mul_f64 v[12:13], s[42:43], v[24:25]
	v_add_co_u32_e64 v4, s[4:5], v6, v2
	v_fmac_f64_e32 v[12:13], s[44:45], v[22:23]
	v_addc_co_u32_e64 v5, s[4:5], v8, v3, s[4:5]
	global_store_dwordx4 v[4:5], v[10:13], off offset:256
.LBB140_13:
	s_or_b64 exec, exec, s[12:13]
	v_add_co_u32_e64 v4, s[4:5], 16, v0
	v_addc_co_u32_e64 v5, s[4:5], 0, v1, s[4:5]
	v_cmp_gt_i64_e64 s[4:5], s[38:39], v[4:5]
	s_and_b64 exec, exec, s[4:5]
	s_cbranch_execz .LBB140_18
; %bb.14:
	s_lshl_b64 s[4:5], s[14:15], 8
	v_mov_b32_e32 v4, s5
	v_add_co_u32_e64 v5, s[4:5], s4, v6
	v_addc_co_u32_e64 v4, s[4:5], v8, v4, s[4:5]
	v_add_co_u32_e64 v2, s[4:5], v5, v2
	v_addc_co_u32_e64 v3, s[4:5], v4, v3, s[4:5]
	s_and_saveexec_b64 s[4:5], vcc
	s_cbranch_execz .LBB140_16
; %bb.15:
	v_mul_f64 v[4:5], s[44:45], v[20:21]
	v_mul_f64 v[10:11], s[42:43], v[20:21]
	v_fma_f64 v[8:9], s[42:43], v[18:19], -v[4:5]
	v_fmac_f64_e32 v[10:11], s[44:45], v[18:19]
	global_store_dwordx4 v[2:3], v[8:11], off
.LBB140_16:
	s_or_b64 exec, exec, s[4:5]
	s_and_b64 exec, exec, s[2:3]
	s_cbranch_execz .LBB140_18
; %bb.17:
	v_mul_f64 v[4:5], s[44:45], v[16:17]
	v_mul_f64 v[10:11], s[42:43], v[16:17]
	v_fma_f64 v[8:9], s[42:43], v[14:15], -v[4:5]
	v_fmac_f64_e32 v[10:11], s[44:45], v[14:15]
	global_store_dwordx4 v[2:3], v[8:11], off offset:256
.LBB140_18:
	s_or_b64 exec, exec, s[10:11]
	s_mov_b64 s[2:3], 0
.LBB140_19:
	s_andn2_b64 vcc, exec, s[2:3]
	s_cbranch_vccnz .LBB140_30
; %bb.20:
	s_and_saveexec_b64 s[2:3], s[0:1]
	s_cbranch_execz .LBB140_30
; %bb.21:
	s_mul_i32 s0, s8, s27
	s_mul_hi_u32 s1, s8, s26
	s_add_i32 s1, s1, s0
	s_mul_i32 s0, s8, s26
	s_lshl_b64 s[0:1], s[0:1], 4
	s_add_u32 s2, s22, s0
	v_mov_b32_e32 v2, s7
	v_add_co_u32_e32 v4, vcc, s6, v7
	s_addc_u32 s3, s23, s1
	v_addc_co_u32_e32 v5, vcc, 0, v2, vcc
	v_mul_lo_u32 v6, v1, s24
	v_mul_lo_u32 v7, v0, s25
	v_mad_u64_u32 v[2:3], s[0:1], v0, s24, 0
	v_add3_u32 v3, v3, v7, v6
	v_mul_lo_u32 v6, v1, s14
	v_mul_lo_u32 v7, v0, s15
	v_mad_u64_u32 v[8:9], s[0:1], v0, s14, 0
	v_lshlrev_b64 v[2:3], 4, v[2:3]
	v_add3_u32 v9, v9, v7, v6
	v_mov_b32_e32 v7, s3
	v_add_co_u32_e64 v6, s[0:1], s2, v2
	v_addc_co_u32_e64 v7, s[0:1], v7, v3, s[0:1]
	v_lshlrev_b64 v[2:3], 4, v[8:9]
	v_mov_b32_e32 v9, s16
	v_add_co_u32_e64 v8, s[0:1], s9, v2
	v_cmp_gt_i64_e32 vcc, s[36:37], v[4:5]
	v_addc_co_u32_e64 v9, s[0:1], v9, v3, s[0:1]
	v_lshlrev_b64 v[2:3], 4, v[4:5]
	s_and_saveexec_b64 s[2:3], vcc
	s_cbranch_execz .LBB140_23
; %bb.22:
	v_add_co_u32_e64 v10, s[0:1], v6, v2
	v_addc_co_u32_e64 v11, s[0:1], v7, v3, s[0:1]
	global_load_dwordx4 v[10:13], v[10:11], off
	v_mul_f64 v[30:31], s[44:45], v[28:29]
	v_mul_f64 v[28:29], s[42:43], v[28:29]
	v_fma_f64 v[30:31], s[42:43], v[26:27], -v[30:31]
	v_fmac_f64_e32 v[28:29], s[44:45], v[26:27]
	s_waitcnt vmcnt(0)
	v_mul_f64 v[26:27], s[20:21], v[12:13]
	v_mul_f64 v[12:13], s[18:19], v[12:13]
	v_fma_f64 v[26:27], s[18:19], v[10:11], -v[26:27]
	v_fmac_f64_e32 v[12:13], s[20:21], v[10:11]
	v_add_f64 v[10:11], v[30:31], v[26:27]
	v_add_co_u32_e64 v26, s[0:1], v8, v2
	v_add_f64 v[12:13], v[28:29], v[12:13]
	v_addc_co_u32_e64 v27, s[0:1], v9, v3, s[0:1]
	global_store_dwordx4 v[26:27], v[10:13], off
.LBB140_23:
	s_or_b64 exec, exec, s[2:3]
	v_add_co_u32_e64 v4, s[0:1], 16, v4
	v_addc_co_u32_e64 v5, s[0:1], 0, v5, s[0:1]
	v_cmp_gt_i64_e64 s[0:1], s[36:37], v[4:5]
	s_and_saveexec_b64 s[4:5], s[0:1]
	s_cbranch_execz .LBB140_25
; %bb.24:
	v_add_co_u32_e64 v4, s[2:3], v6, v2
	v_addc_co_u32_e64 v5, s[2:3], v7, v3, s[2:3]
	global_load_dwordx4 v[10:13], v[4:5], off offset:256
	v_mul_f64 v[4:5], s[44:45], v[24:25]
	v_mul_f64 v[24:25], s[42:43], v[24:25]
	v_fma_f64 v[4:5], s[42:43], v[22:23], -v[4:5]
	v_fmac_f64_e32 v[24:25], s[44:45], v[22:23]
	s_waitcnt vmcnt(0)
	v_mul_f64 v[22:23], s[20:21], v[12:13]
	v_mul_f64 v[12:13], s[18:19], v[12:13]
	v_fma_f64 v[22:23], s[18:19], v[10:11], -v[22:23]
	v_fmac_f64_e32 v[12:13], s[20:21], v[10:11]
	v_add_f64 v[10:11], v[4:5], v[22:23]
	v_add_co_u32_e64 v4, s[2:3], v8, v2
	v_add_f64 v[12:13], v[24:25], v[12:13]
	v_addc_co_u32_e64 v5, s[2:3], v9, v3, s[2:3]
	global_store_dwordx4 v[4:5], v[10:13], off offset:256
.LBB140_25:
	s_or_b64 exec, exec, s[4:5]
	v_add_co_u32_e64 v0, s[2:3], 16, v0
	v_addc_co_u32_e64 v1, s[2:3], 0, v1, s[2:3]
	v_cmp_gt_i64_e64 s[2:3], s[38:39], v[0:1]
	s_and_b64 exec, exec, s[2:3]
	s_cbranch_execz .LBB140_30
; %bb.26:
	s_lshl_b64 s[2:3], s[24:25], 8
	v_mov_b32_e32 v0, s3
	v_add_co_u32_e64 v1, s[2:3], s2, v6
	v_addc_co_u32_e64 v0, s[2:3], v7, v0, s[2:3]
	s_lshl_b64 s[2:3], s[14:15], 8
	v_mov_b32_e32 v4, s3
	v_add_co_u32_e64 v6, s[2:3], s2, v8
	v_addc_co_u32_e64 v7, s[2:3], v9, v4, s[2:3]
	v_add_co_u32_e64 v4, s[2:3], v1, v2
	v_addc_co_u32_e64 v5, s[2:3], v0, v3, s[2:3]
	v_add_co_u32_e64 v0, s[2:3], v6, v2
	v_addc_co_u32_e64 v1, s[2:3], v7, v3, s[2:3]
	s_and_saveexec_b64 s[2:3], vcc
	s_cbranch_execz .LBB140_28
; %bb.27:
	global_load_dwordx4 v[6:9], v[4:5], off
	v_mul_f64 v[2:3], s[44:45], v[20:21]
	v_mul_f64 v[10:11], s[42:43], v[20:21]
	v_fma_f64 v[2:3], s[42:43], v[18:19], -v[2:3]
	v_fmac_f64_e32 v[10:11], s[44:45], v[18:19]
	s_waitcnt vmcnt(0)
	v_mul_f64 v[12:13], s[20:21], v[8:9]
	v_mul_f64 v[8:9], s[18:19], v[8:9]
	v_fma_f64 v[12:13], s[18:19], v[6:7], -v[12:13]
	v_fmac_f64_e32 v[8:9], s[20:21], v[6:7]
	v_add_f64 v[6:7], v[2:3], v[12:13]
	v_add_f64 v[8:9], v[10:11], v[8:9]
	global_store_dwordx4 v[0:1], v[6:9], off
.LBB140_28:
	s_or_b64 exec, exec, s[2:3]
	s_and_b64 exec, exec, s[0:1]
	s_cbranch_execz .LBB140_30
; %bb.29:
	global_load_dwordx4 v[2:5], v[4:5], off offset:256
	v_mul_f64 v[6:7], s[44:45], v[16:17]
	v_mul_f64 v[8:9], s[42:43], v[16:17]
	v_fma_f64 v[6:7], s[42:43], v[14:15], -v[6:7]
	v_fmac_f64_e32 v[8:9], s[44:45], v[14:15]
	s_waitcnt vmcnt(0)
	v_mul_f64 v[10:11], s[20:21], v[4:5]
	v_mul_f64 v[4:5], s[18:19], v[4:5]
	v_fma_f64 v[10:11], s[18:19], v[2:3], -v[10:11]
	v_fmac_f64_e32 v[4:5], s[20:21], v[2:3]
	v_add_f64 v[2:3], v[6:7], v[10:11]
	v_add_f64 v[4:5], v[8:9], v[4:5]
	global_store_dwordx4 v[0:1], v[2:5], off offset:256
.LBB140_30:
	s_endpgm
	.section	.rodata,"a",@progbits
	.p2align	6, 0x0
	.amdhsa_kernel _ZN12_GLOBAL__N_135rocblas_gemm_batched_general_kernelI19rocblas_complex_numIdELi16ELi16ELi32ELi32ELi8ELi32ELi8ELi8ELi32ELc67ELc67EKS2_S3_S2_EEvlllT_PT11_llS6_llS4_PT12_llPT13_lli
		.amdhsa_group_segment_fixed_size 8192
		.amdhsa_private_segment_fixed_size 0
		.amdhsa_kernarg_size 156
		.amdhsa_user_sgpr_count 6
		.amdhsa_user_sgpr_private_segment_buffer 1
		.amdhsa_user_sgpr_dispatch_ptr 0
		.amdhsa_user_sgpr_queue_ptr 0
		.amdhsa_user_sgpr_kernarg_segment_ptr 1
		.amdhsa_user_sgpr_dispatch_id 0
		.amdhsa_user_sgpr_flat_scratch_init 0
		.amdhsa_user_sgpr_kernarg_preload_length 0
		.amdhsa_user_sgpr_kernarg_preload_offset 0
		.amdhsa_user_sgpr_private_segment_size 0
		.amdhsa_uses_dynamic_stack 0
		.amdhsa_system_sgpr_private_segment_wavefront_offset 0
		.amdhsa_system_sgpr_workgroup_id_x 1
		.amdhsa_system_sgpr_workgroup_id_y 1
		.amdhsa_system_sgpr_workgroup_id_z 1
		.amdhsa_system_sgpr_workgroup_info 0
		.amdhsa_system_vgpr_workitem_id 1
		.amdhsa_next_free_vgpr 60
		.amdhsa_next_free_sgpr 52
		.amdhsa_accum_offset 60
		.amdhsa_reserve_vcc 1
		.amdhsa_reserve_flat_scratch 0
		.amdhsa_float_round_mode_32 0
		.amdhsa_float_round_mode_16_64 0
		.amdhsa_float_denorm_mode_32 3
		.amdhsa_float_denorm_mode_16_64 3
		.amdhsa_dx10_clamp 1
		.amdhsa_ieee_mode 1
		.amdhsa_fp16_overflow 0
		.amdhsa_tg_split 0
		.amdhsa_exception_fp_ieee_invalid_op 0
		.amdhsa_exception_fp_denorm_src 0
		.amdhsa_exception_fp_ieee_div_zero 0
		.amdhsa_exception_fp_ieee_overflow 0
		.amdhsa_exception_fp_ieee_underflow 0
		.amdhsa_exception_fp_ieee_inexact 0
		.amdhsa_exception_int_div_zero 0
	.end_amdhsa_kernel
	.section	.text._ZN12_GLOBAL__N_135rocblas_gemm_batched_general_kernelI19rocblas_complex_numIdELi16ELi16ELi32ELi32ELi8ELi32ELi8ELi8ELi32ELc67ELc67EKS2_S3_S2_EEvlllT_PT11_llS6_llS4_PT12_llPT13_lli,"axG",@progbits,_ZN12_GLOBAL__N_135rocblas_gemm_batched_general_kernelI19rocblas_complex_numIdELi16ELi16ELi32ELi32ELi8ELi32ELi8ELi8ELi32ELc67ELc67EKS2_S3_S2_EEvlllT_PT11_llS6_llS4_PT12_llPT13_lli,comdat
.Lfunc_end140:
	.size	_ZN12_GLOBAL__N_135rocblas_gemm_batched_general_kernelI19rocblas_complex_numIdELi16ELi16ELi32ELi32ELi8ELi32ELi8ELi8ELi32ELc67ELc67EKS2_S3_S2_EEvlllT_PT11_llS6_llS4_PT12_llPT13_lli, .Lfunc_end140-_ZN12_GLOBAL__N_135rocblas_gemm_batched_general_kernelI19rocblas_complex_numIdELi16ELi16ELi32ELi32ELi8ELi32ELi8ELi8ELi32ELc67ELc67EKS2_S3_S2_EEvlllT_PT11_llS6_llS4_PT12_llPT13_lli
                                        ; -- End function
	.section	.AMDGPU.csdata,"",@progbits
; Kernel info:
; codeLenInByte = 3844
; NumSgprs: 56
; NumVgprs: 60
; NumAgprs: 0
; TotalNumVgprs: 60
; ScratchSize: 0
; MemoryBound: 1
; FloatMode: 240
; IeeeMode: 1
; LDSByteSize: 8192 bytes/workgroup (compile time only)
; SGPRBlocks: 6
; VGPRBlocks: 7
; NumSGPRsForWavesPerEU: 56
; NumVGPRsForWavesPerEU: 60
; AccumOffset: 60
; Occupancy: 8
; WaveLimiterHint : 0
; COMPUTE_PGM_RSRC2:SCRATCH_EN: 0
; COMPUTE_PGM_RSRC2:USER_SGPR: 6
; COMPUTE_PGM_RSRC2:TRAP_HANDLER: 0
; COMPUTE_PGM_RSRC2:TGID_X_EN: 1
; COMPUTE_PGM_RSRC2:TGID_Y_EN: 1
; COMPUTE_PGM_RSRC2:TGID_Z_EN: 1
; COMPUTE_PGM_RSRC2:TIDIG_COMP_CNT: 1
; COMPUTE_PGM_RSRC3_GFX90A:ACCUM_OFFSET: 14
; COMPUTE_PGM_RSRC3_GFX90A:TG_SPLIT: 0
	.section	.text._ZN12_GLOBAL__N_135rocblas_gemm_batched_general_kernelI19rocblas_complex_numIdELi16ELi16ELi32ELi32ELi8ELi32ELi8ELi8ELi32ELc67ELc78EKS2_S3_S2_EEvlllT_PT11_llS6_llS4_PT12_llPT13_lli,"axG",@progbits,_ZN12_GLOBAL__N_135rocblas_gemm_batched_general_kernelI19rocblas_complex_numIdELi16ELi16ELi32ELi32ELi8ELi32ELi8ELi8ELi32ELc67ELc78EKS2_S3_S2_EEvlllT_PT11_llS6_llS4_PT12_llPT13_lli,comdat
	.globl	_ZN12_GLOBAL__N_135rocblas_gemm_batched_general_kernelI19rocblas_complex_numIdELi16ELi16ELi32ELi32ELi8ELi32ELi8ELi8ELi32ELc67ELc78EKS2_S3_S2_EEvlllT_PT11_llS6_llS4_PT12_llPT13_lli ; -- Begin function _ZN12_GLOBAL__N_135rocblas_gemm_batched_general_kernelI19rocblas_complex_numIdELi16ELi16ELi32ELi32ELi8ELi32ELi8ELi8ELi32ELc67ELc78EKS2_S3_S2_EEvlllT_PT11_llS6_llS4_PT12_llPT13_lli
	.p2align	8
	.type	_ZN12_GLOBAL__N_135rocblas_gemm_batched_general_kernelI19rocblas_complex_numIdELi16ELi16ELi32ELi32ELi8ELi32ELi8ELi8ELi32ELc67ELc78EKS2_S3_S2_EEvlllT_PT11_llS6_llS4_PT12_llPT13_lli,@function
_ZN12_GLOBAL__N_135rocblas_gemm_batched_general_kernelI19rocblas_complex_numIdELi16ELi16ELi32ELi32ELi8ELi32ELi8ELi8ELi32ELc67ELc78EKS2_S3_S2_EEvlllT_PT11_llS6_llS4_PT12_llPT13_lli: ; @_ZN12_GLOBAL__N_135rocblas_gemm_batched_general_kernelI19rocblas_complex_numIdELi16ELi16ELi32ELi32ELi8ELi32ELi8ELi8ELi32ELc67ELc78EKS2_S3_S2_EEvlllT_PT11_llS6_llS4_PT12_llPT13_lli
; %bb.0:
	s_load_dwordx16 s[36:51], s[4:5], 0x0
	s_load_dwordx16 s[12:27], s[4:5], 0x40
	s_mov_b32 s0, s7
	s_ashr_i32 s1, s0, 31
	s_ashr_i32 s7, s6, 31
	s_lshl_b64 s[10:11], s[0:1], 5
	s_waitcnt lgkmcnt(0)
	v_cmp_lt_i64_e64 s[0:1], s[40:41], 1
	v_pk_mov_b32 v[28:29], 0, 0
	v_and_b32_e32 v7, 0x3ff, v0
	v_bfe_u32 v9, v0, 10, 10
	s_lshl_b64 s[6:7], s[6:7], 5
	s_mov_b64 s[28:29], 0
	s_and_b64 vcc, exec, s[0:1]
	v_pk_mov_b32 v[30:31], v[28:29], v[28:29] op_sel:[0,1]
	v_pk_mov_b32 v[24:25], v[28:29], v[28:29] op_sel:[0,1]
	;; [unrolled: 1-line block ×7, first 2 shown]
	s_cbranch_vccnz .LBB141_9
; %bb.1:
	v_lshl_add_u32 v1, v9, 4, v7
	v_lshrrev_b32_e32 v6, 5, v1
	v_lshrrev_b32_e32 v10, 3, v1
	v_and_b32_e32 v1, 31, v1
	v_mov_b32_e32 v5, s7
	v_or_b32_e32 v4, s6, v1
	v_and_b32_e32 v8, 7, v7
	v_cmp_gt_i64_e64 s[0:1], s[36:37], v[4:5]
	v_lshlrev_b32_e32 v4, 4, v1
	v_lshl_or_b32 v32, v6, 9, v4
	v_lshlrev_b32_e32 v4, 4, v8
	v_mov_b32_e32 v3, s11
	v_add_co_u32_e32 v2, vcc, s10, v10
	v_lshl_or_b32 v5, v10, 7, v4
	v_addc_co_u32_e32 v3, vcc, 0, v3, vcc
	v_add_u32_e32 v33, 0x1000, v5
	v_mov_b32_e32 v5, 0x1000
	v_cmp_gt_i64_e32 vcc, s[38:39], v[2:3]
	v_lshl_add_u32 v35, v9, 7, v5
	v_mul_lo_u32 v5, s15, v2
	v_mul_lo_u32 v10, s14, v3
	v_mad_u64_u32 v[2:3], s[2:3], s14, v2, 0
	s_mul_i32 s2, s17, s8
	s_mul_hi_u32 s3, s16, s8
	v_add3_u32 v3, v3, v10, v5
	s_add_i32 s3, s3, s2
	s_mul_i32 s2, s16, s8
	v_lshlrev_b64 v[2:3], 4, v[2:3]
	s_lshl_b64 s[2:3], s[2:3], 4
	v_mov_b32_e32 v5, s3
	v_add_co_u32_e64 v2, s[2:3], s2, v2
	v_addc_co_u32_e64 v3, s[2:3], v3, v5, s[2:3]
	v_add_co_u32_e64 v2, s[2:3], v2, v4
	v_addc_co_u32_e64 v3, s[2:3], 0, v3, s[2:3]
	v_mov_b32_e32 v4, s13
	v_add_co_u32_e64 v10, s[2:3], s12, v2
	v_addc_co_u32_e64 v11, s[2:3], v4, v3, s[2:3]
	v_mov_b32_e32 v2, s7
	v_add_co_u32_e64 v1, s[2:3], s6, v1
	v_addc_co_u32_e64 v2, s[2:3], 0, v2, s[2:3]
	v_mul_lo_u32 v5, s48, v2
	v_mad_u64_u32 v[2:3], s[2:3], s48, v1, 0
	v_mul_lo_u32 v4, s49, v1
	s_mul_i32 s2, s51, s8
	s_mul_hi_u32 s3, s50, s8
	v_add3_u32 v3, v3, v5, v4
	s_add_i32 s3, s3, s2
	s_mul_i32 s2, s50, s8
	v_lshlrev_b64 v[2:3], 4, v[2:3]
	s_lshl_b64 s[2:3], s[2:3], 4
	v_mov_b32_e32 v1, s3
	v_add_co_u32_e64 v2, s[2:3], s2, v2
	v_addc_co_u32_e64 v1, s[2:3], v3, v1, s[2:3]
	v_lshlrev_b32_e32 v3, 4, v6
	v_add_co_u32_e64 v2, s[2:3], v2, v3
	v_addc_co_u32_e64 v1, s[2:3], 0, v1, s[2:3]
	v_mov_b32_e32 v3, s47
	v_add_co_u32_e64 v2, s[2:3], s46, v2
	v_addc_co_u32_e64 v1, s[2:3], v1, v3, s[2:3]
	v_add_co_u32_e64 v12, s[2:3], 8, v2
	v_addc_co_u32_e64 v13, s[2:3], 0, v1, s[2:3]
	v_pk_mov_b32 v[14:15], 0, 0
	v_mov_b32_e32 v0, 0
	v_lshlrev_b32_e32 v34, 4, v7
	s_xor_b64 s[2:3], vcc, -1
	v_pk_mov_b32 v[18:19], v[14:15], v[14:15] op_sel:[0,1]
	v_pk_mov_b32 v[16:17], v[14:15], v[14:15] op_sel:[0,1]
	;; [unrolled: 1-line block ×8, first 2 shown]
	s_branch .LBB141_3
.LBB141_2:                              ;   in Loop: Header=BB141_3 Depth=1
	s_or_b64 exec, exec, s[12:13]
	s_waitcnt lgkmcnt(0)
	s_barrier
	ds_read_b128 v[36:39], v34
	ds_read_b128 v[40:43], v35
	ds_read_b128 v[44:47], v35 offset:16
	ds_read_b128 v[48:51], v35 offset:32
	;; [unrolled: 1-line block ×4, first 2 shown]
	s_waitcnt lgkmcnt(4)
	v_mul_f64 v[56:57], v[42:43], v[38:39]
	v_fma_f64 v[56:57], v[40:41], v[36:37], -v[56:57]
	v_mul_f64 v[58:59], v[40:41], v[38:39]
	v_fmac_f64_e32 v[58:59], v[42:43], v[36:37]
	v_add_f64 v[56:57], v[28:29], v[56:57]
	s_waitcnt lgkmcnt(0)
	v_mul_f64 v[28:29], v[42:43], v[54:55]
	v_add_f64 v[58:59], v[30:31], v[58:59]
	v_fma_f64 v[60:61], v[40:41], v[52:53], -v[28:29]
	ds_read_b128 v[28:31], v35 offset:2048
	v_mul_f64 v[40:41], v[40:41], v[54:55]
	v_fmac_f64_e32 v[40:41], v[42:43], v[52:53]
	v_add_f64 v[42:43], v[24:25], v[60:61]
	v_add_f64 v[40:41], v[26:27], v[40:41]
	ds_read_b128 v[24:27], v35 offset:2064
	s_waitcnt lgkmcnt(1)
	v_mul_f64 v[60:61], v[30:31], v[38:39]
	v_fma_f64 v[60:61], v[28:29], v[36:37], -v[60:61]
	v_mul_f64 v[38:39], v[28:29], v[38:39]
	v_fmac_f64_e32 v[38:39], v[30:31], v[36:37]
	v_add_f64 v[36:37], v[20:21], v[60:61]
	v_mul_f64 v[20:21], v[30:31], v[54:55]
	v_add_f64 v[38:39], v[22:23], v[38:39]
	v_fma_f64 v[60:61], v[28:29], v[52:53], -v[20:21]
	v_mul_f64 v[28:29], v[28:29], v[54:55]
	ds_read_b128 v[20:23], v34 offset:512
	v_fmac_f64_e32 v[28:29], v[30:31], v[52:53]
	v_add_f64 v[30:31], v[16:17], v[60:61]
	v_add_f64 v[28:29], v[18:19], v[28:29]
	ds_read_b128 v[16:19], v34 offset:768
	s_waitcnt lgkmcnt(1)
	v_mul_f64 v[52:53], v[46:47], v[22:23]
	v_fma_f64 v[52:53], v[44:45], v[20:21], -v[52:53]
	v_add_f64 v[52:53], v[56:57], v[52:53]
	v_mul_f64 v[54:55], v[44:45], v[22:23]
	s_waitcnt lgkmcnt(0)
	v_mul_f64 v[56:57], v[46:47], v[18:19]
	v_fma_f64 v[56:57], v[44:45], v[16:17], -v[56:57]
	v_mul_f64 v[44:45], v[44:45], v[18:19]
	v_fmac_f64_e32 v[44:45], v[46:47], v[16:17]
	v_add_f64 v[40:41], v[40:41], v[44:45]
	v_mul_f64 v[44:45], v[26:27], v[22:23]
	v_mul_f64 v[22:23], v[24:25], v[22:23]
	v_fmac_f64_e32 v[54:55], v[46:47], v[20:21]
	v_fma_f64 v[44:45], v[24:25], v[20:21], -v[44:45]
	v_fmac_f64_e32 v[22:23], v[26:27], v[20:21]
	v_mul_f64 v[20:21], v[26:27], v[18:19]
	v_add_f64 v[46:47], v[38:39], v[22:23]
	v_fma_f64 v[22:23], v[24:25], v[16:17], -v[20:21]
	v_mul_f64 v[24:25], v[24:25], v[18:19]
	ds_read_b128 v[18:21], v34 offset:1024
	v_fmac_f64_e32 v[24:25], v[26:27], v[16:17]
	v_add_f64 v[42:43], v[42:43], v[56:57]
	v_add_f64 v[30:31], v[30:31], v[22:23]
	;; [unrolled: 1-line block ×3, first 2 shown]
	ds_read_b128 v[22:25], v34 offset:1280
	s_waitcnt lgkmcnt(1)
	v_mul_f64 v[26:27], v[48:49], v[20:21]
	v_add_f64 v[54:55], v[58:59], v[54:55]
	v_fmac_f64_e32 v[26:27], v[50:51], v[18:19]
	v_add_f64 v[54:55], v[54:55], v[26:27]
	ds_read_b128 v[26:29], v35 offset:2080
	v_mul_f64 v[16:17], v[50:51], v[20:21]
	v_fma_f64 v[16:17], v[48:49], v[18:19], -v[16:17]
	v_add_f64 v[44:45], v[36:37], v[44:45]
	v_add_f64 v[52:53], v[52:53], v[16:17]
	s_waitcnt lgkmcnt(1)
	v_mul_f64 v[16:17], v[50:51], v[24:25]
	v_mul_f64 v[36:37], v[48:49], v[24:25]
	v_fma_f64 v[16:17], v[48:49], v[22:23], -v[16:17]
	v_fmac_f64_e32 v[36:37], v[50:51], v[22:23]
	v_add_f64 v[42:43], v[42:43], v[16:17]
	v_add_f64 v[40:41], v[40:41], v[36:37]
	ds_read_b128 v[36:39], v35 offset:2096
	s_waitcnt lgkmcnt(1)
	v_mul_f64 v[16:17], v[28:29], v[20:21]
	v_fma_f64 v[16:17], v[26:27], v[18:19], -v[16:17]
	v_mul_f64 v[20:21], v[26:27], v[20:21]
	v_fmac_f64_e32 v[20:21], v[28:29], v[18:19]
	v_add_f64 v[44:45], v[44:45], v[16:17]
	v_mul_f64 v[16:17], v[28:29], v[24:25]
	v_add_f64 v[46:47], v[46:47], v[20:21]
	v_fma_f64 v[20:21], v[26:27], v[22:23], -v[16:17]
	v_mul_f64 v[24:25], v[26:27], v[24:25]
	ds_read_b128 v[16:19], v34 offset:1536
	v_fmac_f64_e32 v[24:25], v[28:29], v[22:23]
	v_add_f64 v[26:27], v[30:31], v[20:21]
	ds_read_b128 v[20:23], v34 offset:1792
	v_add_f64 v[24:25], v[56:57], v[24:25]
	s_waitcnt lgkmcnt(1)
	v_mul_f64 v[28:29], v[4:5], v[18:19]
	v_fma_f64 v[28:29], v[2:3], v[16:17], -v[28:29]
	v_mul_f64 v[30:31], v[2:3], v[18:19]
	s_waitcnt lgkmcnt(0)
	v_mul_f64 v[48:49], v[4:5], v[22:23]
	v_fma_f64 v[48:49], v[2:3], v[20:21], -v[48:49]
	v_mul_f64 v[2:3], v[2:3], v[22:23]
	v_fmac_f64_e32 v[2:3], v[4:5], v[20:21]
	v_add_f64 v[40:41], v[40:41], v[2:3]
	v_mul_f64 v[2:3], v[38:39], v[18:19]
	v_fmac_f64_e32 v[30:31], v[4:5], v[16:17]
	v_fma_f64 v[2:3], v[36:37], v[16:17], -v[2:3]
	v_mul_f64 v[4:5], v[36:37], v[18:19]
	v_fmac_f64_e32 v[4:5], v[38:39], v[16:17]
	v_add_f64 v[44:45], v[44:45], v[2:3]
	v_mul_f64 v[2:3], v[38:39], v[22:23]
	v_add_f64 v[42:43], v[42:43], v[48:49]
	v_add_f64 v[46:47], v[46:47], v[4:5]
	v_fma_f64 v[48:49], v[36:37], v[20:21], -v[2:3]
	ds_read_b128 v[2:5], v35 offset:64
	ds_read_b128 v[16:19], v34 offset:2048
	v_mul_f64 v[22:23], v[36:37], v[22:23]
	v_fmac_f64_e32 v[22:23], v[38:39], v[20:21]
	v_add_f64 v[36:37], v[26:27], v[48:49]
	v_add_f64 v[38:39], v[24:25], v[22:23]
	ds_read_b128 v[20:23], v34 offset:2304
	ds_read_b128 v[24:27], v35 offset:80
	s_waitcnt lgkmcnt(2)
	v_mul_f64 v[48:49], v[4:5], v[18:19]
	v_add_f64 v[28:29], v[52:53], v[28:29]
	v_fma_f64 v[48:49], v[2:3], v[16:17], -v[48:49]
	v_mul_f64 v[50:51], v[2:3], v[18:19]
	v_add_f64 v[30:31], v[54:55], v[30:31]
	v_fmac_f64_e32 v[50:51], v[4:5], v[16:17]
	v_add_f64 v[48:49], v[28:29], v[48:49]
	s_waitcnt lgkmcnt(1)
	v_mul_f64 v[28:29], v[4:5], v[22:23]
	v_add_f64 v[50:51], v[30:31], v[50:51]
	v_fma_f64 v[52:53], v[2:3], v[20:21], -v[28:29]
	ds_read_b128 v[28:31], v35 offset:2112
	v_mul_f64 v[2:3], v[2:3], v[22:23]
	v_fmac_f64_e32 v[2:3], v[4:5], v[20:21]
	v_add_f64 v[42:43], v[42:43], v[52:53]
	v_add_f64 v[40:41], v[40:41], v[2:3]
	ds_read_b128 v[2:5], v35 offset:2128
	s_waitcnt lgkmcnt(1)
	v_mul_f64 v[52:53], v[30:31], v[18:19]
	v_mul_f64 v[18:19], v[28:29], v[18:19]
	v_fma_f64 v[52:53], v[28:29], v[16:17], -v[52:53]
	v_fmac_f64_e32 v[18:19], v[30:31], v[16:17]
	v_mul_f64 v[16:17], v[30:31], v[22:23]
	v_add_f64 v[44:45], v[44:45], v[52:53]
	v_add_f64 v[46:47], v[46:47], v[18:19]
	v_fma_f64 v[52:53], v[28:29], v[20:21], -v[16:17]
	v_mul_f64 v[22:23], v[28:29], v[22:23]
	ds_read_b128 v[16:19], v34 offset:2560
	v_fmac_f64_e32 v[22:23], v[30:31], v[20:21]
	v_add_f64 v[30:31], v[38:39], v[22:23]
	ds_read_b128 v[20:23], v34 offset:2816
	v_add_f64 v[28:29], v[36:37], v[52:53]
	s_waitcnt lgkmcnt(1)
	v_mul_f64 v[36:37], v[26:27], v[18:19]
	v_fma_f64 v[36:37], v[24:25], v[16:17], -v[36:37]
	v_add_f64 v[36:37], v[48:49], v[36:37]
	s_waitcnt lgkmcnt(0)
	v_mul_f64 v[48:49], v[26:27], v[22:23]
	v_mul_f64 v[38:39], v[24:25], v[18:19]
	v_fma_f64 v[48:49], v[24:25], v[20:21], -v[48:49]
	v_mul_f64 v[24:25], v[24:25], v[22:23]
	v_fmac_f64_e32 v[24:25], v[26:27], v[20:21]
	v_add_f64 v[40:41], v[40:41], v[24:25]
	v_mul_f64 v[24:25], v[4:5], v[18:19]
	v_mul_f64 v[18:19], v[2:3], v[18:19]
	v_fmac_f64_e32 v[38:39], v[26:27], v[16:17]
	v_fma_f64 v[24:25], v[2:3], v[16:17], -v[24:25]
	v_fmac_f64_e32 v[18:19], v[4:5], v[16:17]
	v_mul_f64 v[16:17], v[4:5], v[22:23]
	v_mul_f64 v[22:23], v[2:3], v[22:23]
	v_add_f64 v[44:45], v[44:45], v[24:25]
	v_add_f64 v[46:47], v[46:47], v[18:19]
	v_fma_f64 v[24:25], v[2:3], v[20:21], -v[16:17]
	v_fmac_f64_e32 v[22:23], v[4:5], v[20:21]
	ds_read_b128 v[2:5], v35 offset:96
	ds_read_b128 v[16:19], v34 offset:3072
	v_add_f64 v[38:39], v[50:51], v[38:39]
	v_add_f64 v[42:43], v[42:43], v[48:49]
	;; [unrolled: 1-line block ×4, first 2 shown]
	ds_read_b128 v[20:23], v34 offset:3328
	ds_read_b128 v[24:27], v35 offset:112
	s_waitcnt lgkmcnt(2)
	v_mul_f64 v[28:29], v[4:5], v[18:19]
	v_fma_f64 v[28:29], v[2:3], v[16:17], -v[28:29]
	v_mul_f64 v[30:31], v[2:3], v[18:19]
	v_fmac_f64_e32 v[30:31], v[4:5], v[16:17]
	v_add_f64 v[52:53], v[36:37], v[28:29]
	s_waitcnt lgkmcnt(1)
	v_mul_f64 v[28:29], v[4:5], v[22:23]
	v_add_f64 v[54:55], v[38:39], v[30:31]
	v_fma_f64 v[36:37], v[2:3], v[20:21], -v[28:29]
	ds_read_b128 v[28:31], v35 offset:2144
	v_mul_f64 v[2:3], v[2:3], v[22:23]
	v_fmac_f64_e32 v[2:3], v[4:5], v[20:21]
	v_add_f64 v[42:43], v[42:43], v[36:37]
	v_add_f64 v[40:41], v[40:41], v[2:3]
	ds_read_b128 v[2:5], v35 offset:2160
	s_waitcnt lgkmcnt(1)
	v_mul_f64 v[36:37], v[30:31], v[18:19]
	v_mul_f64 v[18:19], v[28:29], v[18:19]
	v_fma_f64 v[36:37], v[28:29], v[16:17], -v[36:37]
	v_fmac_f64_e32 v[18:19], v[30:31], v[16:17]
	v_mul_f64 v[16:17], v[30:31], v[22:23]
	v_add_f64 v[44:45], v[44:45], v[36:37]
	v_add_f64 v[46:47], v[46:47], v[18:19]
	v_fma_f64 v[36:37], v[28:29], v[20:21], -v[16:17]
	ds_read_b128 v[16:19], v34 offset:3584
	v_add_f64 v[48:49], v[48:49], v[36:37]
	ds_read_b128 v[36:39], v34 offset:3840
	v_mul_f64 v[22:23], v[28:29], v[22:23]
	v_fmac_f64_e32 v[22:23], v[30:31], v[20:21]
	s_waitcnt lgkmcnt(1)
	v_mul_f64 v[20:21], v[26:27], v[18:19]
	v_fma_f64 v[20:21], v[24:25], v[16:17], -v[20:21]
	v_add_f64 v[50:51], v[50:51], v[22:23]
	v_mul_f64 v[22:23], v[24:25], v[18:19]
	v_add_f64 v[28:29], v[52:53], v[20:21]
	s_waitcnt lgkmcnt(0)
	v_mul_f64 v[20:21], v[26:27], v[38:39]
	v_fmac_f64_e32 v[22:23], v[26:27], v[16:17]
	v_fma_f64 v[20:21], v[24:25], v[36:37], -v[20:21]
	v_add_f64 v[30:31], v[54:55], v[22:23]
	v_mul_f64 v[22:23], v[24:25], v[38:39]
	v_add_f64 v[24:25], v[42:43], v[20:21]
	v_mul_f64 v[20:21], v[4:5], v[18:19]
	v_mul_f64 v[18:19], v[2:3], v[18:19]
	v_fma_f64 v[20:21], v[2:3], v[16:17], -v[20:21]
	v_fmac_f64_e32 v[18:19], v[4:5], v[16:17]
	v_mul_f64 v[16:17], v[4:5], v[38:39]
	v_add_co_u32_e32 v10, vcc, 0x80, v10
	v_fma_f64 v[16:17], v[2:3], v[36:37], -v[16:17]
	v_mul_f64 v[2:3], v[2:3], v[38:39]
	v_addc_co_u32_e32 v11, vcc, 0, v11, vcc
	v_fmac_f64_e32 v[22:23], v[26:27], v[36:37]
	v_fmac_f64_e32 v[2:3], v[4:5], v[36:37]
	s_add_u32 s28, s28, 8
	v_add_co_u32_e32 v12, vcc, 0x80, v12
	v_add_f64 v[26:27], v[40:41], v[22:23]
	v_add_f64 v[22:23], v[46:47], v[18:19]
	v_add_f64 v[18:19], v[50:51], v[2:3]
	s_addc_u32 s29, s29, 0
	v_addc_co_u32_e32 v13, vcc, 0, v13, vcc
	v_pk_mov_b32 v[2:3], s[40:41], s[40:41] op_sel:[0,1]
	v_cmp_lt_i64_e32 vcc, s[28:29], v[2:3]
	v_add_f64 v[20:21], v[44:45], v[20:21]
	v_add_f64 v[16:17], v[48:49], v[16:17]
	s_barrier
	s_cbranch_vccz .LBB141_9
.LBB141_3:                              ; =>This Inner Loop Header: Depth=1
	v_mov_b32_e32 v1, s29
	v_add_co_u32_e32 v2, vcc, s28, v6
	v_addc_co_u32_e32 v3, vcc, 0, v1, vcc
	v_cmp_gt_i64_e32 vcc, s[40:41], v[2:3]
	s_and_b64 s[14:15], s[0:1], vcc
	v_pk_mov_b32 v[2:3], v[14:15], v[14:15] op_sel:[0,1]
	v_pk_mov_b32 v[4:5], v[14:15], v[14:15] op_sel:[0,1]
	s_and_saveexec_b64 s[12:13], s[14:15]
	s_cbranch_execz .LBB141_5
; %bb.4:                                ;   in Loop: Header=BB141_3 Depth=1
	global_load_dwordx4 v[2:5], v[12:13], off offset:-8
	s_waitcnt vmcnt(0)
	v_xor_b32_e32 v5, 0x80000000, v5
.LBB141_5:                              ;   in Loop: Header=BB141_3 Depth=1
	s_or_b64 exec, exec, s[12:13]
	ds_write_b128 v32, v[2:5]
	v_mov_b32_e32 v1, s29
	v_add_co_u32_e32 v2, vcc, s28, v8
	v_addc_co_u32_e32 v3, vcc, 0, v1, vcc
	v_cmp_le_i64_e32 vcc, s[40:41], v[2:3]
	s_or_b64 s[12:13], vcc, s[2:3]
	s_and_saveexec_b64 s[14:15], s[12:13]
	s_xor_b64 s[12:13], exec, s[14:15]
	s_cbranch_execz .LBB141_7
; %bb.6:                                ;   in Loop: Header=BB141_3 Depth=1
	v_mov_b32_e32 v1, v0
	v_mov_b32_e32 v2, v0
	;; [unrolled: 1-line block ×3, first 2 shown]
	ds_write_b128 v33, v[0:3]
.LBB141_7:                              ;   in Loop: Header=BB141_3 Depth=1
	s_andn2_saveexec_b64 s[12:13], s[12:13]
	s_cbranch_execz .LBB141_2
; %bb.8:                                ;   in Loop: Header=BB141_3 Depth=1
	global_load_dwordx4 v[2:5], v[10:11], off
	s_waitcnt vmcnt(0)
	ds_write2_b64 v33, v[2:3], v[4:5] offset1:1
	s_branch .LBB141_2
.LBB141_9:
	s_load_dwordx2 s[0:1], s[4:5], 0x90
	s_load_dwordx4 s[12:15], s[4:5], 0x80
	v_mov_b32_e32 v1, s11
	v_add_co_u32_e32 v0, vcc, s10, v9
	s_waitcnt lgkmcnt(0)
	s_mul_i32 s1, s8, s1
	s_mul_hi_u32 s2, s8, s0
	s_mul_i32 s0, s8, s0
	s_add_i32 s1, s2, s1
	s_lshl_b64 s[0:1], s[0:1], 4
	s_add_u32 s9, s12, s0
	s_addc_u32 s16, s13, s1
	v_cmp_neq_f64_e64 s[0:1], s[18:19], 0
	v_cmp_neq_f64_e64 s[2:3], s[20:21], 0
	v_addc_co_u32_e32 v1, vcc, 0, v1, vcc
	s_or_b64 s[4:5], s[0:1], s[2:3]
	v_cmp_gt_i64_e64 s[0:1], s[38:39], v[0:1]
	s_mov_b64 s[2:3], -1
	s_and_b64 vcc, exec, s[4:5]
	s_cbranch_vccnz .LBB141_21
; %bb.10:
	s_and_saveexec_b64 s[10:11], s[0:1]
	s_cbranch_execz .LBB141_20
; %bb.11:
	v_mov_b32_e32 v2, s7
	v_add_co_u32_e32 v4, vcc, s6, v7
	v_addc_co_u32_e32 v5, vcc, 0, v2, vcc
	v_mul_lo_u32 v6, v1, s14
	v_mul_lo_u32 v8, v0, s15
	v_mad_u64_u32 v[2:3], s[2:3], v0, s14, 0
	v_add3_u32 v3, v3, v8, v6
	v_lshlrev_b64 v[2:3], 4, v[2:3]
	v_mov_b32_e32 v8, s16
	v_add_co_u32_e64 v6, s[2:3], s9, v2
	v_cmp_gt_i64_e32 vcc, s[36:37], v[4:5]
	v_addc_co_u32_e64 v8, s[2:3], v8, v3, s[2:3]
	v_lshlrev_b64 v[2:3], 4, v[4:5]
	s_and_saveexec_b64 s[4:5], vcc
	s_cbranch_execz .LBB141_13
; %bb.12:
	v_mul_f64 v[10:11], s[44:45], v[30:31]
	v_mul_f64 v[12:13], s[42:43], v[30:31]
	v_add_co_u32_e64 v14, s[2:3], v6, v2
	v_fma_f64 v[10:11], s[42:43], v[28:29], -v[10:11]
	v_fmac_f64_e32 v[12:13], s[44:45], v[28:29]
	v_addc_co_u32_e64 v15, s[2:3], v8, v3, s[2:3]
	global_store_dwordx4 v[14:15], v[10:13], off
.LBB141_13:
	s_or_b64 exec, exec, s[4:5]
	v_add_co_u32_e64 v4, s[2:3], 16, v4
	v_addc_co_u32_e64 v5, s[2:3], 0, v5, s[2:3]
	v_cmp_gt_i64_e64 s[2:3], s[36:37], v[4:5]
	s_and_saveexec_b64 s[12:13], s[2:3]
	s_cbranch_execz .LBB141_15
; %bb.14:
	v_mul_f64 v[4:5], s[44:45], v[26:27]
	v_fma_f64 v[10:11], s[42:43], v[24:25], -v[4:5]
	v_mul_f64 v[12:13], s[42:43], v[26:27]
	v_add_co_u32_e64 v4, s[4:5], v6, v2
	v_fmac_f64_e32 v[12:13], s[44:45], v[24:25]
	v_addc_co_u32_e64 v5, s[4:5], v8, v3, s[4:5]
	global_store_dwordx4 v[4:5], v[10:13], off offset:256
.LBB141_15:
	s_or_b64 exec, exec, s[12:13]
	v_add_co_u32_e64 v4, s[4:5], 16, v0
	v_addc_co_u32_e64 v5, s[4:5], 0, v1, s[4:5]
	v_cmp_gt_i64_e64 s[4:5], s[38:39], v[4:5]
	s_and_b64 exec, exec, s[4:5]
	s_cbranch_execz .LBB141_20
; %bb.16:
	s_lshl_b64 s[4:5], s[14:15], 8
	v_mov_b32_e32 v4, s5
	v_add_co_u32_e64 v5, s[4:5], s4, v6
	v_addc_co_u32_e64 v4, s[4:5], v8, v4, s[4:5]
	v_add_co_u32_e64 v2, s[4:5], v5, v2
	v_addc_co_u32_e64 v3, s[4:5], v4, v3, s[4:5]
	s_and_saveexec_b64 s[4:5], vcc
	s_cbranch_execz .LBB141_18
; %bb.17:
	v_mul_f64 v[4:5], s[44:45], v[22:23]
	v_mul_f64 v[10:11], s[42:43], v[22:23]
	v_fma_f64 v[8:9], s[42:43], v[20:21], -v[4:5]
	v_fmac_f64_e32 v[10:11], s[44:45], v[20:21]
	global_store_dwordx4 v[2:3], v[8:11], off
.LBB141_18:
	s_or_b64 exec, exec, s[4:5]
	s_and_b64 exec, exec, s[2:3]
	s_cbranch_execz .LBB141_20
; %bb.19:
	v_mul_f64 v[4:5], s[44:45], v[18:19]
	v_mul_f64 v[10:11], s[42:43], v[18:19]
	v_fma_f64 v[8:9], s[42:43], v[16:17], -v[4:5]
	v_fmac_f64_e32 v[10:11], s[44:45], v[16:17]
	global_store_dwordx4 v[2:3], v[8:11], off offset:256
.LBB141_20:
	s_or_b64 exec, exec, s[10:11]
	s_mov_b64 s[2:3], 0
.LBB141_21:
	s_andn2_b64 vcc, exec, s[2:3]
	s_cbranch_vccnz .LBB141_32
; %bb.22:
	s_and_saveexec_b64 s[2:3], s[0:1]
	s_cbranch_execz .LBB141_32
; %bb.23:
	s_mul_i32 s0, s8, s27
	s_mul_hi_u32 s1, s8, s26
	s_add_i32 s1, s1, s0
	s_mul_i32 s0, s8, s26
	s_lshl_b64 s[0:1], s[0:1], 4
	s_add_u32 s2, s22, s0
	v_mov_b32_e32 v2, s7
	v_add_co_u32_e32 v4, vcc, s6, v7
	s_addc_u32 s3, s23, s1
	v_addc_co_u32_e32 v5, vcc, 0, v2, vcc
	v_mul_lo_u32 v6, v1, s24
	v_mul_lo_u32 v7, v0, s25
	v_mad_u64_u32 v[2:3], s[0:1], v0, s24, 0
	v_add3_u32 v3, v3, v7, v6
	v_mul_lo_u32 v6, v1, s14
	v_mul_lo_u32 v7, v0, s15
	v_mad_u64_u32 v[8:9], s[0:1], v0, s14, 0
	v_lshlrev_b64 v[2:3], 4, v[2:3]
	v_add3_u32 v9, v9, v7, v6
	v_mov_b32_e32 v7, s3
	v_add_co_u32_e64 v6, s[0:1], s2, v2
	v_addc_co_u32_e64 v7, s[0:1], v7, v3, s[0:1]
	v_lshlrev_b64 v[2:3], 4, v[8:9]
	v_mov_b32_e32 v9, s16
	v_add_co_u32_e64 v8, s[0:1], s9, v2
	v_cmp_gt_i64_e32 vcc, s[36:37], v[4:5]
	v_addc_co_u32_e64 v9, s[0:1], v9, v3, s[0:1]
	v_lshlrev_b64 v[2:3], 4, v[4:5]
	s_and_saveexec_b64 s[2:3], vcc
	s_cbranch_execz .LBB141_25
; %bb.24:
	v_add_co_u32_e64 v10, s[0:1], v6, v2
	v_addc_co_u32_e64 v11, s[0:1], v7, v3, s[0:1]
	global_load_dwordx4 v[10:13], v[10:11], off
	v_mul_f64 v[14:15], s[44:45], v[30:31]
	v_mul_f64 v[30:31], s[42:43], v[30:31]
	v_fma_f64 v[14:15], s[42:43], v[28:29], -v[14:15]
	v_fmac_f64_e32 v[30:31], s[44:45], v[28:29]
	s_waitcnt vmcnt(0)
	v_mul_f64 v[28:29], s[20:21], v[12:13]
	v_mul_f64 v[12:13], s[18:19], v[12:13]
	v_fma_f64 v[28:29], s[18:19], v[10:11], -v[28:29]
	v_fmac_f64_e32 v[12:13], s[20:21], v[10:11]
	v_add_f64 v[10:11], v[14:15], v[28:29]
	v_add_co_u32_e64 v14, s[0:1], v8, v2
	v_add_f64 v[12:13], v[30:31], v[12:13]
	v_addc_co_u32_e64 v15, s[0:1], v9, v3, s[0:1]
	global_store_dwordx4 v[14:15], v[10:13], off
.LBB141_25:
	s_or_b64 exec, exec, s[2:3]
	v_add_co_u32_e64 v4, s[0:1], 16, v4
	v_addc_co_u32_e64 v5, s[0:1], 0, v5, s[0:1]
	v_cmp_gt_i64_e64 s[0:1], s[36:37], v[4:5]
	s_and_saveexec_b64 s[4:5], s[0:1]
	s_cbranch_execz .LBB141_27
; %bb.26:
	v_add_co_u32_e64 v4, s[2:3], v6, v2
	v_addc_co_u32_e64 v5, s[2:3], v7, v3, s[2:3]
	global_load_dwordx4 v[10:13], v[4:5], off offset:256
	v_mul_f64 v[4:5], s[44:45], v[26:27]
	v_mul_f64 v[14:15], s[42:43], v[26:27]
	v_fma_f64 v[4:5], s[42:43], v[24:25], -v[4:5]
	v_fmac_f64_e32 v[14:15], s[44:45], v[24:25]
	s_waitcnt vmcnt(0)
	v_mul_f64 v[24:25], s[20:21], v[12:13]
	v_mul_f64 v[12:13], s[18:19], v[12:13]
	v_fma_f64 v[24:25], s[18:19], v[10:11], -v[24:25]
	v_fmac_f64_e32 v[12:13], s[20:21], v[10:11]
	v_add_f64 v[10:11], v[4:5], v[24:25]
	v_add_co_u32_e64 v4, s[2:3], v8, v2
	v_add_f64 v[12:13], v[14:15], v[12:13]
	v_addc_co_u32_e64 v5, s[2:3], v9, v3, s[2:3]
	global_store_dwordx4 v[4:5], v[10:13], off offset:256
.LBB141_27:
	s_or_b64 exec, exec, s[4:5]
	v_add_co_u32_e64 v0, s[2:3], 16, v0
	v_addc_co_u32_e64 v1, s[2:3], 0, v1, s[2:3]
	v_cmp_gt_i64_e64 s[2:3], s[38:39], v[0:1]
	s_and_b64 exec, exec, s[2:3]
	s_cbranch_execz .LBB141_32
; %bb.28:
	s_lshl_b64 s[2:3], s[24:25], 8
	v_mov_b32_e32 v0, s3
	v_add_co_u32_e64 v1, s[2:3], s2, v6
	v_addc_co_u32_e64 v0, s[2:3], v7, v0, s[2:3]
	s_lshl_b64 s[2:3], s[14:15], 8
	v_mov_b32_e32 v4, s3
	v_add_co_u32_e64 v6, s[2:3], s2, v8
	v_addc_co_u32_e64 v7, s[2:3], v9, v4, s[2:3]
	v_add_co_u32_e64 v4, s[2:3], v1, v2
	v_addc_co_u32_e64 v5, s[2:3], v0, v3, s[2:3]
	;; [unrolled: 2-line block ×3, first 2 shown]
	s_and_saveexec_b64 s[2:3], vcc
	s_cbranch_execz .LBB141_30
; %bb.29:
	global_load_dwordx4 v[6:9], v[4:5], off
	v_mul_f64 v[2:3], s[44:45], v[22:23]
	v_mul_f64 v[10:11], s[42:43], v[22:23]
	v_fma_f64 v[2:3], s[42:43], v[20:21], -v[2:3]
	v_fmac_f64_e32 v[10:11], s[44:45], v[20:21]
	s_waitcnt vmcnt(0)
	v_mul_f64 v[12:13], s[20:21], v[8:9]
	v_mul_f64 v[8:9], s[18:19], v[8:9]
	v_fma_f64 v[12:13], s[18:19], v[6:7], -v[12:13]
	v_fmac_f64_e32 v[8:9], s[20:21], v[6:7]
	v_add_f64 v[6:7], v[2:3], v[12:13]
	v_add_f64 v[8:9], v[10:11], v[8:9]
	global_store_dwordx4 v[0:1], v[6:9], off
.LBB141_30:
	s_or_b64 exec, exec, s[2:3]
	s_and_b64 exec, exec, s[0:1]
	s_cbranch_execz .LBB141_32
; %bb.31:
	global_load_dwordx4 v[2:5], v[4:5], off offset:256
	v_mul_f64 v[6:7], s[44:45], v[18:19]
	v_mul_f64 v[8:9], s[42:43], v[18:19]
	v_fma_f64 v[6:7], s[42:43], v[16:17], -v[6:7]
	v_fmac_f64_e32 v[8:9], s[44:45], v[16:17]
	s_waitcnt vmcnt(0)
	v_mul_f64 v[10:11], s[20:21], v[4:5]
	v_mul_f64 v[4:5], s[18:19], v[4:5]
	v_fma_f64 v[10:11], s[18:19], v[2:3], -v[10:11]
	v_fmac_f64_e32 v[4:5], s[20:21], v[2:3]
	v_add_f64 v[2:3], v[6:7], v[10:11]
	v_add_f64 v[4:5], v[8:9], v[4:5]
	global_store_dwordx4 v[0:1], v[2:5], off offset:256
.LBB141_32:
	s_endpgm
	.section	.rodata,"a",@progbits
	.p2align	6, 0x0
	.amdhsa_kernel _ZN12_GLOBAL__N_135rocblas_gemm_batched_general_kernelI19rocblas_complex_numIdELi16ELi16ELi32ELi32ELi8ELi32ELi8ELi8ELi32ELc67ELc78EKS2_S3_S2_EEvlllT_PT11_llS6_llS4_PT12_llPT13_lli
		.amdhsa_group_segment_fixed_size 8192
		.amdhsa_private_segment_fixed_size 0
		.amdhsa_kernarg_size 156
		.amdhsa_user_sgpr_count 6
		.amdhsa_user_sgpr_private_segment_buffer 1
		.amdhsa_user_sgpr_dispatch_ptr 0
		.amdhsa_user_sgpr_queue_ptr 0
		.amdhsa_user_sgpr_kernarg_segment_ptr 1
		.amdhsa_user_sgpr_dispatch_id 0
		.amdhsa_user_sgpr_flat_scratch_init 0
		.amdhsa_user_sgpr_kernarg_preload_length 0
		.amdhsa_user_sgpr_kernarg_preload_offset 0
		.amdhsa_user_sgpr_private_segment_size 0
		.amdhsa_uses_dynamic_stack 0
		.amdhsa_system_sgpr_private_segment_wavefront_offset 0
		.amdhsa_system_sgpr_workgroup_id_x 1
		.amdhsa_system_sgpr_workgroup_id_y 1
		.amdhsa_system_sgpr_workgroup_id_z 1
		.amdhsa_system_sgpr_workgroup_info 0
		.amdhsa_system_vgpr_workitem_id 1
		.amdhsa_next_free_vgpr 62
		.amdhsa_next_free_sgpr 52
		.amdhsa_accum_offset 64
		.amdhsa_reserve_vcc 1
		.amdhsa_reserve_flat_scratch 0
		.amdhsa_float_round_mode_32 0
		.amdhsa_float_round_mode_16_64 0
		.amdhsa_float_denorm_mode_32 3
		.amdhsa_float_denorm_mode_16_64 3
		.amdhsa_dx10_clamp 1
		.amdhsa_ieee_mode 1
		.amdhsa_fp16_overflow 0
		.amdhsa_tg_split 0
		.amdhsa_exception_fp_ieee_invalid_op 0
		.amdhsa_exception_fp_denorm_src 0
		.amdhsa_exception_fp_ieee_div_zero 0
		.amdhsa_exception_fp_ieee_overflow 0
		.amdhsa_exception_fp_ieee_underflow 0
		.amdhsa_exception_fp_ieee_inexact 0
		.amdhsa_exception_int_div_zero 0
	.end_amdhsa_kernel
	.section	.text._ZN12_GLOBAL__N_135rocblas_gemm_batched_general_kernelI19rocblas_complex_numIdELi16ELi16ELi32ELi32ELi8ELi32ELi8ELi8ELi32ELc67ELc78EKS2_S3_S2_EEvlllT_PT11_llS6_llS4_PT12_llPT13_lli,"axG",@progbits,_ZN12_GLOBAL__N_135rocblas_gemm_batched_general_kernelI19rocblas_complex_numIdELi16ELi16ELi32ELi32ELi8ELi32ELi8ELi8ELi32ELc67ELc78EKS2_S3_S2_EEvlllT_PT11_llS6_llS4_PT12_llPT13_lli,comdat
.Lfunc_end141:
	.size	_ZN12_GLOBAL__N_135rocblas_gemm_batched_general_kernelI19rocblas_complex_numIdELi16ELi16ELi32ELi32ELi8ELi32ELi8ELi8ELi32ELc67ELc78EKS2_S3_S2_EEvlllT_PT11_llS6_llS4_PT12_llPT13_lli, .Lfunc_end141-_ZN12_GLOBAL__N_135rocblas_gemm_batched_general_kernelI19rocblas_complex_numIdELi16ELi16ELi32ELi32ELi8ELi32ELi8ELi8ELi32ELc67ELc78EKS2_S3_S2_EEvlllT_PT11_llS6_llS4_PT12_llPT13_lli
                                        ; -- End function
	.section	.AMDGPU.csdata,"",@progbits
; Kernel info:
; codeLenInByte = 3892
; NumSgprs: 56
; NumVgprs: 62
; NumAgprs: 0
; TotalNumVgprs: 62
; ScratchSize: 0
; MemoryBound: 1
; FloatMode: 240
; IeeeMode: 1
; LDSByteSize: 8192 bytes/workgroup (compile time only)
; SGPRBlocks: 6
; VGPRBlocks: 7
; NumSGPRsForWavesPerEU: 56
; NumVGPRsForWavesPerEU: 62
; AccumOffset: 64
; Occupancy: 8
; WaveLimiterHint : 0
; COMPUTE_PGM_RSRC2:SCRATCH_EN: 0
; COMPUTE_PGM_RSRC2:USER_SGPR: 6
; COMPUTE_PGM_RSRC2:TRAP_HANDLER: 0
; COMPUTE_PGM_RSRC2:TGID_X_EN: 1
; COMPUTE_PGM_RSRC2:TGID_Y_EN: 1
; COMPUTE_PGM_RSRC2:TGID_Z_EN: 1
; COMPUTE_PGM_RSRC2:TIDIG_COMP_CNT: 1
; COMPUTE_PGM_RSRC3_GFX90A:ACCUM_OFFSET: 15
; COMPUTE_PGM_RSRC3_GFX90A:TG_SPLIT: 0
	.section	.text._ZN12_GLOBAL__N_135rocblas_gemm_batched_general_kernelI19rocblas_complex_numIdELi16ELi16ELi32ELi32ELi8ELi32ELi8ELi8ELi32ELc67ELc84EKS2_S3_S2_EEvlllT_PT11_llS6_llS4_PT12_llPT13_lli,"axG",@progbits,_ZN12_GLOBAL__N_135rocblas_gemm_batched_general_kernelI19rocblas_complex_numIdELi16ELi16ELi32ELi32ELi8ELi32ELi8ELi8ELi32ELc67ELc84EKS2_S3_S2_EEvlllT_PT11_llS6_llS4_PT12_llPT13_lli,comdat
	.globl	_ZN12_GLOBAL__N_135rocblas_gemm_batched_general_kernelI19rocblas_complex_numIdELi16ELi16ELi32ELi32ELi8ELi32ELi8ELi8ELi32ELc67ELc84EKS2_S3_S2_EEvlllT_PT11_llS6_llS4_PT12_llPT13_lli ; -- Begin function _ZN12_GLOBAL__N_135rocblas_gemm_batched_general_kernelI19rocblas_complex_numIdELi16ELi16ELi32ELi32ELi8ELi32ELi8ELi8ELi32ELc67ELc84EKS2_S3_S2_EEvlllT_PT11_llS6_llS4_PT12_llPT13_lli
	.p2align	8
	.type	_ZN12_GLOBAL__N_135rocblas_gemm_batched_general_kernelI19rocblas_complex_numIdELi16ELi16ELi32ELi32ELi8ELi32ELi8ELi8ELi32ELc67ELc84EKS2_S3_S2_EEvlllT_PT11_llS6_llS4_PT12_llPT13_lli,@function
_ZN12_GLOBAL__N_135rocblas_gemm_batched_general_kernelI19rocblas_complex_numIdELi16ELi16ELi32ELi32ELi8ELi32ELi8ELi8ELi32ELc67ELc84EKS2_S3_S2_EEvlllT_PT11_llS6_llS4_PT12_llPT13_lli: ; @_ZN12_GLOBAL__N_135rocblas_gemm_batched_general_kernelI19rocblas_complex_numIdELi16ELi16ELi32ELi32ELi8ELi32ELi8ELi8ELi32ELc67ELc84EKS2_S3_S2_EEvlllT_PT11_llS6_llS4_PT12_llPT13_lli
; %bb.0:
	s_load_dwordx16 s[36:51], s[4:5], 0x0
	s_load_dwordx16 s[12:27], s[4:5], 0x40
	s_mov_b32 s2, s7
	s_ashr_i32 s7, s6, 31
	s_ashr_i32 s3, s2, 31
	s_waitcnt lgkmcnt(0)
	v_cmp_lt_i64_e64 s[0:1], s[40:41], 1
	v_pk_mov_b32 v[28:29], 0, 0
	v_and_b32_e32 v7, 0x3ff, v0
	v_bfe_u32 v9, v0, 10, 10
	s_lshl_b64 s[6:7], s[6:7], 5
	s_lshl_b64 s[10:11], s[2:3], 5
	s_mov_b64 s[28:29], 0
	s_and_b64 vcc, exec, s[0:1]
	v_pk_mov_b32 v[30:31], v[28:29], v[28:29] op_sel:[0,1]
	v_pk_mov_b32 v[24:25], v[28:29], v[28:29] op_sel:[0,1]
	;; [unrolled: 1-line block ×7, first 2 shown]
	s_cbranch_vccnz .LBB142_9
; %bb.1:
	v_lshl_add_u32 v1, v9, 4, v7
	v_lshrrev_b32_e32 v2, 3, v1
	v_mov_b32_e32 v5, s11
	v_add_co_u32_e32 v4, vcc, s10, v2
	v_and_b32_e32 v8, 7, v7
	v_addc_co_u32_e32 v5, vcc, 0, v5, vcc
	v_cmp_gt_i64_e32 vcc, s[38:39], v[4:5]
	v_lshlrev_b32_e32 v4, 4, v8
	v_lshrrev_b32_e32 v6, 5, v1
	v_and_b32_e32 v1, 31, v1
	v_lshl_or_b32 v4, v2, 7, v4
	v_mov_b32_e32 v11, s7
	v_or_b32_e32 v10, s6, v1
	v_add_u32_e32 v33, 0x1000, v4
	v_mov_b32_e32 v4, 0x1000
	v_cmp_gt_i64_e64 s[0:1], s[36:37], v[10:11]
	v_lshlrev_b32_e32 v10, 4, v1
	v_lshl_add_u32 v35, v9, 7, v4
	s_mul_i32 s9, s17, s8
	s_mul_hi_u32 s17, s16, s8
	v_mad_u64_u32 v[4:5], s[30:31], s14, v8, 0
	v_lshl_or_b32 v32, v6, 9, v10
	s_add_i32 s17, s17, s9
	s_mul_i32 s16, s16, s8
	v_mov_b32_e32 v10, v5
	s_lshl_b64 s[16:17], s[16:17], 4
	v_mad_u64_u32 v[10:11], s[30:31], s15, v8, v[10:11]
	s_lshl_b64 s[2:3], s[2:3], 9
	v_mov_b32_e32 v5, v10
	s_add_u32 s2, s2, s16
	v_mov_b32_e32 v0, 0
	v_lshlrev_b64 v[4:5], 4, v[4:5]
	s_addc_u32 s3, s3, s17
	v_mov_b32_e32 v3, v0
	v_mov_b32_e32 v10, s3
	v_add_co_u32_e64 v4, s[2:3], s2, v4
	v_addc_co_u32_e64 v5, s[2:3], v10, v5, s[2:3]
	v_lshlrev_b64 v[2:3], 4, v[2:3]
	v_add_co_u32_e64 v2, s[2:3], v4, v2
	v_addc_co_u32_e64 v3, s[2:3], v5, v3, s[2:3]
	v_mov_b32_e32 v4, s13
	v_add_co_u32_e64 v10, s[2:3], s12, v2
	v_addc_co_u32_e64 v11, s[2:3], v4, v3, s[2:3]
	v_mov_b32_e32 v2, s7
	v_add_co_u32_e64 v1, s[2:3], s6, v1
	v_addc_co_u32_e64 v2, s[2:3], 0, v2, s[2:3]
	v_mul_lo_u32 v5, s48, v2
	v_mad_u64_u32 v[2:3], s[2:3], s48, v1, 0
	v_mul_lo_u32 v4, s49, v1
	s_mul_i32 s2, s51, s8
	s_mul_hi_u32 s3, s50, s8
	v_add3_u32 v3, v3, v5, v4
	s_add_i32 s3, s3, s2
	s_mul_i32 s2, s50, s8
	v_lshlrev_b64 v[2:3], 4, v[2:3]
	s_lshl_b64 s[2:3], s[2:3], 4
	v_mov_b32_e32 v1, s3
	v_add_co_u32_e64 v2, s[2:3], s2, v2
	v_addc_co_u32_e64 v1, s[2:3], v3, v1, s[2:3]
	v_lshlrev_b32_e32 v3, 4, v6
	v_add_co_u32_e64 v2, s[2:3], v2, v3
	v_addc_co_u32_e64 v1, s[2:3], 0, v1, s[2:3]
	v_mov_b32_e32 v3, s47
	v_add_co_u32_e64 v2, s[2:3], s46, v2
	v_addc_co_u32_e64 v1, s[2:3], v1, v3, s[2:3]
	v_add_co_u32_e64 v12, s[2:3], 8, v2
	v_addc_co_u32_e64 v13, s[2:3], 0, v1, s[2:3]
	v_pk_mov_b32 v[14:15], 0, 0
	v_lshlrev_b32_e32 v34, 4, v7
	s_lshl_b64 s[12:13], s[14:15], 7
	s_xor_b64 s[2:3], vcc, -1
	v_pk_mov_b32 v[18:19], v[14:15], v[14:15] op_sel:[0,1]
	v_pk_mov_b32 v[16:17], v[14:15], v[14:15] op_sel:[0,1]
	;; [unrolled: 1-line block ×8, first 2 shown]
	s_branch .LBB142_3
.LBB142_2:                              ;   in Loop: Header=BB142_3 Depth=1
	s_or_b64 exec, exec, s[14:15]
	s_waitcnt lgkmcnt(0)
	s_barrier
	ds_read_b128 v[36:39], v34
	ds_read_b128 v[40:43], v35
	ds_read_b128 v[44:47], v35 offset:16
	ds_read_b128 v[48:51], v35 offset:32
	;; [unrolled: 1-line block ×4, first 2 shown]
	s_waitcnt lgkmcnt(4)
	v_mul_f64 v[56:57], v[42:43], v[38:39]
	v_fma_f64 v[56:57], v[40:41], v[36:37], -v[56:57]
	v_mul_f64 v[58:59], v[40:41], v[38:39]
	v_fmac_f64_e32 v[58:59], v[42:43], v[36:37]
	v_add_f64 v[56:57], v[28:29], v[56:57]
	s_waitcnt lgkmcnt(0)
	v_mul_f64 v[28:29], v[42:43], v[54:55]
	v_add_f64 v[58:59], v[30:31], v[58:59]
	v_fma_f64 v[60:61], v[40:41], v[52:53], -v[28:29]
	ds_read_b128 v[28:31], v35 offset:2048
	v_mul_f64 v[40:41], v[40:41], v[54:55]
	v_fmac_f64_e32 v[40:41], v[42:43], v[52:53]
	v_add_f64 v[42:43], v[24:25], v[60:61]
	v_add_f64 v[40:41], v[26:27], v[40:41]
	ds_read_b128 v[24:27], v35 offset:2064
	s_waitcnt lgkmcnt(1)
	v_mul_f64 v[60:61], v[30:31], v[38:39]
	v_fma_f64 v[60:61], v[28:29], v[36:37], -v[60:61]
	v_mul_f64 v[38:39], v[28:29], v[38:39]
	v_fmac_f64_e32 v[38:39], v[30:31], v[36:37]
	v_add_f64 v[36:37], v[20:21], v[60:61]
	v_mul_f64 v[20:21], v[30:31], v[54:55]
	v_add_f64 v[38:39], v[22:23], v[38:39]
	v_fma_f64 v[60:61], v[28:29], v[52:53], -v[20:21]
	v_mul_f64 v[28:29], v[28:29], v[54:55]
	ds_read_b128 v[20:23], v34 offset:512
	v_fmac_f64_e32 v[28:29], v[30:31], v[52:53]
	v_add_f64 v[30:31], v[16:17], v[60:61]
	v_add_f64 v[28:29], v[18:19], v[28:29]
	ds_read_b128 v[16:19], v34 offset:768
	s_waitcnt lgkmcnt(1)
	v_mul_f64 v[52:53], v[46:47], v[22:23]
	v_fma_f64 v[52:53], v[44:45], v[20:21], -v[52:53]
	v_add_f64 v[52:53], v[56:57], v[52:53]
	v_mul_f64 v[54:55], v[44:45], v[22:23]
	s_waitcnt lgkmcnt(0)
	v_mul_f64 v[56:57], v[46:47], v[18:19]
	v_fma_f64 v[56:57], v[44:45], v[16:17], -v[56:57]
	v_mul_f64 v[44:45], v[44:45], v[18:19]
	v_fmac_f64_e32 v[44:45], v[46:47], v[16:17]
	v_add_f64 v[40:41], v[40:41], v[44:45]
	v_mul_f64 v[44:45], v[26:27], v[22:23]
	v_mul_f64 v[22:23], v[24:25], v[22:23]
	v_fmac_f64_e32 v[54:55], v[46:47], v[20:21]
	v_fma_f64 v[44:45], v[24:25], v[20:21], -v[44:45]
	v_fmac_f64_e32 v[22:23], v[26:27], v[20:21]
	v_mul_f64 v[20:21], v[26:27], v[18:19]
	v_add_f64 v[46:47], v[38:39], v[22:23]
	v_fma_f64 v[22:23], v[24:25], v[16:17], -v[20:21]
	v_mul_f64 v[24:25], v[24:25], v[18:19]
	ds_read_b128 v[18:21], v34 offset:1024
	v_fmac_f64_e32 v[24:25], v[26:27], v[16:17]
	v_add_f64 v[42:43], v[42:43], v[56:57]
	v_add_f64 v[30:31], v[30:31], v[22:23]
	;; [unrolled: 1-line block ×3, first 2 shown]
	ds_read_b128 v[22:25], v34 offset:1280
	s_waitcnt lgkmcnt(1)
	v_mul_f64 v[26:27], v[48:49], v[20:21]
	v_add_f64 v[54:55], v[58:59], v[54:55]
	v_fmac_f64_e32 v[26:27], v[50:51], v[18:19]
	v_add_f64 v[54:55], v[54:55], v[26:27]
	ds_read_b128 v[26:29], v35 offset:2080
	v_mul_f64 v[16:17], v[50:51], v[20:21]
	v_fma_f64 v[16:17], v[48:49], v[18:19], -v[16:17]
	v_add_f64 v[44:45], v[36:37], v[44:45]
	v_add_f64 v[52:53], v[52:53], v[16:17]
	s_waitcnt lgkmcnt(1)
	v_mul_f64 v[16:17], v[50:51], v[24:25]
	v_mul_f64 v[36:37], v[48:49], v[24:25]
	v_fma_f64 v[16:17], v[48:49], v[22:23], -v[16:17]
	v_fmac_f64_e32 v[36:37], v[50:51], v[22:23]
	v_add_f64 v[42:43], v[42:43], v[16:17]
	v_add_f64 v[40:41], v[40:41], v[36:37]
	ds_read_b128 v[36:39], v35 offset:2096
	s_waitcnt lgkmcnt(1)
	v_mul_f64 v[16:17], v[28:29], v[20:21]
	v_fma_f64 v[16:17], v[26:27], v[18:19], -v[16:17]
	v_mul_f64 v[20:21], v[26:27], v[20:21]
	v_fmac_f64_e32 v[20:21], v[28:29], v[18:19]
	v_add_f64 v[44:45], v[44:45], v[16:17]
	v_mul_f64 v[16:17], v[28:29], v[24:25]
	v_add_f64 v[46:47], v[46:47], v[20:21]
	v_fma_f64 v[20:21], v[26:27], v[22:23], -v[16:17]
	v_mul_f64 v[24:25], v[26:27], v[24:25]
	ds_read_b128 v[16:19], v34 offset:1536
	v_fmac_f64_e32 v[24:25], v[28:29], v[22:23]
	v_add_f64 v[26:27], v[30:31], v[20:21]
	ds_read_b128 v[20:23], v34 offset:1792
	v_add_f64 v[24:25], v[56:57], v[24:25]
	s_waitcnt lgkmcnt(1)
	v_mul_f64 v[28:29], v[4:5], v[18:19]
	v_fma_f64 v[28:29], v[2:3], v[16:17], -v[28:29]
	v_mul_f64 v[30:31], v[2:3], v[18:19]
	s_waitcnt lgkmcnt(0)
	v_mul_f64 v[48:49], v[4:5], v[22:23]
	v_fma_f64 v[48:49], v[2:3], v[20:21], -v[48:49]
	v_mul_f64 v[2:3], v[2:3], v[22:23]
	v_fmac_f64_e32 v[2:3], v[4:5], v[20:21]
	v_add_f64 v[40:41], v[40:41], v[2:3]
	v_mul_f64 v[2:3], v[38:39], v[18:19]
	v_fmac_f64_e32 v[30:31], v[4:5], v[16:17]
	v_fma_f64 v[2:3], v[36:37], v[16:17], -v[2:3]
	v_mul_f64 v[4:5], v[36:37], v[18:19]
	v_fmac_f64_e32 v[4:5], v[38:39], v[16:17]
	v_add_f64 v[44:45], v[44:45], v[2:3]
	v_mul_f64 v[2:3], v[38:39], v[22:23]
	v_add_f64 v[42:43], v[42:43], v[48:49]
	v_add_f64 v[46:47], v[46:47], v[4:5]
	v_fma_f64 v[48:49], v[36:37], v[20:21], -v[2:3]
	ds_read_b128 v[2:5], v35 offset:64
	ds_read_b128 v[16:19], v34 offset:2048
	v_mul_f64 v[22:23], v[36:37], v[22:23]
	v_fmac_f64_e32 v[22:23], v[38:39], v[20:21]
	v_add_f64 v[36:37], v[26:27], v[48:49]
	v_add_f64 v[38:39], v[24:25], v[22:23]
	ds_read_b128 v[20:23], v34 offset:2304
	ds_read_b128 v[24:27], v35 offset:80
	s_waitcnt lgkmcnt(2)
	v_mul_f64 v[48:49], v[4:5], v[18:19]
	v_add_f64 v[28:29], v[52:53], v[28:29]
	v_fma_f64 v[48:49], v[2:3], v[16:17], -v[48:49]
	v_mul_f64 v[50:51], v[2:3], v[18:19]
	v_add_f64 v[30:31], v[54:55], v[30:31]
	v_fmac_f64_e32 v[50:51], v[4:5], v[16:17]
	v_add_f64 v[48:49], v[28:29], v[48:49]
	s_waitcnt lgkmcnt(1)
	v_mul_f64 v[28:29], v[4:5], v[22:23]
	v_add_f64 v[50:51], v[30:31], v[50:51]
	v_fma_f64 v[52:53], v[2:3], v[20:21], -v[28:29]
	ds_read_b128 v[28:31], v35 offset:2112
	v_mul_f64 v[2:3], v[2:3], v[22:23]
	v_fmac_f64_e32 v[2:3], v[4:5], v[20:21]
	v_add_f64 v[42:43], v[42:43], v[52:53]
	v_add_f64 v[40:41], v[40:41], v[2:3]
	ds_read_b128 v[2:5], v35 offset:2128
	s_waitcnt lgkmcnt(1)
	v_mul_f64 v[52:53], v[30:31], v[18:19]
	v_mul_f64 v[18:19], v[28:29], v[18:19]
	v_fma_f64 v[52:53], v[28:29], v[16:17], -v[52:53]
	v_fmac_f64_e32 v[18:19], v[30:31], v[16:17]
	v_mul_f64 v[16:17], v[30:31], v[22:23]
	v_add_f64 v[44:45], v[44:45], v[52:53]
	v_add_f64 v[46:47], v[46:47], v[18:19]
	v_fma_f64 v[52:53], v[28:29], v[20:21], -v[16:17]
	v_mul_f64 v[22:23], v[28:29], v[22:23]
	ds_read_b128 v[16:19], v34 offset:2560
	v_fmac_f64_e32 v[22:23], v[30:31], v[20:21]
	v_add_f64 v[30:31], v[38:39], v[22:23]
	ds_read_b128 v[20:23], v34 offset:2816
	v_add_f64 v[28:29], v[36:37], v[52:53]
	s_waitcnt lgkmcnt(1)
	v_mul_f64 v[36:37], v[26:27], v[18:19]
	v_fma_f64 v[36:37], v[24:25], v[16:17], -v[36:37]
	v_add_f64 v[36:37], v[48:49], v[36:37]
	s_waitcnt lgkmcnt(0)
	v_mul_f64 v[48:49], v[26:27], v[22:23]
	v_mul_f64 v[38:39], v[24:25], v[18:19]
	v_fma_f64 v[48:49], v[24:25], v[20:21], -v[48:49]
	v_mul_f64 v[24:25], v[24:25], v[22:23]
	v_fmac_f64_e32 v[24:25], v[26:27], v[20:21]
	v_add_f64 v[40:41], v[40:41], v[24:25]
	v_mul_f64 v[24:25], v[4:5], v[18:19]
	v_mul_f64 v[18:19], v[2:3], v[18:19]
	v_fmac_f64_e32 v[38:39], v[26:27], v[16:17]
	v_fma_f64 v[24:25], v[2:3], v[16:17], -v[24:25]
	v_fmac_f64_e32 v[18:19], v[4:5], v[16:17]
	v_mul_f64 v[16:17], v[4:5], v[22:23]
	v_mul_f64 v[22:23], v[2:3], v[22:23]
	v_add_f64 v[44:45], v[44:45], v[24:25]
	v_add_f64 v[46:47], v[46:47], v[18:19]
	v_fma_f64 v[24:25], v[2:3], v[20:21], -v[16:17]
	v_fmac_f64_e32 v[22:23], v[4:5], v[20:21]
	ds_read_b128 v[2:5], v35 offset:96
	ds_read_b128 v[16:19], v34 offset:3072
	v_add_f64 v[38:39], v[50:51], v[38:39]
	v_add_f64 v[42:43], v[42:43], v[48:49]
	;; [unrolled: 1-line block ×4, first 2 shown]
	ds_read_b128 v[20:23], v34 offset:3328
	ds_read_b128 v[24:27], v35 offset:112
	s_waitcnt lgkmcnt(2)
	v_mul_f64 v[28:29], v[4:5], v[18:19]
	v_fma_f64 v[28:29], v[2:3], v[16:17], -v[28:29]
	v_mul_f64 v[30:31], v[2:3], v[18:19]
	v_fmac_f64_e32 v[30:31], v[4:5], v[16:17]
	v_add_f64 v[52:53], v[36:37], v[28:29]
	s_waitcnt lgkmcnt(1)
	v_mul_f64 v[28:29], v[4:5], v[22:23]
	v_add_f64 v[54:55], v[38:39], v[30:31]
	v_fma_f64 v[36:37], v[2:3], v[20:21], -v[28:29]
	ds_read_b128 v[28:31], v35 offset:2144
	v_mul_f64 v[2:3], v[2:3], v[22:23]
	v_fmac_f64_e32 v[2:3], v[4:5], v[20:21]
	v_add_f64 v[42:43], v[42:43], v[36:37]
	v_add_f64 v[40:41], v[40:41], v[2:3]
	ds_read_b128 v[2:5], v35 offset:2160
	s_waitcnt lgkmcnt(1)
	v_mul_f64 v[36:37], v[30:31], v[18:19]
	v_mul_f64 v[18:19], v[28:29], v[18:19]
	v_fma_f64 v[36:37], v[28:29], v[16:17], -v[36:37]
	v_fmac_f64_e32 v[18:19], v[30:31], v[16:17]
	v_mul_f64 v[16:17], v[30:31], v[22:23]
	v_add_f64 v[44:45], v[44:45], v[36:37]
	v_add_f64 v[46:47], v[46:47], v[18:19]
	v_fma_f64 v[36:37], v[28:29], v[20:21], -v[16:17]
	ds_read_b128 v[16:19], v34 offset:3584
	v_add_f64 v[48:49], v[48:49], v[36:37]
	ds_read_b128 v[36:39], v34 offset:3840
	v_mul_f64 v[22:23], v[28:29], v[22:23]
	v_fmac_f64_e32 v[22:23], v[30:31], v[20:21]
	s_waitcnt lgkmcnt(1)
	v_mul_f64 v[20:21], v[26:27], v[18:19]
	v_fma_f64 v[20:21], v[24:25], v[16:17], -v[20:21]
	v_add_f64 v[50:51], v[50:51], v[22:23]
	v_mul_f64 v[22:23], v[24:25], v[18:19]
	v_add_f64 v[28:29], v[52:53], v[20:21]
	s_waitcnt lgkmcnt(0)
	v_mul_f64 v[20:21], v[26:27], v[38:39]
	v_fmac_f64_e32 v[22:23], v[26:27], v[16:17]
	v_fma_f64 v[20:21], v[24:25], v[36:37], -v[20:21]
	v_add_f64 v[30:31], v[54:55], v[22:23]
	v_mul_f64 v[22:23], v[24:25], v[38:39]
	v_add_f64 v[24:25], v[42:43], v[20:21]
	v_mul_f64 v[20:21], v[4:5], v[18:19]
	v_mul_f64 v[18:19], v[2:3], v[18:19]
	v_fma_f64 v[20:21], v[2:3], v[16:17], -v[20:21]
	v_fmac_f64_e32 v[18:19], v[4:5], v[16:17]
	v_mul_f64 v[16:17], v[4:5], v[38:39]
	v_mov_b32_e32 v1, s13
	v_add_co_u32_e32 v10, vcc, s12, v10
	v_fma_f64 v[16:17], v[2:3], v[36:37], -v[16:17]
	v_mul_f64 v[2:3], v[2:3], v[38:39]
	v_addc_co_u32_e32 v11, vcc, v11, v1, vcc
	v_fmac_f64_e32 v[22:23], v[26:27], v[36:37]
	v_fmac_f64_e32 v[2:3], v[4:5], v[36:37]
	s_add_u32 s28, s28, 8
	v_add_co_u32_e32 v12, vcc, 0x80, v12
	v_add_f64 v[26:27], v[40:41], v[22:23]
	v_add_f64 v[22:23], v[46:47], v[18:19]
	v_add_f64 v[18:19], v[50:51], v[2:3]
	s_addc_u32 s29, s29, 0
	v_addc_co_u32_e32 v13, vcc, 0, v13, vcc
	v_pk_mov_b32 v[2:3], s[40:41], s[40:41] op_sel:[0,1]
	v_cmp_lt_i64_e32 vcc, s[28:29], v[2:3]
	v_add_f64 v[20:21], v[44:45], v[20:21]
	v_add_f64 v[16:17], v[48:49], v[16:17]
	s_barrier
	s_cbranch_vccz .LBB142_9
.LBB142_3:                              ; =>This Inner Loop Header: Depth=1
	v_mov_b32_e32 v1, s29
	v_add_co_u32_e32 v2, vcc, s28, v6
	v_addc_co_u32_e32 v3, vcc, 0, v1, vcc
	v_cmp_gt_i64_e32 vcc, s[40:41], v[2:3]
	s_and_b64 s[16:17], s[0:1], vcc
	v_pk_mov_b32 v[2:3], v[14:15], v[14:15] op_sel:[0,1]
	v_pk_mov_b32 v[4:5], v[14:15], v[14:15] op_sel:[0,1]
	s_and_saveexec_b64 s[14:15], s[16:17]
	s_cbranch_execz .LBB142_5
; %bb.4:                                ;   in Loop: Header=BB142_3 Depth=1
	global_load_dwordx4 v[2:5], v[12:13], off offset:-8
	s_waitcnt vmcnt(0)
	v_xor_b32_e32 v5, 0x80000000, v5
.LBB142_5:                              ;   in Loop: Header=BB142_3 Depth=1
	s_or_b64 exec, exec, s[14:15]
	ds_write_b128 v32, v[2:5]
	v_mov_b32_e32 v1, s29
	v_add_co_u32_e32 v2, vcc, s28, v8
	v_addc_co_u32_e32 v3, vcc, 0, v1, vcc
	v_cmp_le_i64_e32 vcc, s[40:41], v[2:3]
	s_or_b64 s[14:15], vcc, s[2:3]
	s_and_saveexec_b64 s[16:17], s[14:15]
	s_xor_b64 s[14:15], exec, s[16:17]
	s_cbranch_execz .LBB142_7
; %bb.6:                                ;   in Loop: Header=BB142_3 Depth=1
	v_mov_b32_e32 v1, v0
	v_mov_b32_e32 v2, v0
	;; [unrolled: 1-line block ×3, first 2 shown]
	ds_write_b128 v33, v[0:3]
.LBB142_7:                              ;   in Loop: Header=BB142_3 Depth=1
	s_andn2_saveexec_b64 s[14:15], s[14:15]
	s_cbranch_execz .LBB142_2
; %bb.8:                                ;   in Loop: Header=BB142_3 Depth=1
	global_load_dwordx4 v[2:5], v[10:11], off
	s_waitcnt vmcnt(0)
	ds_write2_b64 v33, v[2:3], v[4:5] offset1:1
	s_branch .LBB142_2
.LBB142_9:
	s_load_dwordx2 s[0:1], s[4:5], 0x90
	s_load_dwordx4 s[12:15], s[4:5], 0x80
	v_mov_b32_e32 v1, s11
	v_add_co_u32_e32 v0, vcc, s10, v9
	s_waitcnt lgkmcnt(0)
	s_mul_i32 s1, s8, s1
	s_mul_hi_u32 s2, s8, s0
	s_mul_i32 s0, s8, s0
	s_add_i32 s1, s2, s1
	s_lshl_b64 s[0:1], s[0:1], 4
	s_add_u32 s9, s12, s0
	s_addc_u32 s16, s13, s1
	v_cmp_neq_f64_e64 s[0:1], s[18:19], 0
	v_cmp_neq_f64_e64 s[2:3], s[20:21], 0
	v_addc_co_u32_e32 v1, vcc, 0, v1, vcc
	s_or_b64 s[4:5], s[0:1], s[2:3]
	v_cmp_gt_i64_e64 s[0:1], s[38:39], v[0:1]
	s_mov_b64 s[2:3], -1
	s_and_b64 vcc, exec, s[4:5]
	s_cbranch_vccnz .LBB142_21
; %bb.10:
	s_and_saveexec_b64 s[10:11], s[0:1]
	s_cbranch_execz .LBB142_20
; %bb.11:
	v_mov_b32_e32 v2, s7
	v_add_co_u32_e32 v4, vcc, s6, v7
	v_addc_co_u32_e32 v5, vcc, 0, v2, vcc
	v_mul_lo_u32 v6, v1, s14
	v_mul_lo_u32 v8, v0, s15
	v_mad_u64_u32 v[2:3], s[2:3], v0, s14, 0
	v_add3_u32 v3, v3, v8, v6
	v_lshlrev_b64 v[2:3], 4, v[2:3]
	v_mov_b32_e32 v8, s16
	v_add_co_u32_e64 v6, s[2:3], s9, v2
	v_cmp_gt_i64_e32 vcc, s[36:37], v[4:5]
	v_addc_co_u32_e64 v8, s[2:3], v8, v3, s[2:3]
	v_lshlrev_b64 v[2:3], 4, v[4:5]
	s_and_saveexec_b64 s[4:5], vcc
	s_cbranch_execz .LBB142_13
; %bb.12:
	v_mul_f64 v[10:11], s[44:45], v[30:31]
	v_mul_f64 v[12:13], s[42:43], v[30:31]
	v_add_co_u32_e64 v14, s[2:3], v6, v2
	v_fma_f64 v[10:11], s[42:43], v[28:29], -v[10:11]
	v_fmac_f64_e32 v[12:13], s[44:45], v[28:29]
	v_addc_co_u32_e64 v15, s[2:3], v8, v3, s[2:3]
	global_store_dwordx4 v[14:15], v[10:13], off
.LBB142_13:
	s_or_b64 exec, exec, s[4:5]
	v_add_co_u32_e64 v4, s[2:3], 16, v4
	v_addc_co_u32_e64 v5, s[2:3], 0, v5, s[2:3]
	v_cmp_gt_i64_e64 s[2:3], s[36:37], v[4:5]
	s_and_saveexec_b64 s[12:13], s[2:3]
	s_cbranch_execz .LBB142_15
; %bb.14:
	v_mul_f64 v[4:5], s[44:45], v[26:27]
	v_fma_f64 v[10:11], s[42:43], v[24:25], -v[4:5]
	v_mul_f64 v[12:13], s[42:43], v[26:27]
	v_add_co_u32_e64 v4, s[4:5], v6, v2
	v_fmac_f64_e32 v[12:13], s[44:45], v[24:25]
	v_addc_co_u32_e64 v5, s[4:5], v8, v3, s[4:5]
	global_store_dwordx4 v[4:5], v[10:13], off offset:256
.LBB142_15:
	s_or_b64 exec, exec, s[12:13]
	v_add_co_u32_e64 v4, s[4:5], 16, v0
	v_addc_co_u32_e64 v5, s[4:5], 0, v1, s[4:5]
	v_cmp_gt_i64_e64 s[4:5], s[38:39], v[4:5]
	s_and_b64 exec, exec, s[4:5]
	s_cbranch_execz .LBB142_20
; %bb.16:
	s_lshl_b64 s[4:5], s[14:15], 8
	v_mov_b32_e32 v4, s5
	v_add_co_u32_e64 v5, s[4:5], s4, v6
	v_addc_co_u32_e64 v4, s[4:5], v8, v4, s[4:5]
	v_add_co_u32_e64 v2, s[4:5], v5, v2
	v_addc_co_u32_e64 v3, s[4:5], v4, v3, s[4:5]
	s_and_saveexec_b64 s[4:5], vcc
	s_cbranch_execz .LBB142_18
; %bb.17:
	v_mul_f64 v[4:5], s[44:45], v[22:23]
	v_mul_f64 v[10:11], s[42:43], v[22:23]
	v_fma_f64 v[8:9], s[42:43], v[20:21], -v[4:5]
	v_fmac_f64_e32 v[10:11], s[44:45], v[20:21]
	global_store_dwordx4 v[2:3], v[8:11], off
.LBB142_18:
	s_or_b64 exec, exec, s[4:5]
	s_and_b64 exec, exec, s[2:3]
	s_cbranch_execz .LBB142_20
; %bb.19:
	v_mul_f64 v[4:5], s[44:45], v[18:19]
	v_mul_f64 v[10:11], s[42:43], v[18:19]
	v_fma_f64 v[8:9], s[42:43], v[16:17], -v[4:5]
	v_fmac_f64_e32 v[10:11], s[44:45], v[16:17]
	global_store_dwordx4 v[2:3], v[8:11], off offset:256
.LBB142_20:
	s_or_b64 exec, exec, s[10:11]
	s_mov_b64 s[2:3], 0
.LBB142_21:
	s_andn2_b64 vcc, exec, s[2:3]
	s_cbranch_vccnz .LBB142_32
; %bb.22:
	s_and_saveexec_b64 s[2:3], s[0:1]
	s_cbranch_execz .LBB142_32
; %bb.23:
	s_mul_i32 s0, s8, s27
	s_mul_hi_u32 s1, s8, s26
	s_add_i32 s1, s1, s0
	s_mul_i32 s0, s8, s26
	s_lshl_b64 s[0:1], s[0:1], 4
	s_add_u32 s2, s22, s0
	v_mov_b32_e32 v2, s7
	v_add_co_u32_e32 v4, vcc, s6, v7
	s_addc_u32 s3, s23, s1
	v_addc_co_u32_e32 v5, vcc, 0, v2, vcc
	v_mul_lo_u32 v6, v1, s24
	v_mul_lo_u32 v7, v0, s25
	v_mad_u64_u32 v[2:3], s[0:1], v0, s24, 0
	v_add3_u32 v3, v3, v7, v6
	v_mul_lo_u32 v6, v1, s14
	v_mul_lo_u32 v7, v0, s15
	v_mad_u64_u32 v[8:9], s[0:1], v0, s14, 0
	v_lshlrev_b64 v[2:3], 4, v[2:3]
	v_add3_u32 v9, v9, v7, v6
	v_mov_b32_e32 v7, s3
	v_add_co_u32_e64 v6, s[0:1], s2, v2
	v_addc_co_u32_e64 v7, s[0:1], v7, v3, s[0:1]
	v_lshlrev_b64 v[2:3], 4, v[8:9]
	v_mov_b32_e32 v9, s16
	v_add_co_u32_e64 v8, s[0:1], s9, v2
	v_cmp_gt_i64_e32 vcc, s[36:37], v[4:5]
	v_addc_co_u32_e64 v9, s[0:1], v9, v3, s[0:1]
	v_lshlrev_b64 v[2:3], 4, v[4:5]
	s_and_saveexec_b64 s[2:3], vcc
	s_cbranch_execz .LBB142_25
; %bb.24:
	v_add_co_u32_e64 v10, s[0:1], v6, v2
	v_addc_co_u32_e64 v11, s[0:1], v7, v3, s[0:1]
	global_load_dwordx4 v[10:13], v[10:11], off
	v_mul_f64 v[14:15], s[44:45], v[30:31]
	v_mul_f64 v[30:31], s[42:43], v[30:31]
	v_fma_f64 v[14:15], s[42:43], v[28:29], -v[14:15]
	v_fmac_f64_e32 v[30:31], s[44:45], v[28:29]
	s_waitcnt vmcnt(0)
	v_mul_f64 v[28:29], s[20:21], v[12:13]
	v_mul_f64 v[12:13], s[18:19], v[12:13]
	v_fma_f64 v[28:29], s[18:19], v[10:11], -v[28:29]
	v_fmac_f64_e32 v[12:13], s[20:21], v[10:11]
	v_add_f64 v[10:11], v[14:15], v[28:29]
	v_add_co_u32_e64 v14, s[0:1], v8, v2
	v_add_f64 v[12:13], v[30:31], v[12:13]
	v_addc_co_u32_e64 v15, s[0:1], v9, v3, s[0:1]
	global_store_dwordx4 v[14:15], v[10:13], off
.LBB142_25:
	s_or_b64 exec, exec, s[2:3]
	v_add_co_u32_e64 v4, s[0:1], 16, v4
	v_addc_co_u32_e64 v5, s[0:1], 0, v5, s[0:1]
	v_cmp_gt_i64_e64 s[0:1], s[36:37], v[4:5]
	s_and_saveexec_b64 s[4:5], s[0:1]
	s_cbranch_execz .LBB142_27
; %bb.26:
	v_add_co_u32_e64 v4, s[2:3], v6, v2
	v_addc_co_u32_e64 v5, s[2:3], v7, v3, s[2:3]
	global_load_dwordx4 v[10:13], v[4:5], off offset:256
	v_mul_f64 v[4:5], s[44:45], v[26:27]
	v_mul_f64 v[14:15], s[42:43], v[26:27]
	v_fma_f64 v[4:5], s[42:43], v[24:25], -v[4:5]
	v_fmac_f64_e32 v[14:15], s[44:45], v[24:25]
	s_waitcnt vmcnt(0)
	v_mul_f64 v[24:25], s[20:21], v[12:13]
	v_mul_f64 v[12:13], s[18:19], v[12:13]
	v_fma_f64 v[24:25], s[18:19], v[10:11], -v[24:25]
	v_fmac_f64_e32 v[12:13], s[20:21], v[10:11]
	v_add_f64 v[10:11], v[4:5], v[24:25]
	v_add_co_u32_e64 v4, s[2:3], v8, v2
	v_add_f64 v[12:13], v[14:15], v[12:13]
	v_addc_co_u32_e64 v5, s[2:3], v9, v3, s[2:3]
	global_store_dwordx4 v[4:5], v[10:13], off offset:256
.LBB142_27:
	s_or_b64 exec, exec, s[4:5]
	v_add_co_u32_e64 v0, s[2:3], 16, v0
	v_addc_co_u32_e64 v1, s[2:3], 0, v1, s[2:3]
	v_cmp_gt_i64_e64 s[2:3], s[38:39], v[0:1]
	s_and_b64 exec, exec, s[2:3]
	s_cbranch_execz .LBB142_32
; %bb.28:
	s_lshl_b64 s[2:3], s[24:25], 8
	v_mov_b32_e32 v0, s3
	v_add_co_u32_e64 v1, s[2:3], s2, v6
	v_addc_co_u32_e64 v0, s[2:3], v7, v0, s[2:3]
	s_lshl_b64 s[2:3], s[14:15], 8
	v_mov_b32_e32 v4, s3
	v_add_co_u32_e64 v6, s[2:3], s2, v8
	v_addc_co_u32_e64 v7, s[2:3], v9, v4, s[2:3]
	v_add_co_u32_e64 v4, s[2:3], v1, v2
	v_addc_co_u32_e64 v5, s[2:3], v0, v3, s[2:3]
	;; [unrolled: 2-line block ×3, first 2 shown]
	s_and_saveexec_b64 s[2:3], vcc
	s_cbranch_execz .LBB142_30
; %bb.29:
	global_load_dwordx4 v[6:9], v[4:5], off
	v_mul_f64 v[2:3], s[44:45], v[22:23]
	v_mul_f64 v[10:11], s[42:43], v[22:23]
	v_fma_f64 v[2:3], s[42:43], v[20:21], -v[2:3]
	v_fmac_f64_e32 v[10:11], s[44:45], v[20:21]
	s_waitcnt vmcnt(0)
	v_mul_f64 v[12:13], s[20:21], v[8:9]
	v_mul_f64 v[8:9], s[18:19], v[8:9]
	v_fma_f64 v[12:13], s[18:19], v[6:7], -v[12:13]
	v_fmac_f64_e32 v[8:9], s[20:21], v[6:7]
	v_add_f64 v[6:7], v[2:3], v[12:13]
	v_add_f64 v[8:9], v[10:11], v[8:9]
	global_store_dwordx4 v[0:1], v[6:9], off
.LBB142_30:
	s_or_b64 exec, exec, s[2:3]
	s_and_b64 exec, exec, s[0:1]
	s_cbranch_execz .LBB142_32
; %bb.31:
	global_load_dwordx4 v[2:5], v[4:5], off offset:256
	v_mul_f64 v[6:7], s[44:45], v[18:19]
	v_mul_f64 v[8:9], s[42:43], v[18:19]
	v_fma_f64 v[6:7], s[42:43], v[16:17], -v[6:7]
	v_fmac_f64_e32 v[8:9], s[44:45], v[16:17]
	s_waitcnt vmcnt(0)
	v_mul_f64 v[10:11], s[20:21], v[4:5]
	v_mul_f64 v[4:5], s[18:19], v[4:5]
	v_fma_f64 v[10:11], s[18:19], v[2:3], -v[10:11]
	v_fmac_f64_e32 v[4:5], s[20:21], v[2:3]
	v_add_f64 v[2:3], v[6:7], v[10:11]
	v_add_f64 v[4:5], v[8:9], v[4:5]
	global_store_dwordx4 v[0:1], v[2:5], off offset:256
.LBB142_32:
	s_endpgm
	.section	.rodata,"a",@progbits
	.p2align	6, 0x0
	.amdhsa_kernel _ZN12_GLOBAL__N_135rocblas_gemm_batched_general_kernelI19rocblas_complex_numIdELi16ELi16ELi32ELi32ELi8ELi32ELi8ELi8ELi32ELc67ELc84EKS2_S3_S2_EEvlllT_PT11_llS6_llS4_PT12_llPT13_lli
		.amdhsa_group_segment_fixed_size 8192
		.amdhsa_private_segment_fixed_size 0
		.amdhsa_kernarg_size 156
		.amdhsa_user_sgpr_count 6
		.amdhsa_user_sgpr_private_segment_buffer 1
		.amdhsa_user_sgpr_dispatch_ptr 0
		.amdhsa_user_sgpr_queue_ptr 0
		.amdhsa_user_sgpr_kernarg_segment_ptr 1
		.amdhsa_user_sgpr_dispatch_id 0
		.amdhsa_user_sgpr_flat_scratch_init 0
		.amdhsa_user_sgpr_kernarg_preload_length 0
		.amdhsa_user_sgpr_kernarg_preload_offset 0
		.amdhsa_user_sgpr_private_segment_size 0
		.amdhsa_uses_dynamic_stack 0
		.amdhsa_system_sgpr_private_segment_wavefront_offset 0
		.amdhsa_system_sgpr_workgroup_id_x 1
		.amdhsa_system_sgpr_workgroup_id_y 1
		.amdhsa_system_sgpr_workgroup_id_z 1
		.amdhsa_system_sgpr_workgroup_info 0
		.amdhsa_system_vgpr_workitem_id 1
		.amdhsa_next_free_vgpr 62
		.amdhsa_next_free_sgpr 52
		.amdhsa_accum_offset 64
		.amdhsa_reserve_vcc 1
		.amdhsa_reserve_flat_scratch 0
		.amdhsa_float_round_mode_32 0
		.amdhsa_float_round_mode_16_64 0
		.amdhsa_float_denorm_mode_32 3
		.amdhsa_float_denorm_mode_16_64 3
		.amdhsa_dx10_clamp 1
		.amdhsa_ieee_mode 1
		.amdhsa_fp16_overflow 0
		.amdhsa_tg_split 0
		.amdhsa_exception_fp_ieee_invalid_op 0
		.amdhsa_exception_fp_denorm_src 0
		.amdhsa_exception_fp_ieee_div_zero 0
		.amdhsa_exception_fp_ieee_overflow 0
		.amdhsa_exception_fp_ieee_underflow 0
		.amdhsa_exception_fp_ieee_inexact 0
		.amdhsa_exception_int_div_zero 0
	.end_amdhsa_kernel
	.section	.text._ZN12_GLOBAL__N_135rocblas_gemm_batched_general_kernelI19rocblas_complex_numIdELi16ELi16ELi32ELi32ELi8ELi32ELi8ELi8ELi32ELc67ELc84EKS2_S3_S2_EEvlllT_PT11_llS6_llS4_PT12_llPT13_lli,"axG",@progbits,_ZN12_GLOBAL__N_135rocblas_gemm_batched_general_kernelI19rocblas_complex_numIdELi16ELi16ELi32ELi32ELi8ELi32ELi8ELi8ELi32ELc67ELc84EKS2_S3_S2_EEvlllT_PT11_llS6_llS4_PT12_llPT13_lli,comdat
.Lfunc_end142:
	.size	_ZN12_GLOBAL__N_135rocblas_gemm_batched_general_kernelI19rocblas_complex_numIdELi16ELi16ELi32ELi32ELi8ELi32ELi8ELi8ELi32ELc67ELc84EKS2_S3_S2_EEvlllT_PT11_llS6_llS4_PT12_llPT13_lli, .Lfunc_end142-_ZN12_GLOBAL__N_135rocblas_gemm_batched_general_kernelI19rocblas_complex_numIdELi16ELi16ELi32ELi32ELi8ELi32ELi8ELi8ELi32ELc67ELc84EKS2_S3_S2_EEvlllT_PT11_llS6_llS4_PT12_llPT13_lli
                                        ; -- End function
	.section	.AMDGPU.csdata,"",@progbits
; Kernel info:
; codeLenInByte = 3912
; NumSgprs: 56
; NumVgprs: 62
; NumAgprs: 0
; TotalNumVgprs: 62
; ScratchSize: 0
; MemoryBound: 1
; FloatMode: 240
; IeeeMode: 1
; LDSByteSize: 8192 bytes/workgroup (compile time only)
; SGPRBlocks: 6
; VGPRBlocks: 7
; NumSGPRsForWavesPerEU: 56
; NumVGPRsForWavesPerEU: 62
; AccumOffset: 64
; Occupancy: 8
; WaveLimiterHint : 0
; COMPUTE_PGM_RSRC2:SCRATCH_EN: 0
; COMPUTE_PGM_RSRC2:USER_SGPR: 6
; COMPUTE_PGM_RSRC2:TRAP_HANDLER: 0
; COMPUTE_PGM_RSRC2:TGID_X_EN: 1
; COMPUTE_PGM_RSRC2:TGID_Y_EN: 1
; COMPUTE_PGM_RSRC2:TGID_Z_EN: 1
; COMPUTE_PGM_RSRC2:TIDIG_COMP_CNT: 1
; COMPUTE_PGM_RSRC3_GFX90A:ACCUM_OFFSET: 15
; COMPUTE_PGM_RSRC3_GFX90A:TG_SPLIT: 0
	.section	.text._ZN12_GLOBAL__N_135rocblas_gemm_batched_general_kernelI19rocblas_complex_numIdELi16ELi16ELi32ELi32ELi8ELi32ELi8ELi8ELi32ELc78ELc67EKS2_S3_S2_EEvlllT_PT11_llS6_llS4_PT12_llPT13_lli,"axG",@progbits,_ZN12_GLOBAL__N_135rocblas_gemm_batched_general_kernelI19rocblas_complex_numIdELi16ELi16ELi32ELi32ELi8ELi32ELi8ELi8ELi32ELc78ELc67EKS2_S3_S2_EEvlllT_PT11_llS6_llS4_PT12_llPT13_lli,comdat
	.globl	_ZN12_GLOBAL__N_135rocblas_gemm_batched_general_kernelI19rocblas_complex_numIdELi16ELi16ELi32ELi32ELi8ELi32ELi8ELi8ELi32ELc78ELc67EKS2_S3_S2_EEvlllT_PT11_llS6_llS4_PT12_llPT13_lli ; -- Begin function _ZN12_GLOBAL__N_135rocblas_gemm_batched_general_kernelI19rocblas_complex_numIdELi16ELi16ELi32ELi32ELi8ELi32ELi8ELi8ELi32ELc78ELc67EKS2_S3_S2_EEvlllT_PT11_llS6_llS4_PT12_llPT13_lli
	.p2align	8
	.type	_ZN12_GLOBAL__N_135rocblas_gemm_batched_general_kernelI19rocblas_complex_numIdELi16ELi16ELi32ELi32ELi8ELi32ELi8ELi8ELi32ELc78ELc67EKS2_S3_S2_EEvlllT_PT11_llS6_llS4_PT12_llPT13_lli,@function
_ZN12_GLOBAL__N_135rocblas_gemm_batched_general_kernelI19rocblas_complex_numIdELi16ELi16ELi32ELi32ELi8ELi32ELi8ELi8ELi32ELc78ELc67EKS2_S3_S2_EEvlllT_PT11_llS6_llS4_PT12_llPT13_lli: ; @_ZN12_GLOBAL__N_135rocblas_gemm_batched_general_kernelI19rocblas_complex_numIdELi16ELi16ELi32ELi32ELi8ELi32ELi8ELi8ELi32ELc78ELc67EKS2_S3_S2_EEvlllT_PT11_llS6_llS4_PT12_llPT13_lli
; %bb.0:
	s_load_dwordx16 s[36:51], s[4:5], 0x0
	s_load_dwordx16 s[12:27], s[4:5], 0x40
	s_mov_b32 s2, s7
	s_ashr_i32 s7, s6, 31
	s_ashr_i32 s3, s2, 31
	s_waitcnt lgkmcnt(0)
	v_cmp_lt_i64_e64 s[0:1], s[40:41], 1
	v_pk_mov_b32 v[26:27], 0, 0
	v_and_b32_e32 v7, 0x3ff, v0
	v_bfe_u32 v9, v0, 10, 10
	s_lshl_b64 s[10:11], s[6:7], 5
	s_lshl_b64 s[28:29], s[2:3], 5
	s_mov_b64 s[30:31], 0
	s_and_b64 vcc, exec, s[0:1]
	v_pk_mov_b32 v[28:29], v[26:27], v[26:27] op_sel:[0,1]
	v_pk_mov_b32 v[22:23], v[26:27], v[26:27] op_sel:[0,1]
	;; [unrolled: 1-line block ×7, first 2 shown]
	s_cbranch_vccnz .LBB143_9
; %bb.1:
	v_lshl_add_u32 v1, v9, 4, v7
	v_lshrrev_b32_e32 v2, 3, v1
	v_mov_b32_e32 v5, s29
	v_add_co_u32_e32 v4, vcc, s28, v2
	v_and_b32_e32 v8, 7, v7
	v_addc_co_u32_e32 v5, vcc, 0, v5, vcc
	v_cmp_gt_i64_e64 s[0:1], s[38:39], v[4:5]
	v_lshlrev_b32_e32 v4, 4, v8
	v_lshl_or_b32 v4, v2, 7, v4
	v_lshrrev_b32_e32 v6, 5, v1
	v_and_b32_e32 v1, 31, v1
	v_add_u32_e32 v31, 0x1000, v4
	v_mov_b32_e32 v4, 0x1000
	v_mov_b32_e32 v11, s11
	v_or_b32_e32 v10, s10, v1
	v_lshl_add_u32 v33, v9, 7, v4
	s_mul_i32 s9, s17, s8
	s_mul_hi_u32 s17, s16, s8
	v_mad_u64_u32 v[4:5], s[34:35], s14, v8, 0
	v_cmp_gt_i64_e32 vcc, s[36:37], v[10:11]
	s_add_i32 s17, s17, s9
	s_mul_i32 s16, s16, s8
	v_mov_b32_e32 v10, v5
	s_lshl_b64 s[16:17], s[16:17], 4
	v_mad_u64_u32 v[10:11], s[34:35], s15, v8, v[10:11]
	s_lshl_b64 s[2:3], s[2:3], 9
	v_mov_b32_e32 v5, v10
	s_add_u32 s2, s2, s16
	v_mov_b32_e32 v0, 0
	v_lshlrev_b64 v[4:5], 4, v[4:5]
	s_addc_u32 s3, s3, s17
	v_mov_b32_e32 v3, v0
	v_mov_b32_e32 v10, s3
	v_add_co_u32_e64 v4, s[2:3], s2, v4
	v_addc_co_u32_e64 v5, s[2:3], v10, v5, s[2:3]
	v_lshlrev_b64 v[2:3], 4, v[2:3]
	v_add_co_u32_e64 v2, s[2:3], v4, v2
	v_addc_co_u32_e64 v3, s[2:3], v5, v3, s[2:3]
	v_mov_b32_e32 v4, s13
	v_add_co_u32_e64 v2, s[2:3], s12, v2
	v_addc_co_u32_e64 v3, s[2:3], v3, v4, s[2:3]
	v_add_co_u32_e64 v10, s[2:3], 8, v2
	v_addc_co_u32_e64 v11, s[2:3], 0, v3, s[2:3]
	v_mad_u64_u32 v[2:3], s[2:3], s48, v6, 0
	v_mov_b32_e32 v4, v3
	v_mad_u64_u32 v[4:5], s[2:3], s49, v6, v[4:5]
	s_mul_i32 s2, s51, s8
	s_mul_hi_u32 s3, s50, s8
	s_add_i32 s3, s3, s2
	s_mul_i32 s2, s50, s8
	s_lshl_b64 s[12:13], s[14:15], 7
	s_lshl_b64 s[2:3], s[2:3], 4
	;; [unrolled: 1-line block ×3, first 2 shown]
	v_mov_b32_e32 v3, v4
	s_add_u32 s2, s6, s2
	v_lshlrev_b64 v[2:3], 4, v[2:3]
	s_addc_u32 s3, s7, s3
	v_mov_b32_e32 v4, s3
	v_add_co_u32_e64 v2, s[2:3], s2, v2
	v_lshlrev_b32_e32 v1, 4, v1
	v_addc_co_u32_e64 v3, s[2:3], v4, v3, s[2:3]
	v_lshl_or_b32 v30, v6, 9, v1
	v_add_co_u32_e64 v1, s[2:3], v2, v1
	v_addc_co_u32_e64 v2, s[2:3], 0, v3, s[2:3]
	v_mov_b32_e32 v3, s47
	v_add_co_u32_e64 v12, s[2:3], s46, v1
	v_addc_co_u32_e64 v13, s[2:3], v3, v2, s[2:3]
	v_pk_mov_b32 v[14:15], 0, 0
	v_lshlrev_b32_e32 v32, 4, v7
	s_lshl_b64 s[2:3], s[48:49], 7
	s_xor_b64 s[6:7], vcc, -1
	v_pk_mov_b32 v[16:17], v[14:15], v[14:15] op_sel:[0,1]
	v_pk_mov_b32 v[20:21], v[14:15], v[14:15] op_sel:[0,1]
	;; [unrolled: 1-line block ×7, first 2 shown]
	s_branch .LBB143_3
.LBB143_2:                              ;   in Loop: Header=BB143_3 Depth=1
	s_or_b64 exec, exec, s[14:15]
	ds_write_b128 v31, v[2:5]
	s_waitcnt lgkmcnt(0)
	s_barrier
	ds_read_b128 v[34:37], v32
	ds_read_b128 v[38:41], v33
	ds_read_b128 v[42:45], v33 offset:16
	ds_read_b128 v[46:49], v33 offset:32
	;; [unrolled: 1-line block ×4, first 2 shown]
	s_waitcnt lgkmcnt(4)
	v_mul_f64 v[54:55], v[40:41], v[36:37]
	v_fma_f64 v[54:55], v[38:39], v[34:35], -v[54:55]
	v_mul_f64 v[56:57], v[38:39], v[36:37]
	v_fmac_f64_e32 v[56:57], v[40:41], v[34:35]
	v_add_f64 v[54:55], v[26:27], v[54:55]
	s_waitcnt lgkmcnt(0)
	v_mul_f64 v[26:27], v[40:41], v[52:53]
	v_add_f64 v[56:57], v[28:29], v[56:57]
	v_fma_f64 v[58:59], v[38:39], v[50:51], -v[26:27]
	ds_read_b128 v[26:29], v33 offset:2048
	v_mul_f64 v[38:39], v[38:39], v[52:53]
	v_fmac_f64_e32 v[38:39], v[40:41], v[50:51]
	v_add_f64 v[40:41], v[22:23], v[58:59]
	v_add_f64 v[38:39], v[24:25], v[38:39]
	ds_read_b128 v[22:25], v33 offset:2064
	s_waitcnt lgkmcnt(1)
	v_mul_f64 v[58:59], v[28:29], v[36:37]
	v_fma_f64 v[58:59], v[26:27], v[34:35], -v[58:59]
	v_mul_f64 v[36:37], v[26:27], v[36:37]
	v_fmac_f64_e32 v[36:37], v[28:29], v[34:35]
	v_add_f64 v[34:35], v[18:19], v[58:59]
	v_mul_f64 v[18:19], v[28:29], v[52:53]
	v_add_f64 v[36:37], v[20:21], v[36:37]
	v_fma_f64 v[58:59], v[26:27], v[50:51], -v[18:19]
	v_mul_f64 v[26:27], v[26:27], v[52:53]
	ds_read_b128 v[18:21], v32 offset:512
	v_fmac_f64_e32 v[26:27], v[28:29], v[50:51]
	v_add_f64 v[28:29], v[16:17], v[58:59]
	v_add_f64 v[26:27], v[14:15], v[26:27]
	ds_read_b128 v[14:17], v32 offset:768
	s_waitcnt lgkmcnt(1)
	v_mul_f64 v[50:51], v[44:45], v[20:21]
	v_fma_f64 v[50:51], v[42:43], v[18:19], -v[50:51]
	v_add_f64 v[50:51], v[54:55], v[50:51]
	v_mul_f64 v[52:53], v[42:43], v[20:21]
	s_waitcnt lgkmcnt(0)
	v_mul_f64 v[54:55], v[44:45], v[16:17]
	v_fma_f64 v[54:55], v[42:43], v[14:15], -v[54:55]
	v_mul_f64 v[42:43], v[42:43], v[16:17]
	v_fmac_f64_e32 v[42:43], v[44:45], v[14:15]
	v_add_f64 v[38:39], v[38:39], v[42:43]
	v_mul_f64 v[42:43], v[24:25], v[20:21]
	v_mul_f64 v[20:21], v[22:23], v[20:21]
	v_fmac_f64_e32 v[52:53], v[44:45], v[18:19]
	v_fma_f64 v[42:43], v[22:23], v[18:19], -v[42:43]
	v_fmac_f64_e32 v[20:21], v[24:25], v[18:19]
	v_mul_f64 v[18:19], v[24:25], v[16:17]
	v_add_f64 v[44:45], v[36:37], v[20:21]
	v_fma_f64 v[20:21], v[22:23], v[14:15], -v[18:19]
	v_mul_f64 v[22:23], v[22:23], v[16:17]
	ds_read_b128 v[16:19], v32 offset:1024
	v_fmac_f64_e32 v[22:23], v[24:25], v[14:15]
	v_add_f64 v[40:41], v[40:41], v[54:55]
	v_add_f64 v[28:29], v[28:29], v[20:21]
	v_add_f64 v[54:55], v[26:27], v[22:23]
	ds_read_b128 v[20:23], v32 offset:1280
	s_waitcnt lgkmcnt(1)
	v_mul_f64 v[24:25], v[46:47], v[18:19]
	v_add_f64 v[52:53], v[56:57], v[52:53]
	v_fmac_f64_e32 v[24:25], v[48:49], v[16:17]
	v_add_f64 v[52:53], v[52:53], v[24:25]
	ds_read_b128 v[24:27], v33 offset:2080
	v_mul_f64 v[14:15], v[48:49], v[18:19]
	v_fma_f64 v[14:15], v[46:47], v[16:17], -v[14:15]
	v_add_f64 v[42:43], v[34:35], v[42:43]
	v_add_f64 v[50:51], v[50:51], v[14:15]
	s_waitcnt lgkmcnt(1)
	v_mul_f64 v[14:15], v[48:49], v[22:23]
	v_mul_f64 v[34:35], v[46:47], v[22:23]
	v_fma_f64 v[14:15], v[46:47], v[20:21], -v[14:15]
	v_fmac_f64_e32 v[34:35], v[48:49], v[20:21]
	v_add_f64 v[40:41], v[40:41], v[14:15]
	v_add_f64 v[38:39], v[38:39], v[34:35]
	ds_read_b128 v[34:37], v33 offset:2096
	s_waitcnt lgkmcnt(1)
	v_mul_f64 v[14:15], v[26:27], v[18:19]
	v_fma_f64 v[14:15], v[24:25], v[16:17], -v[14:15]
	v_mul_f64 v[18:19], v[24:25], v[18:19]
	v_fmac_f64_e32 v[18:19], v[26:27], v[16:17]
	v_add_f64 v[42:43], v[42:43], v[14:15]
	v_mul_f64 v[14:15], v[26:27], v[22:23]
	v_add_f64 v[44:45], v[44:45], v[18:19]
	v_fma_f64 v[18:19], v[24:25], v[20:21], -v[14:15]
	v_mul_f64 v[22:23], v[24:25], v[22:23]
	ds_read_b128 v[14:17], v32 offset:1536
	v_fmac_f64_e32 v[22:23], v[26:27], v[20:21]
	v_add_f64 v[24:25], v[28:29], v[18:19]
	ds_read_b128 v[18:21], v32 offset:1792
	v_add_f64 v[22:23], v[54:55], v[22:23]
	s_waitcnt lgkmcnt(1)
	v_mul_f64 v[26:27], v[4:5], v[16:17]
	v_fma_f64 v[26:27], v[2:3], v[14:15], -v[26:27]
	v_mul_f64 v[28:29], v[2:3], v[16:17]
	s_waitcnt lgkmcnt(0)
	v_mul_f64 v[46:47], v[4:5], v[20:21]
	v_fma_f64 v[46:47], v[2:3], v[18:19], -v[46:47]
	v_mul_f64 v[2:3], v[2:3], v[20:21]
	v_fmac_f64_e32 v[2:3], v[4:5], v[18:19]
	v_add_f64 v[38:39], v[38:39], v[2:3]
	v_mul_f64 v[2:3], v[36:37], v[16:17]
	v_fmac_f64_e32 v[28:29], v[4:5], v[14:15]
	v_fma_f64 v[2:3], v[34:35], v[14:15], -v[2:3]
	v_mul_f64 v[4:5], v[34:35], v[16:17]
	v_fmac_f64_e32 v[4:5], v[36:37], v[14:15]
	v_add_f64 v[42:43], v[42:43], v[2:3]
	v_mul_f64 v[2:3], v[36:37], v[20:21]
	v_add_f64 v[40:41], v[40:41], v[46:47]
	v_add_f64 v[44:45], v[44:45], v[4:5]
	v_fma_f64 v[46:47], v[34:35], v[18:19], -v[2:3]
	ds_read_b128 v[2:5], v33 offset:64
	ds_read_b128 v[14:17], v32 offset:2048
	v_mul_f64 v[20:21], v[34:35], v[20:21]
	v_fmac_f64_e32 v[20:21], v[36:37], v[18:19]
	v_add_f64 v[34:35], v[24:25], v[46:47]
	v_add_f64 v[36:37], v[22:23], v[20:21]
	ds_read_b128 v[18:21], v32 offset:2304
	ds_read_b128 v[22:25], v33 offset:80
	s_waitcnt lgkmcnt(2)
	v_mul_f64 v[46:47], v[4:5], v[16:17]
	v_add_f64 v[26:27], v[50:51], v[26:27]
	v_fma_f64 v[46:47], v[2:3], v[14:15], -v[46:47]
	v_mul_f64 v[48:49], v[2:3], v[16:17]
	v_add_f64 v[28:29], v[52:53], v[28:29]
	v_fmac_f64_e32 v[48:49], v[4:5], v[14:15]
	v_add_f64 v[46:47], v[26:27], v[46:47]
	s_waitcnt lgkmcnt(1)
	v_mul_f64 v[26:27], v[4:5], v[20:21]
	v_add_f64 v[48:49], v[28:29], v[48:49]
	v_fma_f64 v[50:51], v[2:3], v[18:19], -v[26:27]
	ds_read_b128 v[26:29], v33 offset:2112
	v_mul_f64 v[2:3], v[2:3], v[20:21]
	v_fmac_f64_e32 v[2:3], v[4:5], v[18:19]
	v_add_f64 v[40:41], v[40:41], v[50:51]
	v_add_f64 v[38:39], v[38:39], v[2:3]
	ds_read_b128 v[2:5], v33 offset:2128
	s_waitcnt lgkmcnt(1)
	v_mul_f64 v[50:51], v[28:29], v[16:17]
	v_mul_f64 v[16:17], v[26:27], v[16:17]
	v_fma_f64 v[50:51], v[26:27], v[14:15], -v[50:51]
	v_fmac_f64_e32 v[16:17], v[28:29], v[14:15]
	v_mul_f64 v[14:15], v[28:29], v[20:21]
	v_add_f64 v[42:43], v[42:43], v[50:51]
	v_add_f64 v[44:45], v[44:45], v[16:17]
	v_fma_f64 v[50:51], v[26:27], v[18:19], -v[14:15]
	v_mul_f64 v[20:21], v[26:27], v[20:21]
	ds_read_b128 v[14:17], v32 offset:2560
	v_fmac_f64_e32 v[20:21], v[28:29], v[18:19]
	v_add_f64 v[28:29], v[36:37], v[20:21]
	ds_read_b128 v[18:21], v32 offset:2816
	v_add_f64 v[26:27], v[34:35], v[50:51]
	s_waitcnt lgkmcnt(1)
	v_mul_f64 v[34:35], v[24:25], v[16:17]
	v_fma_f64 v[34:35], v[22:23], v[14:15], -v[34:35]
	v_add_f64 v[34:35], v[46:47], v[34:35]
	s_waitcnt lgkmcnt(0)
	v_mul_f64 v[46:47], v[24:25], v[20:21]
	v_mul_f64 v[36:37], v[22:23], v[16:17]
	v_fma_f64 v[46:47], v[22:23], v[18:19], -v[46:47]
	v_mul_f64 v[22:23], v[22:23], v[20:21]
	v_fmac_f64_e32 v[22:23], v[24:25], v[18:19]
	v_add_f64 v[38:39], v[38:39], v[22:23]
	v_mul_f64 v[22:23], v[4:5], v[16:17]
	v_mul_f64 v[16:17], v[2:3], v[16:17]
	v_fmac_f64_e32 v[36:37], v[24:25], v[14:15]
	v_fma_f64 v[22:23], v[2:3], v[14:15], -v[22:23]
	v_fmac_f64_e32 v[16:17], v[4:5], v[14:15]
	v_mul_f64 v[14:15], v[4:5], v[20:21]
	v_mul_f64 v[20:21], v[2:3], v[20:21]
	v_add_f64 v[42:43], v[42:43], v[22:23]
	v_add_f64 v[44:45], v[44:45], v[16:17]
	v_fma_f64 v[22:23], v[2:3], v[18:19], -v[14:15]
	v_fmac_f64_e32 v[20:21], v[4:5], v[18:19]
	ds_read_b128 v[2:5], v33 offset:96
	ds_read_b128 v[14:17], v32 offset:3072
	v_add_f64 v[36:37], v[48:49], v[36:37]
	v_add_f64 v[40:41], v[40:41], v[46:47]
	;; [unrolled: 1-line block ×4, first 2 shown]
	ds_read_b128 v[18:21], v32 offset:3328
	ds_read_b128 v[22:25], v33 offset:112
	s_waitcnt lgkmcnt(2)
	v_mul_f64 v[26:27], v[4:5], v[16:17]
	v_fma_f64 v[26:27], v[2:3], v[14:15], -v[26:27]
	v_mul_f64 v[28:29], v[2:3], v[16:17]
	v_fmac_f64_e32 v[28:29], v[4:5], v[14:15]
	v_add_f64 v[50:51], v[34:35], v[26:27]
	s_waitcnt lgkmcnt(1)
	v_mul_f64 v[26:27], v[4:5], v[20:21]
	v_add_f64 v[52:53], v[36:37], v[28:29]
	v_fma_f64 v[34:35], v[2:3], v[18:19], -v[26:27]
	ds_read_b128 v[26:29], v33 offset:2144
	v_mul_f64 v[2:3], v[2:3], v[20:21]
	v_fmac_f64_e32 v[2:3], v[4:5], v[18:19]
	v_add_f64 v[40:41], v[40:41], v[34:35]
	v_add_f64 v[38:39], v[38:39], v[2:3]
	ds_read_b128 v[2:5], v33 offset:2160
	s_waitcnt lgkmcnt(1)
	v_mul_f64 v[34:35], v[28:29], v[16:17]
	v_mul_f64 v[16:17], v[26:27], v[16:17]
	v_fma_f64 v[34:35], v[26:27], v[14:15], -v[34:35]
	v_fmac_f64_e32 v[16:17], v[28:29], v[14:15]
	v_mul_f64 v[14:15], v[28:29], v[20:21]
	v_add_f64 v[42:43], v[42:43], v[34:35]
	v_add_f64 v[44:45], v[44:45], v[16:17]
	v_fma_f64 v[34:35], v[26:27], v[18:19], -v[14:15]
	ds_read_b128 v[14:17], v32 offset:3584
	v_add_f64 v[46:47], v[46:47], v[34:35]
	ds_read_b128 v[34:37], v32 offset:3840
	v_mul_f64 v[20:21], v[26:27], v[20:21]
	v_fmac_f64_e32 v[20:21], v[28:29], v[18:19]
	s_waitcnt lgkmcnt(1)
	v_mul_f64 v[18:19], v[24:25], v[16:17]
	v_fma_f64 v[18:19], v[22:23], v[14:15], -v[18:19]
	v_add_f64 v[48:49], v[48:49], v[20:21]
	v_mul_f64 v[20:21], v[22:23], v[16:17]
	v_add_f64 v[26:27], v[50:51], v[18:19]
	s_waitcnt lgkmcnt(0)
	v_mul_f64 v[18:19], v[24:25], v[36:37]
	v_fmac_f64_e32 v[20:21], v[24:25], v[14:15]
	v_fma_f64 v[18:19], v[22:23], v[34:35], -v[18:19]
	v_add_f64 v[28:29], v[52:53], v[20:21]
	v_mul_f64 v[20:21], v[22:23], v[36:37]
	v_add_f64 v[22:23], v[40:41], v[18:19]
	v_mul_f64 v[18:19], v[4:5], v[16:17]
	v_mul_f64 v[16:17], v[2:3], v[16:17]
	v_fma_f64 v[18:19], v[2:3], v[14:15], -v[18:19]
	v_fmac_f64_e32 v[16:17], v[4:5], v[14:15]
	v_mul_f64 v[14:15], v[4:5], v[36:37]
	v_mov_b32_e32 v1, s13
	v_add_co_u32_e32 v10, vcc, s12, v10
	v_fma_f64 v[14:15], v[2:3], v[34:35], -v[14:15]
	v_mul_f64 v[2:3], v[2:3], v[36:37]
	v_addc_co_u32_e32 v11, vcc, v11, v1, vcc
	v_fmac_f64_e32 v[20:21], v[24:25], v[34:35]
	v_fmac_f64_e32 v[2:3], v[4:5], v[34:35]
	s_add_u32 s30, s30, 8
	v_mov_b32_e32 v1, s3
	v_add_co_u32_e32 v12, vcc, s2, v12
	v_add_f64 v[24:25], v[38:39], v[20:21]
	v_add_f64 v[20:21], v[44:45], v[16:17]
	v_add_f64 v[16:17], v[46:47], v[14:15]
	v_add_f64 v[14:15], v[48:49], v[2:3]
	s_addc_u32 s31, s31, 0
	v_addc_co_u32_e32 v13, vcc, v13, v1, vcc
	v_pk_mov_b32 v[2:3], s[40:41], s[40:41] op_sel:[0,1]
	v_cmp_lt_i64_e32 vcc, s[30:31], v[2:3]
	v_add_f64 v[18:19], v[42:43], v[18:19]
	s_barrier
	s_cbranch_vccz .LBB143_9
.LBB143_3:                              ; =>This Inner Loop Header: Depth=1
	v_mov_b32_e32 v1, s31
	v_add_co_u32_e32 v2, vcc, s30, v6
	v_addc_co_u32_e32 v3, vcc, 0, v1, vcc
	v_cmp_le_i64_e32 vcc, s[40:41], v[2:3]
	s_or_b64 s[14:15], s[6:7], vcc
	s_and_saveexec_b64 s[16:17], s[14:15]
	s_xor_b64 s[14:15], exec, s[16:17]
	s_cbranch_execz .LBB143_5
; %bb.4:                                ;   in Loop: Header=BB143_3 Depth=1
	v_mov_b32_e32 v1, v0
	v_mov_b32_e32 v2, v0
	;; [unrolled: 1-line block ×3, first 2 shown]
	ds_write_b128 v30, v[0:3]
.LBB143_5:                              ;   in Loop: Header=BB143_3 Depth=1
	s_andn2_saveexec_b64 s[14:15], s[14:15]
	s_cbranch_execz .LBB143_7
; %bb.6:                                ;   in Loop: Header=BB143_3 Depth=1
	global_load_dwordx4 v[2:5], v[12:13], off
	s_waitcnt vmcnt(0)
	ds_write2_b64 v30, v[2:3], v[4:5] offset1:1
.LBB143_7:                              ;   in Loop: Header=BB143_3 Depth=1
	s_or_b64 exec, exec, s[14:15]
	v_mov_b32_e32 v1, s31
	v_add_co_u32_e32 v2, vcc, s30, v8
	v_addc_co_u32_e32 v3, vcc, 0, v1, vcc
	v_cmp_gt_i64_e32 vcc, s[40:41], v[2:3]
	v_pk_mov_b32 v[2:3], 0, 0
	s_and_b64 s[16:17], vcc, s[0:1]
	v_pk_mov_b32 v[4:5], v[2:3], v[2:3] op_sel:[0,1]
	s_and_saveexec_b64 s[14:15], s[16:17]
	s_cbranch_execz .LBB143_2
; %bb.8:                                ;   in Loop: Header=BB143_3 Depth=1
	global_load_dwordx4 v[2:5], v[10:11], off offset:-8
	s_waitcnt vmcnt(0)
	v_xor_b32_e32 v5, 0x80000000, v5
	s_branch .LBB143_2
.LBB143_9:
	s_load_dwordx2 s[0:1], s[4:5], 0x90
	s_load_dwordx4 s[12:15], s[4:5], 0x80
	v_mov_b32_e32 v1, s29
	v_add_co_u32_e32 v0, vcc, s28, v9
	s_waitcnt lgkmcnt(0)
	s_mul_i32 s1, s8, s1
	s_mul_hi_u32 s2, s8, s0
	s_mul_i32 s0, s8, s0
	s_add_i32 s1, s2, s1
	s_lshl_b64 s[0:1], s[0:1], 4
	s_add_u32 s9, s12, s0
	s_addc_u32 s16, s13, s1
	v_cmp_neq_f64_e64 s[0:1], s[18:19], 0
	v_cmp_neq_f64_e64 s[2:3], s[20:21], 0
	v_addc_co_u32_e32 v1, vcc, 0, v1, vcc
	s_or_b64 s[4:5], s[0:1], s[2:3]
	v_cmp_gt_i64_e64 s[0:1], s[38:39], v[0:1]
	s_mov_b64 s[2:3], -1
	s_and_b64 vcc, exec, s[4:5]
	s_cbranch_vccnz .LBB143_21
; %bb.10:
	s_and_saveexec_b64 s[6:7], s[0:1]
	s_cbranch_execz .LBB143_20
; %bb.11:
	v_mov_b32_e32 v2, s11
	v_add_co_u32_e32 v4, vcc, s10, v7
	v_addc_co_u32_e32 v5, vcc, 0, v2, vcc
	v_mul_lo_u32 v6, v1, s14
	v_mul_lo_u32 v8, v0, s15
	v_mad_u64_u32 v[2:3], s[2:3], v0, s14, 0
	v_add3_u32 v3, v3, v8, v6
	v_lshlrev_b64 v[2:3], 4, v[2:3]
	v_mov_b32_e32 v8, s16
	v_add_co_u32_e64 v6, s[2:3], s9, v2
	v_cmp_gt_i64_e32 vcc, s[36:37], v[4:5]
	v_addc_co_u32_e64 v8, s[2:3], v8, v3, s[2:3]
	v_lshlrev_b64 v[2:3], 4, v[4:5]
	s_and_saveexec_b64 s[4:5], vcc
	s_cbranch_execz .LBB143_13
; %bb.12:
	v_mul_f64 v[10:11], s[44:45], v[28:29]
	v_mul_f64 v[12:13], s[42:43], v[28:29]
	v_add_co_u32_e64 v30, s[2:3], v6, v2
	v_fma_f64 v[10:11], s[42:43], v[26:27], -v[10:11]
	v_fmac_f64_e32 v[12:13], s[44:45], v[26:27]
	v_addc_co_u32_e64 v31, s[2:3], v8, v3, s[2:3]
	global_store_dwordx4 v[30:31], v[10:13], off
.LBB143_13:
	s_or_b64 exec, exec, s[4:5]
	v_add_co_u32_e64 v4, s[2:3], 16, v4
	v_addc_co_u32_e64 v5, s[2:3], 0, v5, s[2:3]
	v_cmp_gt_i64_e64 s[2:3], s[36:37], v[4:5]
	s_and_saveexec_b64 s[12:13], s[2:3]
	s_cbranch_execz .LBB143_15
; %bb.14:
	v_mul_f64 v[4:5], s[44:45], v[24:25]
	v_fma_f64 v[10:11], s[42:43], v[22:23], -v[4:5]
	v_mul_f64 v[12:13], s[42:43], v[24:25]
	v_add_co_u32_e64 v4, s[4:5], v6, v2
	v_fmac_f64_e32 v[12:13], s[44:45], v[22:23]
	v_addc_co_u32_e64 v5, s[4:5], v8, v3, s[4:5]
	global_store_dwordx4 v[4:5], v[10:13], off offset:256
.LBB143_15:
	s_or_b64 exec, exec, s[12:13]
	v_add_co_u32_e64 v4, s[4:5], 16, v0
	v_addc_co_u32_e64 v5, s[4:5], 0, v1, s[4:5]
	v_cmp_gt_i64_e64 s[4:5], s[38:39], v[4:5]
	s_and_b64 exec, exec, s[4:5]
	s_cbranch_execz .LBB143_20
; %bb.16:
	s_lshl_b64 s[4:5], s[14:15], 8
	v_mov_b32_e32 v4, s5
	v_add_co_u32_e64 v5, s[4:5], s4, v6
	v_addc_co_u32_e64 v4, s[4:5], v8, v4, s[4:5]
	v_add_co_u32_e64 v2, s[4:5], v5, v2
	v_addc_co_u32_e64 v3, s[4:5], v4, v3, s[4:5]
	s_and_saveexec_b64 s[4:5], vcc
	s_cbranch_execz .LBB143_18
; %bb.17:
	v_mul_f64 v[4:5], s[44:45], v[20:21]
	v_mul_f64 v[10:11], s[42:43], v[20:21]
	v_fma_f64 v[8:9], s[42:43], v[18:19], -v[4:5]
	v_fmac_f64_e32 v[10:11], s[44:45], v[18:19]
	global_store_dwordx4 v[2:3], v[8:11], off
.LBB143_18:
	s_or_b64 exec, exec, s[4:5]
	s_and_b64 exec, exec, s[2:3]
	s_cbranch_execz .LBB143_20
; %bb.19:
	v_mul_f64 v[4:5], s[44:45], v[14:15]
	v_mul_f64 v[10:11], s[42:43], v[14:15]
	v_fma_f64 v[8:9], s[42:43], v[16:17], -v[4:5]
	v_fmac_f64_e32 v[10:11], s[44:45], v[16:17]
	global_store_dwordx4 v[2:3], v[8:11], off offset:256
.LBB143_20:
	s_or_b64 exec, exec, s[6:7]
	s_mov_b64 s[2:3], 0
.LBB143_21:
	s_andn2_b64 vcc, exec, s[2:3]
	s_cbranch_vccnz .LBB143_32
; %bb.22:
	s_and_saveexec_b64 s[2:3], s[0:1]
	s_cbranch_execz .LBB143_32
; %bb.23:
	s_mul_i32 s0, s8, s27
	s_mul_hi_u32 s1, s8, s26
	s_add_i32 s1, s1, s0
	s_mul_i32 s0, s8, s26
	s_lshl_b64 s[0:1], s[0:1], 4
	s_add_u32 s2, s22, s0
	v_mov_b32_e32 v2, s11
	v_add_co_u32_e32 v4, vcc, s10, v7
	s_addc_u32 s3, s23, s1
	v_addc_co_u32_e32 v5, vcc, 0, v2, vcc
	v_mul_lo_u32 v6, v1, s24
	v_mul_lo_u32 v7, v0, s25
	v_mad_u64_u32 v[2:3], s[0:1], v0, s24, 0
	v_add3_u32 v3, v3, v7, v6
	v_mul_lo_u32 v6, v1, s14
	v_mul_lo_u32 v7, v0, s15
	v_mad_u64_u32 v[8:9], s[0:1], v0, s14, 0
	v_lshlrev_b64 v[2:3], 4, v[2:3]
	v_add3_u32 v9, v9, v7, v6
	v_mov_b32_e32 v7, s3
	v_add_co_u32_e64 v6, s[0:1], s2, v2
	v_addc_co_u32_e64 v7, s[0:1], v7, v3, s[0:1]
	v_lshlrev_b64 v[2:3], 4, v[8:9]
	v_mov_b32_e32 v9, s16
	v_add_co_u32_e64 v8, s[0:1], s9, v2
	v_cmp_gt_i64_e32 vcc, s[36:37], v[4:5]
	v_addc_co_u32_e64 v9, s[0:1], v9, v3, s[0:1]
	v_lshlrev_b64 v[2:3], 4, v[4:5]
	s_and_saveexec_b64 s[2:3], vcc
	s_cbranch_execz .LBB143_25
; %bb.24:
	v_add_co_u32_e64 v10, s[0:1], v6, v2
	v_addc_co_u32_e64 v11, s[0:1], v7, v3, s[0:1]
	global_load_dwordx4 v[10:13], v[10:11], off
	v_mul_f64 v[30:31], s[44:45], v[28:29]
	v_mul_f64 v[28:29], s[42:43], v[28:29]
	v_fma_f64 v[30:31], s[42:43], v[26:27], -v[30:31]
	v_fmac_f64_e32 v[28:29], s[44:45], v[26:27]
	s_waitcnt vmcnt(0)
	v_mul_f64 v[26:27], s[20:21], v[12:13]
	v_mul_f64 v[12:13], s[18:19], v[12:13]
	v_fma_f64 v[26:27], s[18:19], v[10:11], -v[26:27]
	v_fmac_f64_e32 v[12:13], s[20:21], v[10:11]
	v_add_f64 v[10:11], v[30:31], v[26:27]
	v_add_co_u32_e64 v26, s[0:1], v8, v2
	v_add_f64 v[12:13], v[28:29], v[12:13]
	v_addc_co_u32_e64 v27, s[0:1], v9, v3, s[0:1]
	global_store_dwordx4 v[26:27], v[10:13], off
.LBB143_25:
	s_or_b64 exec, exec, s[2:3]
	v_add_co_u32_e64 v4, s[0:1], 16, v4
	v_addc_co_u32_e64 v5, s[0:1], 0, v5, s[0:1]
	v_cmp_gt_i64_e64 s[0:1], s[36:37], v[4:5]
	s_and_saveexec_b64 s[4:5], s[0:1]
	s_cbranch_execz .LBB143_27
; %bb.26:
	v_add_co_u32_e64 v4, s[2:3], v6, v2
	v_addc_co_u32_e64 v5, s[2:3], v7, v3, s[2:3]
	global_load_dwordx4 v[10:13], v[4:5], off offset:256
	v_mul_f64 v[4:5], s[44:45], v[24:25]
	v_mul_f64 v[24:25], s[42:43], v[24:25]
	v_fma_f64 v[4:5], s[42:43], v[22:23], -v[4:5]
	v_fmac_f64_e32 v[24:25], s[44:45], v[22:23]
	s_waitcnt vmcnt(0)
	v_mul_f64 v[22:23], s[20:21], v[12:13]
	v_mul_f64 v[12:13], s[18:19], v[12:13]
	v_fma_f64 v[22:23], s[18:19], v[10:11], -v[22:23]
	v_fmac_f64_e32 v[12:13], s[20:21], v[10:11]
	v_add_f64 v[10:11], v[4:5], v[22:23]
	v_add_co_u32_e64 v4, s[2:3], v8, v2
	v_add_f64 v[12:13], v[24:25], v[12:13]
	v_addc_co_u32_e64 v5, s[2:3], v9, v3, s[2:3]
	global_store_dwordx4 v[4:5], v[10:13], off offset:256
.LBB143_27:
	s_or_b64 exec, exec, s[4:5]
	v_add_co_u32_e64 v0, s[2:3], 16, v0
	v_addc_co_u32_e64 v1, s[2:3], 0, v1, s[2:3]
	v_cmp_gt_i64_e64 s[2:3], s[38:39], v[0:1]
	s_and_b64 exec, exec, s[2:3]
	s_cbranch_execz .LBB143_32
; %bb.28:
	s_lshl_b64 s[2:3], s[24:25], 8
	v_mov_b32_e32 v0, s3
	v_add_co_u32_e64 v1, s[2:3], s2, v6
	v_addc_co_u32_e64 v0, s[2:3], v7, v0, s[2:3]
	s_lshl_b64 s[2:3], s[14:15], 8
	v_mov_b32_e32 v4, s3
	v_add_co_u32_e64 v6, s[2:3], s2, v8
	v_addc_co_u32_e64 v7, s[2:3], v9, v4, s[2:3]
	v_add_co_u32_e64 v4, s[2:3], v1, v2
	v_addc_co_u32_e64 v5, s[2:3], v0, v3, s[2:3]
	;; [unrolled: 2-line block ×3, first 2 shown]
	s_and_saveexec_b64 s[2:3], vcc
	s_cbranch_execz .LBB143_30
; %bb.29:
	global_load_dwordx4 v[6:9], v[4:5], off
	v_mul_f64 v[2:3], s[44:45], v[20:21]
	v_mul_f64 v[10:11], s[42:43], v[20:21]
	v_fma_f64 v[2:3], s[42:43], v[18:19], -v[2:3]
	v_fmac_f64_e32 v[10:11], s[44:45], v[18:19]
	s_waitcnt vmcnt(0)
	v_mul_f64 v[12:13], s[20:21], v[8:9]
	v_mul_f64 v[8:9], s[18:19], v[8:9]
	v_fma_f64 v[12:13], s[18:19], v[6:7], -v[12:13]
	v_fmac_f64_e32 v[8:9], s[20:21], v[6:7]
	v_add_f64 v[6:7], v[2:3], v[12:13]
	v_add_f64 v[8:9], v[10:11], v[8:9]
	global_store_dwordx4 v[0:1], v[6:9], off
.LBB143_30:
	s_or_b64 exec, exec, s[2:3]
	s_and_b64 exec, exec, s[0:1]
	s_cbranch_execz .LBB143_32
; %bb.31:
	global_load_dwordx4 v[2:5], v[4:5], off offset:256
	v_mul_f64 v[6:7], s[44:45], v[14:15]
	v_mul_f64 v[8:9], s[42:43], v[14:15]
	v_fma_f64 v[6:7], s[42:43], v[16:17], -v[6:7]
	v_fmac_f64_e32 v[8:9], s[44:45], v[16:17]
	s_waitcnt vmcnt(0)
	v_mul_f64 v[10:11], s[20:21], v[4:5]
	v_mul_f64 v[4:5], s[18:19], v[4:5]
	v_fma_f64 v[10:11], s[18:19], v[2:3], -v[10:11]
	v_fmac_f64_e32 v[4:5], s[20:21], v[2:3]
	v_add_f64 v[2:3], v[6:7], v[10:11]
	v_add_f64 v[4:5], v[8:9], v[4:5]
	global_store_dwordx4 v[0:1], v[2:5], off offset:256
.LBB143_32:
	s_endpgm
	.section	.rodata,"a",@progbits
	.p2align	6, 0x0
	.amdhsa_kernel _ZN12_GLOBAL__N_135rocblas_gemm_batched_general_kernelI19rocblas_complex_numIdELi16ELi16ELi32ELi32ELi8ELi32ELi8ELi8ELi32ELc78ELc67EKS2_S3_S2_EEvlllT_PT11_llS6_llS4_PT12_llPT13_lli
		.amdhsa_group_segment_fixed_size 8192
		.amdhsa_private_segment_fixed_size 0
		.amdhsa_kernarg_size 156
		.amdhsa_user_sgpr_count 6
		.amdhsa_user_sgpr_private_segment_buffer 1
		.amdhsa_user_sgpr_dispatch_ptr 0
		.amdhsa_user_sgpr_queue_ptr 0
		.amdhsa_user_sgpr_kernarg_segment_ptr 1
		.amdhsa_user_sgpr_dispatch_id 0
		.amdhsa_user_sgpr_flat_scratch_init 0
		.amdhsa_user_sgpr_kernarg_preload_length 0
		.amdhsa_user_sgpr_kernarg_preload_offset 0
		.amdhsa_user_sgpr_private_segment_size 0
		.amdhsa_uses_dynamic_stack 0
		.amdhsa_system_sgpr_private_segment_wavefront_offset 0
		.amdhsa_system_sgpr_workgroup_id_x 1
		.amdhsa_system_sgpr_workgroup_id_y 1
		.amdhsa_system_sgpr_workgroup_id_z 1
		.amdhsa_system_sgpr_workgroup_info 0
		.amdhsa_system_vgpr_workitem_id 1
		.amdhsa_next_free_vgpr 60
		.amdhsa_next_free_sgpr 52
		.amdhsa_accum_offset 60
		.amdhsa_reserve_vcc 1
		.amdhsa_reserve_flat_scratch 0
		.amdhsa_float_round_mode_32 0
		.amdhsa_float_round_mode_16_64 0
		.amdhsa_float_denorm_mode_32 3
		.amdhsa_float_denorm_mode_16_64 3
		.amdhsa_dx10_clamp 1
		.amdhsa_ieee_mode 1
		.amdhsa_fp16_overflow 0
		.amdhsa_tg_split 0
		.amdhsa_exception_fp_ieee_invalid_op 0
		.amdhsa_exception_fp_denorm_src 0
		.amdhsa_exception_fp_ieee_div_zero 0
		.amdhsa_exception_fp_ieee_overflow 0
		.amdhsa_exception_fp_ieee_underflow 0
		.amdhsa_exception_fp_ieee_inexact 0
		.amdhsa_exception_int_div_zero 0
	.end_amdhsa_kernel
	.section	.text._ZN12_GLOBAL__N_135rocblas_gemm_batched_general_kernelI19rocblas_complex_numIdELi16ELi16ELi32ELi32ELi8ELi32ELi8ELi8ELi32ELc78ELc67EKS2_S3_S2_EEvlllT_PT11_llS6_llS4_PT12_llPT13_lli,"axG",@progbits,_ZN12_GLOBAL__N_135rocblas_gemm_batched_general_kernelI19rocblas_complex_numIdELi16ELi16ELi32ELi32ELi8ELi32ELi8ELi8ELi32ELc78ELc67EKS2_S3_S2_EEvlllT_PT11_llS6_llS4_PT12_llPT13_lli,comdat
.Lfunc_end143:
	.size	_ZN12_GLOBAL__N_135rocblas_gemm_batched_general_kernelI19rocblas_complex_numIdELi16ELi16ELi32ELi32ELi8ELi32ELi8ELi8ELi32ELc78ELc67EKS2_S3_S2_EEvlllT_PT11_llS6_llS4_PT12_llPT13_lli, .Lfunc_end143-_ZN12_GLOBAL__N_135rocblas_gemm_batched_general_kernelI19rocblas_complex_numIdELi16ELi16ELi32ELi32ELi8ELi32ELi8ELi8ELi32ELc78ELc67EKS2_S3_S2_EEvlllT_PT11_llS6_llS4_PT12_llPT13_lli
                                        ; -- End function
	.section	.AMDGPU.csdata,"",@progbits
; Kernel info:
; codeLenInByte = 3888
; NumSgprs: 56
; NumVgprs: 60
; NumAgprs: 0
; TotalNumVgprs: 60
; ScratchSize: 0
; MemoryBound: 1
; FloatMode: 240
; IeeeMode: 1
; LDSByteSize: 8192 bytes/workgroup (compile time only)
; SGPRBlocks: 6
; VGPRBlocks: 7
; NumSGPRsForWavesPerEU: 56
; NumVGPRsForWavesPerEU: 60
; AccumOffset: 60
; Occupancy: 8
; WaveLimiterHint : 0
; COMPUTE_PGM_RSRC2:SCRATCH_EN: 0
; COMPUTE_PGM_RSRC2:USER_SGPR: 6
; COMPUTE_PGM_RSRC2:TRAP_HANDLER: 0
; COMPUTE_PGM_RSRC2:TGID_X_EN: 1
; COMPUTE_PGM_RSRC2:TGID_Y_EN: 1
; COMPUTE_PGM_RSRC2:TGID_Z_EN: 1
; COMPUTE_PGM_RSRC2:TIDIG_COMP_CNT: 1
; COMPUTE_PGM_RSRC3_GFX90A:ACCUM_OFFSET: 14
; COMPUTE_PGM_RSRC3_GFX90A:TG_SPLIT: 0
	.section	.text._ZN12_GLOBAL__N_135rocblas_gemm_batched_general_kernelI19rocblas_complex_numIdELi16ELi16ELi32ELi32ELi8ELi32ELi8ELi8ELi32ELc84ELc67EKS2_S3_S2_EEvlllT_PT11_llS6_llS4_PT12_llPT13_lli,"axG",@progbits,_ZN12_GLOBAL__N_135rocblas_gemm_batched_general_kernelI19rocblas_complex_numIdELi16ELi16ELi32ELi32ELi8ELi32ELi8ELi8ELi32ELc84ELc67EKS2_S3_S2_EEvlllT_PT11_llS6_llS4_PT12_llPT13_lli,comdat
	.globl	_ZN12_GLOBAL__N_135rocblas_gemm_batched_general_kernelI19rocblas_complex_numIdELi16ELi16ELi32ELi32ELi8ELi32ELi8ELi8ELi32ELc84ELc67EKS2_S3_S2_EEvlllT_PT11_llS6_llS4_PT12_llPT13_lli ; -- Begin function _ZN12_GLOBAL__N_135rocblas_gemm_batched_general_kernelI19rocblas_complex_numIdELi16ELi16ELi32ELi32ELi8ELi32ELi8ELi8ELi32ELc84ELc67EKS2_S3_S2_EEvlllT_PT11_llS6_llS4_PT12_llPT13_lli
	.p2align	8
	.type	_ZN12_GLOBAL__N_135rocblas_gemm_batched_general_kernelI19rocblas_complex_numIdELi16ELi16ELi32ELi32ELi8ELi32ELi8ELi8ELi32ELc84ELc67EKS2_S3_S2_EEvlllT_PT11_llS6_llS4_PT12_llPT13_lli,@function
_ZN12_GLOBAL__N_135rocblas_gemm_batched_general_kernelI19rocblas_complex_numIdELi16ELi16ELi32ELi32ELi8ELi32ELi8ELi8ELi32ELc84ELc67EKS2_S3_S2_EEvlllT_PT11_llS6_llS4_PT12_llPT13_lli: ; @_ZN12_GLOBAL__N_135rocblas_gemm_batched_general_kernelI19rocblas_complex_numIdELi16ELi16ELi32ELi32ELi8ELi32ELi8ELi8ELi32ELc84ELc67EKS2_S3_S2_EEvlllT_PT11_llS6_llS4_PT12_llPT13_lli
; %bb.0:
	s_load_dwordx16 s[36:51], s[4:5], 0x0
	s_load_dwordx16 s[12:27], s[4:5], 0x40
	s_mov_b32 s2, s7
	s_ashr_i32 s7, s6, 31
	s_ashr_i32 s3, s2, 31
	s_waitcnt lgkmcnt(0)
	v_cmp_lt_i64_e64 s[0:1], s[40:41], 1
	v_pk_mov_b32 v[26:27], 0, 0
	v_and_b32_e32 v7, 0x3ff, v0
	v_bfe_u32 v9, v0, 10, 10
	s_lshl_b64 s[6:7], s[6:7], 5
	s_lshl_b64 s[10:11], s[2:3], 5
	s_mov_b64 s[28:29], 0
	s_and_b64 vcc, exec, s[0:1]
	v_pk_mov_b32 v[28:29], v[26:27], v[26:27] op_sel:[0,1]
	v_pk_mov_b32 v[22:23], v[26:27], v[26:27] op_sel:[0,1]
	;; [unrolled: 1-line block ×7, first 2 shown]
	s_cbranch_vccnz .LBB144_9
; %bb.1:
	v_lshl_add_u32 v1, v9, 4, v7
	v_lshrrev_b32_e32 v2, 3, v1
	v_mov_b32_e32 v5, s11
	v_add_co_u32_e32 v4, vcc, s10, v2
	v_and_b32_e32 v8, 7, v7
	v_addc_co_u32_e32 v5, vcc, 0, v5, vcc
	v_cmp_gt_i64_e64 s[0:1], s[38:39], v[4:5]
	v_lshlrev_b32_e32 v4, 4, v8
	v_lshrrev_b32_e32 v6, 5, v1
	v_and_b32_e32 v1, 31, v1
	v_lshl_or_b32 v4, v2, 7, v4
	v_mov_b32_e32 v11, s7
	v_or_b32_e32 v10, s6, v1
	v_add_u32_e32 v31, 0x1000, v4
	v_mov_b32_e32 v4, 0x1000
	v_cmp_gt_i64_e32 vcc, s[36:37], v[10:11]
	v_lshlrev_b32_e32 v10, 4, v1
	v_lshl_add_u32 v33, v9, 7, v4
	s_mul_i32 s9, s17, s8
	s_mul_hi_u32 s17, s16, s8
	v_mad_u64_u32 v[4:5], s[30:31], s14, v8, 0
	v_lshl_or_b32 v30, v6, 9, v10
	s_add_i32 s17, s17, s9
	s_mul_i32 s16, s16, s8
	v_mov_b32_e32 v10, v5
	s_lshl_b64 s[16:17], s[16:17], 4
	v_mad_u64_u32 v[10:11], s[30:31], s15, v8, v[10:11]
	s_lshl_b64 s[2:3], s[2:3], 9
	v_mov_b32_e32 v5, v10
	s_add_u32 s2, s2, s16
	v_mov_b32_e32 v0, 0
	v_lshlrev_b64 v[4:5], 4, v[4:5]
	s_addc_u32 s3, s3, s17
	v_mov_b32_e32 v3, v0
	v_mov_b32_e32 v10, s3
	v_add_co_u32_e64 v4, s[2:3], s2, v4
	v_addc_co_u32_e64 v5, s[2:3], v10, v5, s[2:3]
	v_lshlrev_b64 v[2:3], 4, v[2:3]
	v_add_co_u32_e64 v2, s[2:3], v4, v2
	v_addc_co_u32_e64 v3, s[2:3], v5, v3, s[2:3]
	v_mov_b32_e32 v4, s13
	v_add_co_u32_e64 v2, s[2:3], s12, v2
	v_addc_co_u32_e64 v3, s[2:3], v3, v4, s[2:3]
	v_add_co_u32_e64 v10, s[2:3], 8, v2
	v_addc_co_u32_e64 v11, s[2:3], 0, v3, s[2:3]
	v_mov_b32_e32 v2, s7
	v_add_co_u32_e64 v1, s[2:3], s6, v1
	v_addc_co_u32_e64 v2, s[2:3], 0, v2, s[2:3]
	v_mul_lo_u32 v5, s48, v2
	v_mad_u64_u32 v[2:3], s[2:3], s48, v1, 0
	v_mul_lo_u32 v4, s49, v1
	s_mul_i32 s2, s51, s8
	s_mul_hi_u32 s3, s50, s8
	v_add3_u32 v3, v3, v5, v4
	s_add_i32 s3, s3, s2
	s_mul_i32 s2, s50, s8
	v_lshlrev_b64 v[2:3], 4, v[2:3]
	s_lshl_b64 s[2:3], s[2:3], 4
	v_mov_b32_e32 v1, s3
	v_add_co_u32_e64 v2, s[2:3], s2, v2
	v_addc_co_u32_e64 v1, s[2:3], v3, v1, s[2:3]
	v_lshlrev_b32_e32 v3, 4, v6
	v_add_co_u32_e64 v2, s[2:3], v2, v3
	v_addc_co_u32_e64 v1, s[2:3], 0, v1, s[2:3]
	v_mov_b32_e32 v3, s47
	v_add_co_u32_e64 v12, s[2:3], s46, v2
	v_addc_co_u32_e64 v13, s[2:3], v3, v1, s[2:3]
	v_pk_mov_b32 v[14:15], 0, 0
	v_lshlrev_b32_e32 v32, 4, v7
	s_lshl_b64 s[12:13], s[14:15], 7
	s_xor_b64 s[2:3], vcc, -1
	v_pk_mov_b32 v[16:17], v[14:15], v[14:15] op_sel:[0,1]
	v_pk_mov_b32 v[20:21], v[14:15], v[14:15] op_sel:[0,1]
	;; [unrolled: 1-line block ×7, first 2 shown]
	s_branch .LBB144_3
.LBB144_2:                              ;   in Loop: Header=BB144_3 Depth=1
	s_or_b64 exec, exec, s[14:15]
	ds_write_b128 v31, v[2:5]
	s_waitcnt lgkmcnt(0)
	s_barrier
	ds_read_b128 v[34:37], v32
	ds_read_b128 v[38:41], v33
	ds_read_b128 v[42:45], v33 offset:16
	ds_read_b128 v[46:49], v33 offset:32
	;; [unrolled: 1-line block ×4, first 2 shown]
	s_waitcnt lgkmcnt(4)
	v_mul_f64 v[54:55], v[40:41], v[36:37]
	v_fma_f64 v[54:55], v[38:39], v[34:35], -v[54:55]
	v_mul_f64 v[56:57], v[38:39], v[36:37]
	v_fmac_f64_e32 v[56:57], v[40:41], v[34:35]
	v_add_f64 v[54:55], v[26:27], v[54:55]
	s_waitcnt lgkmcnt(0)
	v_mul_f64 v[26:27], v[40:41], v[52:53]
	v_add_f64 v[56:57], v[28:29], v[56:57]
	v_fma_f64 v[58:59], v[38:39], v[50:51], -v[26:27]
	ds_read_b128 v[26:29], v33 offset:2048
	v_mul_f64 v[38:39], v[38:39], v[52:53]
	v_fmac_f64_e32 v[38:39], v[40:41], v[50:51]
	v_add_f64 v[40:41], v[22:23], v[58:59]
	v_add_f64 v[38:39], v[24:25], v[38:39]
	ds_read_b128 v[22:25], v33 offset:2064
	s_waitcnt lgkmcnt(1)
	v_mul_f64 v[58:59], v[28:29], v[36:37]
	v_fma_f64 v[58:59], v[26:27], v[34:35], -v[58:59]
	v_mul_f64 v[36:37], v[26:27], v[36:37]
	v_fmac_f64_e32 v[36:37], v[28:29], v[34:35]
	v_add_f64 v[34:35], v[18:19], v[58:59]
	v_mul_f64 v[18:19], v[28:29], v[52:53]
	v_add_f64 v[36:37], v[20:21], v[36:37]
	v_fma_f64 v[58:59], v[26:27], v[50:51], -v[18:19]
	v_mul_f64 v[26:27], v[26:27], v[52:53]
	ds_read_b128 v[18:21], v32 offset:512
	v_fmac_f64_e32 v[26:27], v[28:29], v[50:51]
	v_add_f64 v[28:29], v[16:17], v[58:59]
	v_add_f64 v[26:27], v[14:15], v[26:27]
	ds_read_b128 v[14:17], v32 offset:768
	s_waitcnt lgkmcnt(1)
	v_mul_f64 v[50:51], v[44:45], v[20:21]
	v_fma_f64 v[50:51], v[42:43], v[18:19], -v[50:51]
	v_add_f64 v[50:51], v[54:55], v[50:51]
	v_mul_f64 v[52:53], v[42:43], v[20:21]
	s_waitcnt lgkmcnt(0)
	v_mul_f64 v[54:55], v[44:45], v[16:17]
	v_fma_f64 v[54:55], v[42:43], v[14:15], -v[54:55]
	v_mul_f64 v[42:43], v[42:43], v[16:17]
	v_fmac_f64_e32 v[42:43], v[44:45], v[14:15]
	v_add_f64 v[38:39], v[38:39], v[42:43]
	v_mul_f64 v[42:43], v[24:25], v[20:21]
	v_mul_f64 v[20:21], v[22:23], v[20:21]
	v_fmac_f64_e32 v[52:53], v[44:45], v[18:19]
	v_fma_f64 v[42:43], v[22:23], v[18:19], -v[42:43]
	v_fmac_f64_e32 v[20:21], v[24:25], v[18:19]
	v_mul_f64 v[18:19], v[24:25], v[16:17]
	v_add_f64 v[44:45], v[36:37], v[20:21]
	v_fma_f64 v[20:21], v[22:23], v[14:15], -v[18:19]
	v_mul_f64 v[22:23], v[22:23], v[16:17]
	ds_read_b128 v[16:19], v32 offset:1024
	v_fmac_f64_e32 v[22:23], v[24:25], v[14:15]
	v_add_f64 v[40:41], v[40:41], v[54:55]
	v_add_f64 v[28:29], v[28:29], v[20:21]
	v_add_f64 v[54:55], v[26:27], v[22:23]
	ds_read_b128 v[20:23], v32 offset:1280
	s_waitcnt lgkmcnt(1)
	v_mul_f64 v[24:25], v[46:47], v[18:19]
	v_add_f64 v[52:53], v[56:57], v[52:53]
	v_fmac_f64_e32 v[24:25], v[48:49], v[16:17]
	v_add_f64 v[52:53], v[52:53], v[24:25]
	ds_read_b128 v[24:27], v33 offset:2080
	v_mul_f64 v[14:15], v[48:49], v[18:19]
	v_fma_f64 v[14:15], v[46:47], v[16:17], -v[14:15]
	v_add_f64 v[42:43], v[34:35], v[42:43]
	v_add_f64 v[50:51], v[50:51], v[14:15]
	s_waitcnt lgkmcnt(1)
	v_mul_f64 v[14:15], v[48:49], v[22:23]
	v_mul_f64 v[34:35], v[46:47], v[22:23]
	v_fma_f64 v[14:15], v[46:47], v[20:21], -v[14:15]
	v_fmac_f64_e32 v[34:35], v[48:49], v[20:21]
	v_add_f64 v[40:41], v[40:41], v[14:15]
	v_add_f64 v[38:39], v[38:39], v[34:35]
	ds_read_b128 v[34:37], v33 offset:2096
	s_waitcnt lgkmcnt(1)
	v_mul_f64 v[14:15], v[26:27], v[18:19]
	v_fma_f64 v[14:15], v[24:25], v[16:17], -v[14:15]
	v_mul_f64 v[18:19], v[24:25], v[18:19]
	v_fmac_f64_e32 v[18:19], v[26:27], v[16:17]
	v_add_f64 v[42:43], v[42:43], v[14:15]
	v_mul_f64 v[14:15], v[26:27], v[22:23]
	v_add_f64 v[44:45], v[44:45], v[18:19]
	v_fma_f64 v[18:19], v[24:25], v[20:21], -v[14:15]
	v_mul_f64 v[22:23], v[24:25], v[22:23]
	ds_read_b128 v[14:17], v32 offset:1536
	v_fmac_f64_e32 v[22:23], v[26:27], v[20:21]
	v_add_f64 v[24:25], v[28:29], v[18:19]
	ds_read_b128 v[18:21], v32 offset:1792
	v_add_f64 v[22:23], v[54:55], v[22:23]
	s_waitcnt lgkmcnt(1)
	v_mul_f64 v[26:27], v[4:5], v[16:17]
	v_fma_f64 v[26:27], v[2:3], v[14:15], -v[26:27]
	v_mul_f64 v[28:29], v[2:3], v[16:17]
	s_waitcnt lgkmcnt(0)
	v_mul_f64 v[46:47], v[4:5], v[20:21]
	v_fma_f64 v[46:47], v[2:3], v[18:19], -v[46:47]
	v_mul_f64 v[2:3], v[2:3], v[20:21]
	v_fmac_f64_e32 v[2:3], v[4:5], v[18:19]
	v_add_f64 v[38:39], v[38:39], v[2:3]
	v_mul_f64 v[2:3], v[36:37], v[16:17]
	v_fmac_f64_e32 v[28:29], v[4:5], v[14:15]
	v_fma_f64 v[2:3], v[34:35], v[14:15], -v[2:3]
	v_mul_f64 v[4:5], v[34:35], v[16:17]
	v_fmac_f64_e32 v[4:5], v[36:37], v[14:15]
	v_add_f64 v[42:43], v[42:43], v[2:3]
	v_mul_f64 v[2:3], v[36:37], v[20:21]
	v_add_f64 v[40:41], v[40:41], v[46:47]
	v_add_f64 v[44:45], v[44:45], v[4:5]
	v_fma_f64 v[46:47], v[34:35], v[18:19], -v[2:3]
	ds_read_b128 v[2:5], v33 offset:64
	ds_read_b128 v[14:17], v32 offset:2048
	v_mul_f64 v[20:21], v[34:35], v[20:21]
	v_fmac_f64_e32 v[20:21], v[36:37], v[18:19]
	v_add_f64 v[34:35], v[24:25], v[46:47]
	v_add_f64 v[36:37], v[22:23], v[20:21]
	ds_read_b128 v[18:21], v32 offset:2304
	ds_read_b128 v[22:25], v33 offset:80
	s_waitcnt lgkmcnt(2)
	v_mul_f64 v[46:47], v[4:5], v[16:17]
	v_add_f64 v[26:27], v[50:51], v[26:27]
	v_fma_f64 v[46:47], v[2:3], v[14:15], -v[46:47]
	v_mul_f64 v[48:49], v[2:3], v[16:17]
	v_add_f64 v[28:29], v[52:53], v[28:29]
	v_fmac_f64_e32 v[48:49], v[4:5], v[14:15]
	v_add_f64 v[46:47], v[26:27], v[46:47]
	s_waitcnt lgkmcnt(1)
	v_mul_f64 v[26:27], v[4:5], v[20:21]
	v_add_f64 v[48:49], v[28:29], v[48:49]
	v_fma_f64 v[50:51], v[2:3], v[18:19], -v[26:27]
	ds_read_b128 v[26:29], v33 offset:2112
	v_mul_f64 v[2:3], v[2:3], v[20:21]
	v_fmac_f64_e32 v[2:3], v[4:5], v[18:19]
	v_add_f64 v[40:41], v[40:41], v[50:51]
	v_add_f64 v[38:39], v[38:39], v[2:3]
	ds_read_b128 v[2:5], v33 offset:2128
	s_waitcnt lgkmcnt(1)
	v_mul_f64 v[50:51], v[28:29], v[16:17]
	v_mul_f64 v[16:17], v[26:27], v[16:17]
	v_fma_f64 v[50:51], v[26:27], v[14:15], -v[50:51]
	v_fmac_f64_e32 v[16:17], v[28:29], v[14:15]
	v_mul_f64 v[14:15], v[28:29], v[20:21]
	v_add_f64 v[42:43], v[42:43], v[50:51]
	v_add_f64 v[44:45], v[44:45], v[16:17]
	v_fma_f64 v[50:51], v[26:27], v[18:19], -v[14:15]
	v_mul_f64 v[20:21], v[26:27], v[20:21]
	ds_read_b128 v[14:17], v32 offset:2560
	v_fmac_f64_e32 v[20:21], v[28:29], v[18:19]
	v_add_f64 v[28:29], v[36:37], v[20:21]
	ds_read_b128 v[18:21], v32 offset:2816
	v_add_f64 v[26:27], v[34:35], v[50:51]
	s_waitcnt lgkmcnt(1)
	v_mul_f64 v[34:35], v[24:25], v[16:17]
	v_fma_f64 v[34:35], v[22:23], v[14:15], -v[34:35]
	v_add_f64 v[34:35], v[46:47], v[34:35]
	s_waitcnt lgkmcnt(0)
	v_mul_f64 v[46:47], v[24:25], v[20:21]
	v_mul_f64 v[36:37], v[22:23], v[16:17]
	v_fma_f64 v[46:47], v[22:23], v[18:19], -v[46:47]
	v_mul_f64 v[22:23], v[22:23], v[20:21]
	v_fmac_f64_e32 v[22:23], v[24:25], v[18:19]
	v_add_f64 v[38:39], v[38:39], v[22:23]
	v_mul_f64 v[22:23], v[4:5], v[16:17]
	v_mul_f64 v[16:17], v[2:3], v[16:17]
	v_fmac_f64_e32 v[36:37], v[24:25], v[14:15]
	v_fma_f64 v[22:23], v[2:3], v[14:15], -v[22:23]
	v_fmac_f64_e32 v[16:17], v[4:5], v[14:15]
	v_mul_f64 v[14:15], v[4:5], v[20:21]
	v_mul_f64 v[20:21], v[2:3], v[20:21]
	v_add_f64 v[42:43], v[42:43], v[22:23]
	v_add_f64 v[44:45], v[44:45], v[16:17]
	v_fma_f64 v[22:23], v[2:3], v[18:19], -v[14:15]
	v_fmac_f64_e32 v[20:21], v[4:5], v[18:19]
	ds_read_b128 v[2:5], v33 offset:96
	ds_read_b128 v[14:17], v32 offset:3072
	v_add_f64 v[36:37], v[48:49], v[36:37]
	v_add_f64 v[40:41], v[40:41], v[46:47]
	;; [unrolled: 1-line block ×4, first 2 shown]
	ds_read_b128 v[18:21], v32 offset:3328
	ds_read_b128 v[22:25], v33 offset:112
	s_waitcnt lgkmcnt(2)
	v_mul_f64 v[26:27], v[4:5], v[16:17]
	v_fma_f64 v[26:27], v[2:3], v[14:15], -v[26:27]
	v_mul_f64 v[28:29], v[2:3], v[16:17]
	v_fmac_f64_e32 v[28:29], v[4:5], v[14:15]
	v_add_f64 v[50:51], v[34:35], v[26:27]
	s_waitcnt lgkmcnt(1)
	v_mul_f64 v[26:27], v[4:5], v[20:21]
	v_add_f64 v[52:53], v[36:37], v[28:29]
	v_fma_f64 v[34:35], v[2:3], v[18:19], -v[26:27]
	ds_read_b128 v[26:29], v33 offset:2144
	v_mul_f64 v[2:3], v[2:3], v[20:21]
	v_fmac_f64_e32 v[2:3], v[4:5], v[18:19]
	v_add_f64 v[40:41], v[40:41], v[34:35]
	v_add_f64 v[38:39], v[38:39], v[2:3]
	ds_read_b128 v[2:5], v33 offset:2160
	s_waitcnt lgkmcnt(1)
	v_mul_f64 v[34:35], v[28:29], v[16:17]
	v_mul_f64 v[16:17], v[26:27], v[16:17]
	v_fma_f64 v[34:35], v[26:27], v[14:15], -v[34:35]
	v_fmac_f64_e32 v[16:17], v[28:29], v[14:15]
	v_mul_f64 v[14:15], v[28:29], v[20:21]
	v_add_f64 v[42:43], v[42:43], v[34:35]
	v_add_f64 v[44:45], v[44:45], v[16:17]
	v_fma_f64 v[34:35], v[26:27], v[18:19], -v[14:15]
	ds_read_b128 v[14:17], v32 offset:3584
	v_add_f64 v[46:47], v[46:47], v[34:35]
	ds_read_b128 v[34:37], v32 offset:3840
	v_mul_f64 v[20:21], v[26:27], v[20:21]
	v_fmac_f64_e32 v[20:21], v[28:29], v[18:19]
	s_waitcnt lgkmcnt(1)
	v_mul_f64 v[18:19], v[24:25], v[16:17]
	v_fma_f64 v[18:19], v[22:23], v[14:15], -v[18:19]
	v_add_f64 v[48:49], v[48:49], v[20:21]
	v_mul_f64 v[20:21], v[22:23], v[16:17]
	v_add_f64 v[26:27], v[50:51], v[18:19]
	s_waitcnt lgkmcnt(0)
	v_mul_f64 v[18:19], v[24:25], v[36:37]
	v_fmac_f64_e32 v[20:21], v[24:25], v[14:15]
	v_fma_f64 v[18:19], v[22:23], v[34:35], -v[18:19]
	v_add_f64 v[28:29], v[52:53], v[20:21]
	v_mul_f64 v[20:21], v[22:23], v[36:37]
	v_add_f64 v[22:23], v[40:41], v[18:19]
	v_mul_f64 v[18:19], v[4:5], v[16:17]
	v_mul_f64 v[16:17], v[2:3], v[16:17]
	v_fma_f64 v[18:19], v[2:3], v[14:15], -v[18:19]
	v_fmac_f64_e32 v[16:17], v[4:5], v[14:15]
	v_mul_f64 v[14:15], v[4:5], v[36:37]
	v_mov_b32_e32 v1, s13
	v_add_co_u32_e32 v10, vcc, s12, v10
	v_fma_f64 v[14:15], v[2:3], v[34:35], -v[14:15]
	v_mul_f64 v[2:3], v[2:3], v[36:37]
	v_addc_co_u32_e32 v11, vcc, v11, v1, vcc
	v_fmac_f64_e32 v[20:21], v[24:25], v[34:35]
	v_fmac_f64_e32 v[2:3], v[4:5], v[34:35]
	s_add_u32 s28, s28, 8
	v_add_co_u32_e32 v12, vcc, 0x80, v12
	v_add_f64 v[24:25], v[38:39], v[20:21]
	v_add_f64 v[20:21], v[44:45], v[16:17]
	;; [unrolled: 1-line block ×4, first 2 shown]
	s_addc_u32 s29, s29, 0
	v_addc_co_u32_e32 v13, vcc, 0, v13, vcc
	v_pk_mov_b32 v[2:3], s[40:41], s[40:41] op_sel:[0,1]
	v_cmp_lt_i64_e32 vcc, s[28:29], v[2:3]
	v_add_f64 v[18:19], v[42:43], v[18:19]
	s_barrier
	s_cbranch_vccz .LBB144_9
.LBB144_3:                              ; =>This Inner Loop Header: Depth=1
	v_mov_b32_e32 v1, s29
	v_add_co_u32_e32 v2, vcc, s28, v6
	v_addc_co_u32_e32 v3, vcc, 0, v1, vcc
	v_cmp_le_i64_e32 vcc, s[40:41], v[2:3]
	s_or_b64 s[14:15], s[2:3], vcc
	s_and_saveexec_b64 s[16:17], s[14:15]
	s_xor_b64 s[14:15], exec, s[16:17]
	s_cbranch_execz .LBB144_5
; %bb.4:                                ;   in Loop: Header=BB144_3 Depth=1
	v_mov_b32_e32 v1, v0
	v_mov_b32_e32 v2, v0
	;; [unrolled: 1-line block ×3, first 2 shown]
	ds_write_b128 v30, v[0:3]
.LBB144_5:                              ;   in Loop: Header=BB144_3 Depth=1
	s_andn2_saveexec_b64 s[14:15], s[14:15]
	s_cbranch_execz .LBB144_7
; %bb.6:                                ;   in Loop: Header=BB144_3 Depth=1
	global_load_dwordx4 v[2:5], v[12:13], off
	s_waitcnt vmcnt(0)
	ds_write2_b64 v30, v[2:3], v[4:5] offset1:1
.LBB144_7:                              ;   in Loop: Header=BB144_3 Depth=1
	s_or_b64 exec, exec, s[14:15]
	v_mov_b32_e32 v1, s29
	v_add_co_u32_e32 v2, vcc, s28, v8
	v_addc_co_u32_e32 v3, vcc, 0, v1, vcc
	v_cmp_gt_i64_e32 vcc, s[40:41], v[2:3]
	v_pk_mov_b32 v[2:3], 0, 0
	s_and_b64 s[16:17], vcc, s[0:1]
	v_pk_mov_b32 v[4:5], v[2:3], v[2:3] op_sel:[0,1]
	s_and_saveexec_b64 s[14:15], s[16:17]
	s_cbranch_execz .LBB144_2
; %bb.8:                                ;   in Loop: Header=BB144_3 Depth=1
	global_load_dwordx4 v[2:5], v[10:11], off offset:-8
	s_waitcnt vmcnt(0)
	v_xor_b32_e32 v5, 0x80000000, v5
	s_branch .LBB144_2
.LBB144_9:
	s_load_dwordx2 s[0:1], s[4:5], 0x90
	s_load_dwordx4 s[12:15], s[4:5], 0x80
	v_mov_b32_e32 v1, s11
	v_add_co_u32_e32 v0, vcc, s10, v9
	s_waitcnt lgkmcnt(0)
	s_mul_i32 s1, s8, s1
	s_mul_hi_u32 s2, s8, s0
	s_mul_i32 s0, s8, s0
	s_add_i32 s1, s2, s1
	s_lshl_b64 s[0:1], s[0:1], 4
	s_add_u32 s9, s12, s0
	s_addc_u32 s16, s13, s1
	v_cmp_neq_f64_e64 s[0:1], s[18:19], 0
	v_cmp_neq_f64_e64 s[2:3], s[20:21], 0
	v_addc_co_u32_e32 v1, vcc, 0, v1, vcc
	s_or_b64 s[4:5], s[0:1], s[2:3]
	v_cmp_gt_i64_e64 s[0:1], s[38:39], v[0:1]
	s_mov_b64 s[2:3], -1
	s_and_b64 vcc, exec, s[4:5]
	s_cbranch_vccnz .LBB144_21
; %bb.10:
	s_and_saveexec_b64 s[10:11], s[0:1]
	s_cbranch_execz .LBB144_20
; %bb.11:
	v_mov_b32_e32 v2, s7
	v_add_co_u32_e32 v4, vcc, s6, v7
	v_addc_co_u32_e32 v5, vcc, 0, v2, vcc
	v_mul_lo_u32 v6, v1, s14
	v_mul_lo_u32 v8, v0, s15
	v_mad_u64_u32 v[2:3], s[2:3], v0, s14, 0
	v_add3_u32 v3, v3, v8, v6
	v_lshlrev_b64 v[2:3], 4, v[2:3]
	v_mov_b32_e32 v8, s16
	v_add_co_u32_e64 v6, s[2:3], s9, v2
	v_cmp_gt_i64_e32 vcc, s[36:37], v[4:5]
	v_addc_co_u32_e64 v8, s[2:3], v8, v3, s[2:3]
	v_lshlrev_b64 v[2:3], 4, v[4:5]
	s_and_saveexec_b64 s[4:5], vcc
	s_cbranch_execz .LBB144_13
; %bb.12:
	v_mul_f64 v[10:11], s[44:45], v[28:29]
	v_mul_f64 v[12:13], s[42:43], v[28:29]
	v_add_co_u32_e64 v30, s[2:3], v6, v2
	v_fma_f64 v[10:11], s[42:43], v[26:27], -v[10:11]
	v_fmac_f64_e32 v[12:13], s[44:45], v[26:27]
	v_addc_co_u32_e64 v31, s[2:3], v8, v3, s[2:3]
	global_store_dwordx4 v[30:31], v[10:13], off
.LBB144_13:
	s_or_b64 exec, exec, s[4:5]
	v_add_co_u32_e64 v4, s[2:3], 16, v4
	v_addc_co_u32_e64 v5, s[2:3], 0, v5, s[2:3]
	v_cmp_gt_i64_e64 s[2:3], s[36:37], v[4:5]
	s_and_saveexec_b64 s[12:13], s[2:3]
	s_cbranch_execz .LBB144_15
; %bb.14:
	v_mul_f64 v[4:5], s[44:45], v[24:25]
	v_fma_f64 v[10:11], s[42:43], v[22:23], -v[4:5]
	v_mul_f64 v[12:13], s[42:43], v[24:25]
	v_add_co_u32_e64 v4, s[4:5], v6, v2
	v_fmac_f64_e32 v[12:13], s[44:45], v[22:23]
	v_addc_co_u32_e64 v5, s[4:5], v8, v3, s[4:5]
	global_store_dwordx4 v[4:5], v[10:13], off offset:256
.LBB144_15:
	s_or_b64 exec, exec, s[12:13]
	v_add_co_u32_e64 v4, s[4:5], 16, v0
	v_addc_co_u32_e64 v5, s[4:5], 0, v1, s[4:5]
	v_cmp_gt_i64_e64 s[4:5], s[38:39], v[4:5]
	s_and_b64 exec, exec, s[4:5]
	s_cbranch_execz .LBB144_20
; %bb.16:
	s_lshl_b64 s[4:5], s[14:15], 8
	v_mov_b32_e32 v4, s5
	v_add_co_u32_e64 v5, s[4:5], s4, v6
	v_addc_co_u32_e64 v4, s[4:5], v8, v4, s[4:5]
	v_add_co_u32_e64 v2, s[4:5], v5, v2
	v_addc_co_u32_e64 v3, s[4:5], v4, v3, s[4:5]
	s_and_saveexec_b64 s[4:5], vcc
	s_cbranch_execz .LBB144_18
; %bb.17:
	v_mul_f64 v[4:5], s[44:45], v[20:21]
	v_mul_f64 v[10:11], s[42:43], v[20:21]
	v_fma_f64 v[8:9], s[42:43], v[18:19], -v[4:5]
	v_fmac_f64_e32 v[10:11], s[44:45], v[18:19]
	global_store_dwordx4 v[2:3], v[8:11], off
.LBB144_18:
	s_or_b64 exec, exec, s[4:5]
	s_and_b64 exec, exec, s[2:3]
	s_cbranch_execz .LBB144_20
; %bb.19:
	v_mul_f64 v[4:5], s[44:45], v[14:15]
	v_mul_f64 v[10:11], s[42:43], v[14:15]
	v_fma_f64 v[8:9], s[42:43], v[16:17], -v[4:5]
	v_fmac_f64_e32 v[10:11], s[44:45], v[16:17]
	global_store_dwordx4 v[2:3], v[8:11], off offset:256
.LBB144_20:
	s_or_b64 exec, exec, s[10:11]
	s_mov_b64 s[2:3], 0
.LBB144_21:
	s_andn2_b64 vcc, exec, s[2:3]
	s_cbranch_vccnz .LBB144_32
; %bb.22:
	s_and_saveexec_b64 s[2:3], s[0:1]
	s_cbranch_execz .LBB144_32
; %bb.23:
	s_mul_i32 s0, s8, s27
	s_mul_hi_u32 s1, s8, s26
	s_add_i32 s1, s1, s0
	s_mul_i32 s0, s8, s26
	s_lshl_b64 s[0:1], s[0:1], 4
	s_add_u32 s2, s22, s0
	v_mov_b32_e32 v2, s7
	v_add_co_u32_e32 v4, vcc, s6, v7
	s_addc_u32 s3, s23, s1
	v_addc_co_u32_e32 v5, vcc, 0, v2, vcc
	v_mul_lo_u32 v6, v1, s24
	v_mul_lo_u32 v7, v0, s25
	v_mad_u64_u32 v[2:3], s[0:1], v0, s24, 0
	v_add3_u32 v3, v3, v7, v6
	v_mul_lo_u32 v6, v1, s14
	v_mul_lo_u32 v7, v0, s15
	v_mad_u64_u32 v[8:9], s[0:1], v0, s14, 0
	v_lshlrev_b64 v[2:3], 4, v[2:3]
	v_add3_u32 v9, v9, v7, v6
	v_mov_b32_e32 v7, s3
	v_add_co_u32_e64 v6, s[0:1], s2, v2
	v_addc_co_u32_e64 v7, s[0:1], v7, v3, s[0:1]
	v_lshlrev_b64 v[2:3], 4, v[8:9]
	v_mov_b32_e32 v9, s16
	v_add_co_u32_e64 v8, s[0:1], s9, v2
	v_cmp_gt_i64_e32 vcc, s[36:37], v[4:5]
	v_addc_co_u32_e64 v9, s[0:1], v9, v3, s[0:1]
	v_lshlrev_b64 v[2:3], 4, v[4:5]
	s_and_saveexec_b64 s[2:3], vcc
	s_cbranch_execz .LBB144_25
; %bb.24:
	v_add_co_u32_e64 v10, s[0:1], v6, v2
	v_addc_co_u32_e64 v11, s[0:1], v7, v3, s[0:1]
	global_load_dwordx4 v[10:13], v[10:11], off
	v_mul_f64 v[30:31], s[44:45], v[28:29]
	v_mul_f64 v[28:29], s[42:43], v[28:29]
	v_fma_f64 v[30:31], s[42:43], v[26:27], -v[30:31]
	v_fmac_f64_e32 v[28:29], s[44:45], v[26:27]
	s_waitcnt vmcnt(0)
	v_mul_f64 v[26:27], s[20:21], v[12:13]
	v_mul_f64 v[12:13], s[18:19], v[12:13]
	v_fma_f64 v[26:27], s[18:19], v[10:11], -v[26:27]
	v_fmac_f64_e32 v[12:13], s[20:21], v[10:11]
	v_add_f64 v[10:11], v[30:31], v[26:27]
	v_add_co_u32_e64 v26, s[0:1], v8, v2
	v_add_f64 v[12:13], v[28:29], v[12:13]
	v_addc_co_u32_e64 v27, s[0:1], v9, v3, s[0:1]
	global_store_dwordx4 v[26:27], v[10:13], off
.LBB144_25:
	s_or_b64 exec, exec, s[2:3]
	v_add_co_u32_e64 v4, s[0:1], 16, v4
	v_addc_co_u32_e64 v5, s[0:1], 0, v5, s[0:1]
	v_cmp_gt_i64_e64 s[0:1], s[36:37], v[4:5]
	s_and_saveexec_b64 s[4:5], s[0:1]
	s_cbranch_execz .LBB144_27
; %bb.26:
	v_add_co_u32_e64 v4, s[2:3], v6, v2
	v_addc_co_u32_e64 v5, s[2:3], v7, v3, s[2:3]
	global_load_dwordx4 v[10:13], v[4:5], off offset:256
	v_mul_f64 v[4:5], s[44:45], v[24:25]
	v_mul_f64 v[24:25], s[42:43], v[24:25]
	v_fma_f64 v[4:5], s[42:43], v[22:23], -v[4:5]
	v_fmac_f64_e32 v[24:25], s[44:45], v[22:23]
	s_waitcnt vmcnt(0)
	v_mul_f64 v[22:23], s[20:21], v[12:13]
	v_mul_f64 v[12:13], s[18:19], v[12:13]
	v_fma_f64 v[22:23], s[18:19], v[10:11], -v[22:23]
	v_fmac_f64_e32 v[12:13], s[20:21], v[10:11]
	v_add_f64 v[10:11], v[4:5], v[22:23]
	v_add_co_u32_e64 v4, s[2:3], v8, v2
	v_add_f64 v[12:13], v[24:25], v[12:13]
	v_addc_co_u32_e64 v5, s[2:3], v9, v3, s[2:3]
	global_store_dwordx4 v[4:5], v[10:13], off offset:256
.LBB144_27:
	s_or_b64 exec, exec, s[4:5]
	v_add_co_u32_e64 v0, s[2:3], 16, v0
	v_addc_co_u32_e64 v1, s[2:3], 0, v1, s[2:3]
	v_cmp_gt_i64_e64 s[2:3], s[38:39], v[0:1]
	s_and_b64 exec, exec, s[2:3]
	s_cbranch_execz .LBB144_32
; %bb.28:
	s_lshl_b64 s[2:3], s[24:25], 8
	v_mov_b32_e32 v0, s3
	v_add_co_u32_e64 v1, s[2:3], s2, v6
	v_addc_co_u32_e64 v0, s[2:3], v7, v0, s[2:3]
	s_lshl_b64 s[2:3], s[14:15], 8
	v_mov_b32_e32 v4, s3
	v_add_co_u32_e64 v6, s[2:3], s2, v8
	v_addc_co_u32_e64 v7, s[2:3], v9, v4, s[2:3]
	v_add_co_u32_e64 v4, s[2:3], v1, v2
	v_addc_co_u32_e64 v5, s[2:3], v0, v3, s[2:3]
	;; [unrolled: 2-line block ×3, first 2 shown]
	s_and_saveexec_b64 s[2:3], vcc
	s_cbranch_execz .LBB144_30
; %bb.29:
	global_load_dwordx4 v[6:9], v[4:5], off
	v_mul_f64 v[2:3], s[44:45], v[20:21]
	v_mul_f64 v[10:11], s[42:43], v[20:21]
	v_fma_f64 v[2:3], s[42:43], v[18:19], -v[2:3]
	v_fmac_f64_e32 v[10:11], s[44:45], v[18:19]
	s_waitcnt vmcnt(0)
	v_mul_f64 v[12:13], s[20:21], v[8:9]
	v_mul_f64 v[8:9], s[18:19], v[8:9]
	v_fma_f64 v[12:13], s[18:19], v[6:7], -v[12:13]
	v_fmac_f64_e32 v[8:9], s[20:21], v[6:7]
	v_add_f64 v[6:7], v[2:3], v[12:13]
	v_add_f64 v[8:9], v[10:11], v[8:9]
	global_store_dwordx4 v[0:1], v[6:9], off
.LBB144_30:
	s_or_b64 exec, exec, s[2:3]
	s_and_b64 exec, exec, s[0:1]
	s_cbranch_execz .LBB144_32
; %bb.31:
	global_load_dwordx4 v[2:5], v[4:5], off offset:256
	v_mul_f64 v[6:7], s[44:45], v[14:15]
	v_mul_f64 v[8:9], s[42:43], v[14:15]
	v_fma_f64 v[6:7], s[42:43], v[16:17], -v[6:7]
	v_fmac_f64_e32 v[8:9], s[44:45], v[16:17]
	s_waitcnt vmcnt(0)
	v_mul_f64 v[10:11], s[20:21], v[4:5]
	v_mul_f64 v[4:5], s[18:19], v[4:5]
	v_fma_f64 v[10:11], s[18:19], v[2:3], -v[10:11]
	v_fmac_f64_e32 v[4:5], s[20:21], v[2:3]
	v_add_f64 v[2:3], v[6:7], v[10:11]
	v_add_f64 v[4:5], v[8:9], v[4:5]
	global_store_dwordx4 v[0:1], v[2:5], off offset:256
.LBB144_32:
	s_endpgm
	.section	.rodata,"a",@progbits
	.p2align	6, 0x0
	.amdhsa_kernel _ZN12_GLOBAL__N_135rocblas_gemm_batched_general_kernelI19rocblas_complex_numIdELi16ELi16ELi32ELi32ELi8ELi32ELi8ELi8ELi32ELc84ELc67EKS2_S3_S2_EEvlllT_PT11_llS6_llS4_PT12_llPT13_lli
		.amdhsa_group_segment_fixed_size 8192
		.amdhsa_private_segment_fixed_size 0
		.amdhsa_kernarg_size 156
		.amdhsa_user_sgpr_count 6
		.amdhsa_user_sgpr_private_segment_buffer 1
		.amdhsa_user_sgpr_dispatch_ptr 0
		.amdhsa_user_sgpr_queue_ptr 0
		.amdhsa_user_sgpr_kernarg_segment_ptr 1
		.amdhsa_user_sgpr_dispatch_id 0
		.amdhsa_user_sgpr_flat_scratch_init 0
		.amdhsa_user_sgpr_kernarg_preload_length 0
		.amdhsa_user_sgpr_kernarg_preload_offset 0
		.amdhsa_user_sgpr_private_segment_size 0
		.amdhsa_uses_dynamic_stack 0
		.amdhsa_system_sgpr_private_segment_wavefront_offset 0
		.amdhsa_system_sgpr_workgroup_id_x 1
		.amdhsa_system_sgpr_workgroup_id_y 1
		.amdhsa_system_sgpr_workgroup_id_z 1
		.amdhsa_system_sgpr_workgroup_info 0
		.amdhsa_system_vgpr_workitem_id 1
		.amdhsa_next_free_vgpr 60
		.amdhsa_next_free_sgpr 52
		.amdhsa_accum_offset 60
		.amdhsa_reserve_vcc 1
		.amdhsa_reserve_flat_scratch 0
		.amdhsa_float_round_mode_32 0
		.amdhsa_float_round_mode_16_64 0
		.amdhsa_float_denorm_mode_32 3
		.amdhsa_float_denorm_mode_16_64 3
		.amdhsa_dx10_clamp 1
		.amdhsa_ieee_mode 1
		.amdhsa_fp16_overflow 0
		.amdhsa_tg_split 0
		.amdhsa_exception_fp_ieee_invalid_op 0
		.amdhsa_exception_fp_denorm_src 0
		.amdhsa_exception_fp_ieee_div_zero 0
		.amdhsa_exception_fp_ieee_overflow 0
		.amdhsa_exception_fp_ieee_underflow 0
		.amdhsa_exception_fp_ieee_inexact 0
		.amdhsa_exception_int_div_zero 0
	.end_amdhsa_kernel
	.section	.text._ZN12_GLOBAL__N_135rocblas_gemm_batched_general_kernelI19rocblas_complex_numIdELi16ELi16ELi32ELi32ELi8ELi32ELi8ELi8ELi32ELc84ELc67EKS2_S3_S2_EEvlllT_PT11_llS6_llS4_PT12_llPT13_lli,"axG",@progbits,_ZN12_GLOBAL__N_135rocblas_gemm_batched_general_kernelI19rocblas_complex_numIdELi16ELi16ELi32ELi32ELi8ELi32ELi8ELi8ELi32ELc84ELc67EKS2_S3_S2_EEvlllT_PT11_llS6_llS4_PT12_llPT13_lli,comdat
.Lfunc_end144:
	.size	_ZN12_GLOBAL__N_135rocblas_gemm_batched_general_kernelI19rocblas_complex_numIdELi16ELi16ELi32ELi32ELi8ELi32ELi8ELi8ELi32ELc84ELc67EKS2_S3_S2_EEvlllT_PT11_llS6_llS4_PT12_llPT13_lli, .Lfunc_end144-_ZN12_GLOBAL__N_135rocblas_gemm_batched_general_kernelI19rocblas_complex_numIdELi16ELi16ELi32ELi32ELi8ELi32ELi8ELi8ELi32ELc84ELc67EKS2_S3_S2_EEvlllT_PT11_llS6_llS4_PT12_llPT13_lli
                                        ; -- End function
	.section	.AMDGPU.csdata,"",@progbits
; Kernel info:
; codeLenInByte = 3904
; NumSgprs: 56
; NumVgprs: 60
; NumAgprs: 0
; TotalNumVgprs: 60
; ScratchSize: 0
; MemoryBound: 1
; FloatMode: 240
; IeeeMode: 1
; LDSByteSize: 8192 bytes/workgroup (compile time only)
; SGPRBlocks: 6
; VGPRBlocks: 7
; NumSGPRsForWavesPerEU: 56
; NumVGPRsForWavesPerEU: 60
; AccumOffset: 60
; Occupancy: 8
; WaveLimiterHint : 0
; COMPUTE_PGM_RSRC2:SCRATCH_EN: 0
; COMPUTE_PGM_RSRC2:USER_SGPR: 6
; COMPUTE_PGM_RSRC2:TRAP_HANDLER: 0
; COMPUTE_PGM_RSRC2:TGID_X_EN: 1
; COMPUTE_PGM_RSRC2:TGID_Y_EN: 1
; COMPUTE_PGM_RSRC2:TGID_Z_EN: 1
; COMPUTE_PGM_RSRC2:TIDIG_COMP_CNT: 1
; COMPUTE_PGM_RSRC3_GFX90A:ACCUM_OFFSET: 14
; COMPUTE_PGM_RSRC3_GFX90A:TG_SPLIT: 0
	.section	.text._ZN12_GLOBAL__N_125rocblas_gemm_scale_kernelILi32ELi32EDF16_PKPDF16_EEviiT1_T2_llli,"axG",@progbits,_ZN12_GLOBAL__N_125rocblas_gemm_scale_kernelILi32ELi32EDF16_PKPDF16_EEviiT1_T2_llli,comdat
	.globl	_ZN12_GLOBAL__N_125rocblas_gemm_scale_kernelILi32ELi32EDF16_PKPDF16_EEviiT1_T2_llli ; -- Begin function _ZN12_GLOBAL__N_125rocblas_gemm_scale_kernelILi32ELi32EDF16_PKPDF16_EEviiT1_T2_llli
	.p2align	8
	.type	_ZN12_GLOBAL__N_125rocblas_gemm_scale_kernelILi32ELi32EDF16_PKPDF16_EEviiT1_T2_llli,@function
_ZN12_GLOBAL__N_125rocblas_gemm_scale_kernelILi32ELi32EDF16_PKPDF16_EEviiT1_T2_llli: ; @_ZN12_GLOBAL__N_125rocblas_gemm_scale_kernelILi32ELi32EDF16_PKPDF16_EEviiT1_T2_llli
; %bb.0:
	s_load_dwordx4 s[0:3], s[4:5], 0x0
	v_and_b32_e32 v1, 0x3ff, v0
	v_bfe_u32 v0, v0, 10, 10
	v_lshl_add_u32 v2, s6, 5, v1
	v_lshl_add_u32 v0, s7, 5, v0
	s_waitcnt lgkmcnt(0)
	v_cmp_gt_u32_e32 vcc, s0, v2
	v_cmp_gt_u32_e64 s[0:1], s1, v0
	s_and_b64 s[0:1], vcc, s[0:1]
	s_and_saveexec_b64 s[6:7], s[0:1]
	s_cbranch_execz .LBB145_4
; %bb.1:
	s_load_dwordx4 s[12:15], s[4:5], 0x10
	s_load_dwordx2 s[6:7], s[4:5], 0x20
	s_mov_b32 s9, 0
	s_lshl_b64 s[0:1], s[8:9], 3
	v_cmp_eq_f16_e64 s[4:5], s2, 0
	s_waitcnt lgkmcnt(0)
	s_add_u32 s0, s12, s0
	s_addc_u32 s1, s13, s1
	s_load_dwordx2 s[0:1], s[0:1], 0x0
	v_mad_u64_u32 v[4:5], s[8:9], v0, s6, 0
	v_mov_b32_e32 v8, v5
	s_lshl_b64 s[8:9], s[14:15], 1
	v_mad_u64_u32 v[0:1], s[6:7], v0, s7, v[8:9]
	s_waitcnt lgkmcnt(0)
	s_add_u32 s0, s0, s8
	v_mov_b32_e32 v5, v0
	v_mov_b32_e32 v3, 0
	;; [unrolled: 1-line block ×3, first 2 shown]
	s_addc_u32 s1, s1, s9
	s_and_b64 vcc, exec, s[4:5]
	v_lshlrev_b64 v[4:5], 1, v[4:5]
	v_lshlrev_b64 v[0:1], 1, v[2:3]
	s_cbranch_vccnz .LBB145_3
; %bb.2:
	v_mov_b32_e32 v2, s1
	v_add_co_u32_e32 v3, vcc, s0, v4
	v_addc_co_u32_e32 v6, vcc, v2, v5, vcc
	v_add_co_u32_e32 v2, vcc, v3, v0
	v_addc_co_u32_e32 v3, vcc, v6, v1, vcc
	global_load_ushort v2, v[2:3], off
	s_waitcnt vmcnt(0)
	v_mul_f16_e32 v6, s2, v2
.LBB145_3:
	v_mov_b32_e32 v2, s1
	v_add_co_u32_e32 v3, vcc, s0, v4
	v_addc_co_u32_e32 v2, vcc, v2, v5, vcc
	v_add_co_u32_e32 v0, vcc, v3, v0
	v_addc_co_u32_e32 v1, vcc, v2, v1, vcc
	global_store_short v[0:1], v6, off
.LBB145_4:
	s_endpgm
	.section	.rodata,"a",@progbits
	.p2align	6, 0x0
	.amdhsa_kernel _ZN12_GLOBAL__N_125rocblas_gemm_scale_kernelILi32ELi32EDF16_PKPDF16_EEviiT1_T2_llli
		.amdhsa_group_segment_fixed_size 0
		.amdhsa_private_segment_fixed_size 0
		.amdhsa_kernarg_size 52
		.amdhsa_user_sgpr_count 6
		.amdhsa_user_sgpr_private_segment_buffer 1
		.amdhsa_user_sgpr_dispatch_ptr 0
		.amdhsa_user_sgpr_queue_ptr 0
		.amdhsa_user_sgpr_kernarg_segment_ptr 1
		.amdhsa_user_sgpr_dispatch_id 0
		.amdhsa_user_sgpr_flat_scratch_init 0
		.amdhsa_user_sgpr_kernarg_preload_length 0
		.amdhsa_user_sgpr_kernarg_preload_offset 0
		.amdhsa_user_sgpr_private_segment_size 0
		.amdhsa_uses_dynamic_stack 0
		.amdhsa_system_sgpr_private_segment_wavefront_offset 0
		.amdhsa_system_sgpr_workgroup_id_x 1
		.amdhsa_system_sgpr_workgroup_id_y 1
		.amdhsa_system_sgpr_workgroup_id_z 1
		.amdhsa_system_sgpr_workgroup_info 0
		.amdhsa_system_vgpr_workitem_id 1
		.amdhsa_next_free_vgpr 10
		.amdhsa_next_free_sgpr 16
		.amdhsa_accum_offset 12
		.amdhsa_reserve_vcc 1
		.amdhsa_reserve_flat_scratch 0
		.amdhsa_float_round_mode_32 0
		.amdhsa_float_round_mode_16_64 0
		.amdhsa_float_denorm_mode_32 3
		.amdhsa_float_denorm_mode_16_64 3
		.amdhsa_dx10_clamp 1
		.amdhsa_ieee_mode 1
		.amdhsa_fp16_overflow 0
		.amdhsa_tg_split 0
		.amdhsa_exception_fp_ieee_invalid_op 0
		.amdhsa_exception_fp_denorm_src 0
		.amdhsa_exception_fp_ieee_div_zero 0
		.amdhsa_exception_fp_ieee_overflow 0
		.amdhsa_exception_fp_ieee_underflow 0
		.amdhsa_exception_fp_ieee_inexact 0
		.amdhsa_exception_int_div_zero 0
	.end_amdhsa_kernel
	.section	.text._ZN12_GLOBAL__N_125rocblas_gemm_scale_kernelILi32ELi32EDF16_PKPDF16_EEviiT1_T2_llli,"axG",@progbits,_ZN12_GLOBAL__N_125rocblas_gemm_scale_kernelILi32ELi32EDF16_PKPDF16_EEviiT1_T2_llli,comdat
.Lfunc_end145:
	.size	_ZN12_GLOBAL__N_125rocblas_gemm_scale_kernelILi32ELi32EDF16_PKPDF16_EEviiT1_T2_llli, .Lfunc_end145-_ZN12_GLOBAL__N_125rocblas_gemm_scale_kernelILi32ELi32EDF16_PKPDF16_EEviiT1_T2_llli
                                        ; -- End function
	.section	.AMDGPU.csdata,"",@progbits
; Kernel info:
; codeLenInByte = 260
; NumSgprs: 20
; NumVgprs: 10
; NumAgprs: 0
; TotalNumVgprs: 10
; ScratchSize: 0
; MemoryBound: 0
; FloatMode: 240
; IeeeMode: 1
; LDSByteSize: 0 bytes/workgroup (compile time only)
; SGPRBlocks: 2
; VGPRBlocks: 1
; NumSGPRsForWavesPerEU: 20
; NumVGPRsForWavesPerEU: 10
; AccumOffset: 12
; Occupancy: 8
; WaveLimiterHint : 1
; COMPUTE_PGM_RSRC2:SCRATCH_EN: 0
; COMPUTE_PGM_RSRC2:USER_SGPR: 6
; COMPUTE_PGM_RSRC2:TRAP_HANDLER: 0
; COMPUTE_PGM_RSRC2:TGID_X_EN: 1
; COMPUTE_PGM_RSRC2:TGID_Y_EN: 1
; COMPUTE_PGM_RSRC2:TGID_Z_EN: 1
; COMPUTE_PGM_RSRC2:TIDIG_COMP_CNT: 1
; COMPUTE_PGM_RSRC3_GFX90A:ACCUM_OFFSET: 2
; COMPUTE_PGM_RSRC3_GFX90A:TG_SPLIT: 0
	.section	.text._ZN12_GLOBAL__N_120gemm_ex_scale_kernelILi32ELi32EDF16_PKPKDF16_PKPDF16_EEviiT1_T2_lllT3_llli,"axG",@progbits,_ZN12_GLOBAL__N_120gemm_ex_scale_kernelILi32ELi32EDF16_PKPKDF16_PKPDF16_EEviiT1_T2_lllT3_llli,comdat
	.globl	_ZN12_GLOBAL__N_120gemm_ex_scale_kernelILi32ELi32EDF16_PKPKDF16_PKPDF16_EEviiT1_T2_lllT3_llli ; -- Begin function _ZN12_GLOBAL__N_120gemm_ex_scale_kernelILi32ELi32EDF16_PKPKDF16_PKPDF16_EEviiT1_T2_lllT3_llli
	.p2align	8
	.type	_ZN12_GLOBAL__N_120gemm_ex_scale_kernelILi32ELi32EDF16_PKPKDF16_PKPDF16_EEviiT1_T2_lllT3_llli,@function
_ZN12_GLOBAL__N_120gemm_ex_scale_kernelILi32ELi32EDF16_PKPKDF16_PKPDF16_EEviiT1_T2_lllT3_llli: ; @_ZN12_GLOBAL__N_120gemm_ex_scale_kernelILi32ELi32EDF16_PKPKDF16_PKPDF16_EEviiT1_T2_lllT3_llli
; %bb.0:
	s_load_dwordx8 s[12:19], s[4:5], 0x0
	s_load_dwordx2 s[10:11], s[4:5], 0x20
	s_mov_b32 s9, 0
	s_waitcnt lgkmcnt(0)
	v_cmp_eq_f16_e64 s[20:21], s14, 0
	s_and_b64 vcc, exec, s[20:21]
	s_cbranch_vccnz .LBB146_2
; %bb.1:
	s_lshl_b64 s[0:1], s[8:9], 3
	s_add_u32 s0, s16, s0
	s_addc_u32 s1, s17, s1
	s_load_dwordx2 s[0:1], s[0:1], 0x0
	s_lshl_b64 s[2:3], s[18:19], 1
	s_waitcnt lgkmcnt(0)
	s_add_u32 s16, s0, s2
	s_addc_u32 s17, s1, s3
	s_branch .LBB146_3
.LBB146_2:
	s_mov_b64 s[16:17], 0
.LBB146_3:
	v_and_b32_e32 v1, 0x3ff, v0
	v_bfe_u32 v0, v0, 10, 10
	v_lshl_add_u32 v2, s6, 5, v1
	v_lshl_add_u32 v0, s7, 5, v0
	v_cmp_gt_u32_e32 vcc, s12, v2
	v_cmp_gt_u32_e64 s[0:1], s13, v0
	s_and_b64 s[0:1], vcc, s[0:1]
	s_and_saveexec_b64 s[2:3], s[0:1]
	s_cbranch_execz .LBB146_9
; %bb.4:
	s_load_dwordx4 s[0:3], s[4:5], 0x30
	s_load_dwordx2 s[6:7], s[4:5], 0x40
	s_lshl_b64 s[4:5], s[8:9], 3
	v_mov_b32_e32 v3, 0
	s_waitcnt lgkmcnt(0)
	s_add_u32 s0, s0, s4
	s_addc_u32 s1, s1, s5
	s_load_dwordx2 s[0:1], s[0:1], 0x0
	s_andn2_b64 vcc, exec, s[20:21]
	s_cbranch_vccnz .LBB146_6
; %bb.5:
	s_mov_b32 s8, 0
	v_mov_b32_e32 v1, s8
	s_cbranch_execz .LBB146_7
	s_branch .LBB146_8
.LBB146_6:
                                        ; implicit-def: $sgpr8
	v_mov_b32_e32 v1, s8
.LBB146_7:
	v_mad_u64_u32 v[4:5], s[4:5], v0, s10, 0
	v_mov_b32_e32 v6, v5
	v_mad_u64_u32 v[6:7], s[4:5], v0, s11, v[6:7]
	v_mov_b32_e32 v5, v6
	v_lshlrev_b64 v[4:5], 1, v[4:5]
	v_mov_b32_e32 v3, 0
	v_mov_b32_e32 v1, s17
	v_add_co_u32_e32 v6, vcc, s16, v4
	v_addc_co_u32_e32 v1, vcc, v1, v5, vcc
	v_lshlrev_b64 v[4:5], 1, v[2:3]
	v_add_co_u32_e32 v4, vcc, v6, v4
	v_addc_co_u32_e32 v5, vcc, v1, v5, vcc
	flat_load_ushort v1, v[4:5]
	s_waitcnt vmcnt(0) lgkmcnt(0)
	v_mul_f16_e32 v1, s14, v1
.LBB146_8:
	s_lshl_b64 s[2:3], s[2:3], 1
	s_waitcnt lgkmcnt(0)
	s_add_u32 s2, s0, s2
	s_addc_u32 s3, s1, s3
	v_mad_u64_u32 v[4:5], s[0:1], v0, s6, 0
	v_mov_b32_e32 v6, v5
	v_mad_u64_u32 v[6:7], s[0:1], v0, s7, v[6:7]
	v_mov_b32_e32 v5, v6
	v_lshlrev_b64 v[4:5], 1, v[4:5]
	v_mov_b32_e32 v0, s3
	v_add_co_u32_e32 v4, vcc, s2, v4
	v_addc_co_u32_e32 v0, vcc, v0, v5, vcc
	v_lshlrev_b64 v[2:3], 1, v[2:3]
	v_add_co_u32_e32 v2, vcc, v4, v2
	v_addc_co_u32_e32 v3, vcc, v0, v3, vcc
	global_store_short v[2:3], v1, off
.LBB146_9:
	s_endpgm
	.section	.rodata,"a",@progbits
	.p2align	6, 0x0
	.amdhsa_kernel _ZN12_GLOBAL__N_120gemm_ex_scale_kernelILi32ELi32EDF16_PKPKDF16_PKPDF16_EEviiT1_T2_lllT3_llli
		.amdhsa_group_segment_fixed_size 0
		.amdhsa_private_segment_fixed_size 0
		.amdhsa_kernarg_size 84
		.amdhsa_user_sgpr_count 6
		.amdhsa_user_sgpr_private_segment_buffer 1
		.amdhsa_user_sgpr_dispatch_ptr 0
		.amdhsa_user_sgpr_queue_ptr 0
		.amdhsa_user_sgpr_kernarg_segment_ptr 1
		.amdhsa_user_sgpr_dispatch_id 0
		.amdhsa_user_sgpr_flat_scratch_init 0
		.amdhsa_user_sgpr_kernarg_preload_length 0
		.amdhsa_user_sgpr_kernarg_preload_offset 0
		.amdhsa_user_sgpr_private_segment_size 0
		.amdhsa_uses_dynamic_stack 0
		.amdhsa_system_sgpr_private_segment_wavefront_offset 0
		.amdhsa_system_sgpr_workgroup_id_x 1
		.amdhsa_system_sgpr_workgroup_id_y 1
		.amdhsa_system_sgpr_workgroup_id_z 1
		.amdhsa_system_sgpr_workgroup_info 0
		.amdhsa_system_vgpr_workitem_id 1
		.amdhsa_next_free_vgpr 8
		.amdhsa_next_free_sgpr 22
		.amdhsa_accum_offset 8
		.amdhsa_reserve_vcc 1
		.amdhsa_reserve_flat_scratch 0
		.amdhsa_float_round_mode_32 0
		.amdhsa_float_round_mode_16_64 0
		.amdhsa_float_denorm_mode_32 3
		.amdhsa_float_denorm_mode_16_64 3
		.amdhsa_dx10_clamp 1
		.amdhsa_ieee_mode 1
		.amdhsa_fp16_overflow 0
		.amdhsa_tg_split 0
		.amdhsa_exception_fp_ieee_invalid_op 0
		.amdhsa_exception_fp_denorm_src 0
		.amdhsa_exception_fp_ieee_div_zero 0
		.amdhsa_exception_fp_ieee_overflow 0
		.amdhsa_exception_fp_ieee_underflow 0
		.amdhsa_exception_fp_ieee_inexact 0
		.amdhsa_exception_int_div_zero 0
	.end_amdhsa_kernel
	.section	.text._ZN12_GLOBAL__N_120gemm_ex_scale_kernelILi32ELi32EDF16_PKPKDF16_PKPDF16_EEviiT1_T2_lllT3_llli,"axG",@progbits,_ZN12_GLOBAL__N_120gemm_ex_scale_kernelILi32ELi32EDF16_PKPKDF16_PKPDF16_EEviiT1_T2_lllT3_llli,comdat
.Lfunc_end146:
	.size	_ZN12_GLOBAL__N_120gemm_ex_scale_kernelILi32ELi32EDF16_PKPKDF16_PKPDF16_EEviiT1_T2_lllT3_llli, .Lfunc_end146-_ZN12_GLOBAL__N_120gemm_ex_scale_kernelILi32ELi32EDF16_PKPKDF16_PKPDF16_EEviiT1_T2_lllT3_llli
                                        ; -- End function
	.section	.AMDGPU.csdata,"",@progbits
; Kernel info:
; codeLenInByte = 380
; NumSgprs: 26
; NumVgprs: 8
; NumAgprs: 0
; TotalNumVgprs: 8
; ScratchSize: 0
; MemoryBound: 0
; FloatMode: 240
; IeeeMode: 1
; LDSByteSize: 0 bytes/workgroup (compile time only)
; SGPRBlocks: 3
; VGPRBlocks: 0
; NumSGPRsForWavesPerEU: 26
; NumVGPRsForWavesPerEU: 8
; AccumOffset: 8
; Occupancy: 8
; WaveLimiterHint : 1
; COMPUTE_PGM_RSRC2:SCRATCH_EN: 0
; COMPUTE_PGM_RSRC2:USER_SGPR: 6
; COMPUTE_PGM_RSRC2:TRAP_HANDLER: 0
; COMPUTE_PGM_RSRC2:TGID_X_EN: 1
; COMPUTE_PGM_RSRC2:TGID_Y_EN: 1
; COMPUTE_PGM_RSRC2:TGID_Z_EN: 1
; COMPUTE_PGM_RSRC2:TIDIG_COMP_CNT: 1
; COMPUTE_PGM_RSRC3_GFX90A:ACCUM_OFFSET: 1
; COMPUTE_PGM_RSRC3_GFX90A:TG_SPLIT: 0
	.section	.text._ZN12_GLOBAL__N_127rocblas_gemm_batched_kernelIDF16_Li16ELi16ELi64ELi64ELi4ELi64ELi4ELi4ELi64ELc78ELc78EKPKDF16_S3_KPDF16_EEvlllT_PT11_llS8_llS6_PT12_llPT13_lli,"axG",@progbits,_ZN12_GLOBAL__N_127rocblas_gemm_batched_kernelIDF16_Li16ELi16ELi64ELi64ELi4ELi64ELi4ELi4ELi64ELc78ELc78EKPKDF16_S3_KPDF16_EEvlllT_PT11_llS8_llS6_PT12_llPT13_lli,comdat
	.globl	_ZN12_GLOBAL__N_127rocblas_gemm_batched_kernelIDF16_Li16ELi16ELi64ELi64ELi4ELi64ELi4ELi4ELi64ELc78ELc78EKPKDF16_S3_KPDF16_EEvlllT_PT11_llS8_llS6_PT12_llPT13_lli ; -- Begin function _ZN12_GLOBAL__N_127rocblas_gemm_batched_kernelIDF16_Li16ELi16ELi64ELi64ELi4ELi64ELi4ELi4ELi64ELc78ELc78EKPKDF16_S3_KPDF16_EEvlllT_PT11_llS8_llS6_PT12_llPT13_lli
	.p2align	8
	.type	_ZN12_GLOBAL__N_127rocblas_gemm_batched_kernelIDF16_Li16ELi16ELi64ELi64ELi4ELi64ELi4ELi4ELi64ELc78ELc78EKPKDF16_S3_KPDF16_EEvlllT_PT11_llS8_llS6_PT12_llPT13_lli,@function
_ZN12_GLOBAL__N_127rocblas_gemm_batched_kernelIDF16_Li16ELi16ELi64ELi64ELi4ELi64ELi4ELi4ELi64ELc78ELc78EKPKDF16_S3_KPDF16_EEvlllT_PT11_llS8_llS6_PT12_llPT13_lli: ; @_ZN12_GLOBAL__N_127rocblas_gemm_batched_kernelIDF16_Li16ELi16ELi64ELi64ELi4ELi64ELi4ELi4ELi64ELc78ELc78EKPKDF16_S3_KPDF16_EEvlllT_PT11_llS8_llS6_PT12_llPT13_lli
; %bb.0:
	s_load_dwordx2 s[30:31], s[4:5], 0x10
	s_load_dwordx4 s[0:3], s[4:5], 0x78
	s_load_dwordx8 s[12:19], s[4:5], 0x58
	s_mov_b32 s9, 0
	s_lshl_b64 s[34:35], s[8:9], 3
	s_mov_b32 s10, s7
	v_bfe_u32 v16, v0, 10, 10
	s_waitcnt lgkmcnt(0)
	s_add_u32 s8, s12, s34
	s_addc_u32 s9, s13, s35
	s_load_dwordx2 s[12:13], s[8:9], 0x0
	s_add_u32 s8, s18, s34
	s_addc_u32 s9, s19, s35
	s_load_dwordx2 s[18:19], s[8:9], 0x0
	s_ashr_i32 s7, s6, 31
	s_ashr_i32 s11, s10, 31
	v_cmp_lt_i64_e64 s[8:9], s[30:31], 1
	v_and_b32_e32 v14, 0x3ff, v0
	s_lshl_b64 s[6:7], s[6:7], 6
	s_lshl_b64 s[28:29], s[10:11], 6
	s_and_b64 vcc, exec, s[8:9]
	s_cbranch_vccnz .LBB147_3
; %bb.1:
	s_load_dwordx8 s[20:27], s[4:5], 0x20
	s_load_dwordx4 s[8:11], s[4:5], 0x40
	v_lshl_add_u32 v0, v16, 4, v14
	v_and_b32_e32 v4, 3, v14
	v_and_b32_e32 v6, 63, v0
	v_lshrrev_b32_e32 v1, 2, v0
	v_lshrrev_b32_e32 v5, 6, v0
	v_lshlrev_b32_e32 v0, 1, v6
	v_lshlrev_b32_e32 v4, 1, v4
	s_waitcnt lgkmcnt(0)
	s_add_u32 s20, s20, s34
	v_mov_b32_e32 v2, s29
	v_add_co_u32_e32 v3, vcc, s28, v1
	v_lshl_or_b32 v24, v5, 7, v0
	v_lshl_or_b32 v0, v1, 3, v4
	s_addc_u32 s21, s21, s35
	v_addc_co_u32_e32 v2, vcc, 0, v2, vcc
	v_add_u32_e32 v25, 0x200, v0
	v_mov_b32_e32 v0, 0x200
	s_add_u32 s26, s26, s34
	v_lshl_add_u32 v27, v16, 3, v0
	v_mul_lo_u32 v7, s9, v3
	v_mul_lo_u32 v2, s8, v2
	v_mad_u64_u32 v[0:1], s[8:9], s8, v3, 0
	s_addc_u32 s27, s27, s35
	v_add3_u32 v1, v1, v2, v7
	s_load_dwordx2 s[26:27], s[26:27], 0x0
	v_lshlrev_b64 v[0:1], 1, v[0:1]
	s_lshl_b64 s[8:9], s[10:11], 1
	v_mov_b32_e32 v2, s9
	v_add_co_u32_e32 v0, vcc, s8, v0
	v_addc_co_u32_e32 v1, vcc, v1, v2, vcc
	v_add_co_u32_e32 v0, vcc, v0, v4
	v_addc_co_u32_e32 v1, vcc, 0, v1, vcc
	s_waitcnt lgkmcnt(0)
	v_mov_b32_e32 v2, s27
	v_add_co_u32_e32 v0, vcc, s26, v0
	s_load_dwordx2 s[20:21], s[20:21], 0x0
	v_addc_co_u32_e32 v1, vcc, v2, v1, vcc
	v_pk_mov_b32 v[2:3], s[6:7], s[6:7] op_sel:[0,1]
	v_mad_u64_u32 v[2:3], s[10:11], v5, s22, v[2:3]
	v_mov_b32_e32 v4, v3
	v_mad_u64_u32 v[4:5], s[10:11], v5, s23, v[4:5]
	s_lshl_b64 s[8:9], s[24:25], 1
	v_mov_b32_e32 v3, v4
	v_add_co_u32_e32 v2, vcc, v2, v6
	v_addc_co_u32_e32 v3, vcc, 0, v3, vcc
	s_waitcnt lgkmcnt(0)
	s_add_u32 s8, s20, s8
	v_lshlrev_b64 v[2:3], 1, v[2:3]
	s_addc_u32 s9, s21, s9
	v_mov_b32_e32 v4, s9
	v_add_co_u32_e32 v2, vcc, s8, v2
	s_lshl_b64 s[8:9], s[22:23], 3
	v_lshlrev_b32_e32 v26, 1, v14
	v_addc_co_u32_e32 v3, vcc, v4, v3, vcc
	s_mov_b64 s[10:11], 0
	v_mov_b32_e32 v6, 0
	v_mov_b32_e32 v28, s9
	v_pk_mov_b32 v[4:5], s[30:31], s[30:31] op_sel:[0,1]
	v_mov_b32_e32 v7, 0
	v_mov_b32_e32 v8, 0
	;; [unrolled: 1-line block ×15, first 2 shown]
.LBB147_2:                              ; =>This Inner Loop Header: Depth=1
	global_load_ushort v29, v[2:3], off
	global_load_ushort v30, v[0:1], off
	v_add_co_u32_e32 v0, vcc, 8, v0
	v_addc_co_u32_e32 v1, vcc, 0, v1, vcc
	s_add_u32 s10, s10, 4
	v_add_co_u32_e32 v2, vcc, s8, v2
	v_addc_co_u32_e32 v3, vcc, v3, v28, vcc
	s_addc_u32 s11, s11, 0
	v_cmp_lt_i64_e32 vcc, s[10:11], v[4:5]
	s_and_b64 vcc, exec, vcc
	s_waitcnt vmcnt(1)
	ds_write_b16 v24, v29
	s_waitcnt vmcnt(0)
	ds_write_b16 v25, v30
	s_waitcnt lgkmcnt(0)
	s_barrier
	ds_read2_b64 v[30:33], v27 offset1:16
	ds_read2_b64 v[34:37], v27 offset0:32 offset1:48
	ds_read_u16 v29, v26
	ds_read_u16 v38, v26 offset:32
	ds_read_u16 v39, v26 offset:64
	;; [unrolled: 1-line block ×15, first 2 shown]
	s_waitcnt lgkmcnt(14)
	v_lshrrev_b32_e32 v53, 16, v30
	v_fma_f16 v23, v29, v30, v23
	v_fma_f16 v22, v38, v30, v22
	s_waitcnt lgkmcnt(13)
	v_fma_f16 v21, v39, v30, v21
	s_waitcnt lgkmcnt(12)
	v_fma_f16 v20, v40, v30, v20
	v_lshrrev_b32_e32 v30, 16, v32
	v_fma_f16 v19, v29, v32, v19
	v_fma_f16 v18, v38, v32, v18
	v_fma_f16 v17, v39, v32, v17
	v_fma_f16 v15, v40, v32, v15
	v_lshrrev_b32_e32 v32, 16, v34
	v_fma_f16 v13, v29, v34, v13
	v_fma_f16 v12, v38, v34, v12
	v_fma_f16 v11, v39, v34, v11
	;; [unrolled: 5-line block ×3, first 2 shown]
	v_fma_f16 v6, v40, v36, v6
	s_waitcnt lgkmcnt(11)
	v_fma_f16 v23, v41, v53, v23
	s_waitcnt lgkmcnt(10)
	;; [unrolled: 2-line block ×4, first 2 shown]
	v_fma_f16 v20, v44, v53, v20
	v_fma_f16 v19, v41, v30, v19
	;; [unrolled: 1-line block ×13, first 2 shown]
	v_lshrrev_b32_e32 v54, 16, v31
	v_lshrrev_b32_e32 v55, 16, v33
	;; [unrolled: 1-line block ×4, first 2 shown]
	s_waitcnt lgkmcnt(7)
	v_fma_f16 v23, v45, v31, v23
	s_waitcnt lgkmcnt(6)
	v_fma_f16 v22, v46, v31, v22
	;; [unrolled: 2-line block ×4, first 2 shown]
	v_fma_f16 v19, v45, v33, v19
	v_fma_f16 v18, v46, v33, v18
	;; [unrolled: 1-line block ×12, first 2 shown]
	s_waitcnt lgkmcnt(3)
	v_fma_f16 v23, v49, v54, v23
	s_waitcnt lgkmcnt(2)
	v_fma_f16 v22, v50, v54, v22
	;; [unrolled: 2-line block ×4, first 2 shown]
	v_fma_f16 v19, v49, v55, v19
	v_fma_f16 v18, v50, v55, v18
	;; [unrolled: 1-line block ×12, first 2 shown]
	s_barrier
	s_cbranch_vccnz .LBB147_2
	s_branch .LBB147_4
.LBB147_3:
	v_mov_b32_e32 v23, 0
	v_mov_b32_e32 v22, 0
	;; [unrolled: 1-line block ×16, first 2 shown]
.LBB147_4:
	s_load_dword s8, s[4:5], 0x18
	s_load_dword s9, s[4:5], 0x50
	v_mov_b32_e32 v0, s29
	v_add_co_u32_e32 v2, vcc, s28, v16
	s_lshl_b64 s[2:3], s[2:3], 1
	v_addc_co_u32_e32 v5, vcc, 0, v0, vcc
	s_waitcnt lgkmcnt(0)
	s_add_u32 s4, s18, s2
	v_mov_b32_e32 v1, s7
	v_add_co_u32_e32 v0, vcc, s6, v14
	s_addc_u32 s5, s19, s3
	v_cmp_neq_f16_e64 s[2:3], s9, 0
	v_addc_co_u32_e32 v1, vcc, 0, v1, vcc
	s_and_b64 vcc, exec, s[2:3]
	v_mul_lo_u32 v3, v5, s0
	v_mul_lo_u32 v4, v2, s1
	v_lshlrev_b64 v[0:1], 1, v[0:1]
	s_cbranch_vccnz .LBB147_8
; %bb.5:
	v_mad_u64_u32 v[24:25], s[2:3], v2, s0, 0
	v_add3_u32 v25, v25, v4, v3
	v_lshlrev_b64 v[24:25], 1, v[24:25]
	v_mov_b32_e32 v14, s5
	v_add_co_u32_e32 v16, vcc, s4, v24
	v_addc_co_u32_e32 v14, vcc, v14, v25, vcc
	v_add_co_u32_e32 v24, vcc, v16, v0
	v_addc_co_u32_e32 v25, vcc, v14, v1, vcc
	v_mul_f16_e32 v14, s8, v22
	global_store_short v[24:25], v14, off offset:32
	v_mul_f16_e32 v14, s8, v21
	v_mul_f16_e32 v26, s8, v23
	global_store_short v[24:25], v14, off offset:64
	v_mul_f16_e32 v14, s8, v20
	s_lshl_b64 s[2:3], s[0:1], 5
	global_store_short v[24:25], v26, off
	global_store_short v[24:25], v14, off offset:96
	v_mov_b32_e32 v16, s3
	v_add_co_u32_e32 v24, vcc, s2, v24
	v_mul_f16_e32 v14, s8, v19
	v_addc_co_u32_e32 v25, vcc, v25, v16, vcc
	global_store_short v[24:25], v14, off
	v_mul_f16_e32 v14, s8, v18
	global_store_short v[24:25], v14, off offset:32
	v_mul_f16_e32 v14, s8, v17
	global_store_short v[24:25], v14, off offset:64
	v_mul_f16_e32 v14, s8, v15
	global_store_short v[24:25], v14, off offset:96
	v_add_co_u32_e32 v24, vcc, s2, v24
	v_mul_f16_e32 v14, s8, v13
	v_addc_co_u32_e32 v25, vcc, v25, v16, vcc
	global_store_short v[24:25], v14, off
	v_mul_f16_e32 v14, s8, v12
	global_store_short v[24:25], v14, off offset:32
	v_mul_f16_e32 v14, s8, v11
	global_store_short v[24:25], v14, off offset:64
	v_mul_f16_e32 v14, s8, v10
	global_store_short v[24:25], v14, off offset:96
	;; [unrolled: 10-line block ×3, first 2 shown]
	s_cbranch_execnz .LBB147_7
.LBB147_6:
	s_lshl_b64 s[2:3], s[16:17], 1
	s_add_u32 s6, s12, s2
	s_addc_u32 s7, s13, s3
	v_mul_lo_u32 v5, v5, s14
	v_mul_lo_u32 v14, v2, s15
	v_mad_u64_u32 v[24:25], s[2:3], v2, s14, 0
	v_add3_u32 v25, v25, v14, v5
	v_lshlrev_b64 v[24:25], 1, v[24:25]
	v_mov_b32_e32 v5, s7
	v_add_co_u32_e32 v14, vcc, s6, v24
	v_addc_co_u32_e32 v5, vcc, v5, v25, vcc
	v_add_co_u32_e32 v24, vcc, v14, v0
	v_addc_co_u32_e32 v25, vcc, v5, v1, vcc
	global_load_ushort v5, v[24:25], off
	v_mad_u64_u32 v[26:27], s[2:3], v2, s0, 0
	v_add3_u32 v27, v27, v4, v3
	v_lshlrev_b64 v[2:3], 1, v[26:27]
	v_mov_b32_e32 v14, s5
	v_add_co_u32_e32 v2, vcc, s4, v2
	v_addc_co_u32_e32 v3, vcc, v14, v3, vcc
	v_add_co_u32_e32 v0, vcc, v2, v0
	v_addc_co_u32_e32 v1, vcc, v3, v1, vcc
	s_lshl_b64 s[2:3], s[14:15], 5
	s_lshl_b64 s[0:1], s[0:1], 5
	v_mov_b32_e32 v14, s1
	s_waitcnt vmcnt(0)
	v_mul_f16_e32 v2, s9, v5
	v_fma_f16 v2, v23, s8, v2
	global_store_short v[0:1], v2, off
	global_load_ushort v2, v[24:25], off offset:32
	v_mov_b32_e32 v5, s3
	s_waitcnt vmcnt(0)
	v_mul_f16_e32 v2, s9, v2
	v_fma_f16 v2, v22, s8, v2
	global_store_short v[0:1], v2, off offset:32
	global_load_ushort v2, v[24:25], off offset:64
	s_waitcnt vmcnt(0)
	v_mul_f16_e32 v2, s9, v2
	v_fma_f16 v2, v21, s8, v2
	global_store_short v[0:1], v2, off offset:64
	global_load_ushort v4, v[24:25], off offset:96
	v_add_co_u32_e32 v2, vcc, s2, v24
	v_addc_co_u32_e32 v3, vcc, v25, v5, vcc
	s_waitcnt vmcnt(0)
	v_mul_f16_e32 v4, s9, v4
	v_fma_f16 v4, v20, s8, v4
	global_store_short v[0:1], v4, off offset:96
	global_load_ushort v4, v[2:3], off
	v_add_co_u32_e32 v0, vcc, s0, v0
	v_addc_co_u32_e32 v1, vcc, v1, v14, vcc
	s_waitcnt vmcnt(0)
	v_mul_f16_e32 v4, s9, v4
	v_fma_f16 v4, v19, s8, v4
	global_store_short v[0:1], v4, off
	global_load_ushort v4, v[2:3], off offset:32
	s_waitcnt vmcnt(0)
	v_mul_f16_e32 v4, s9, v4
	v_fma_f16 v4, v18, s8, v4
	global_store_short v[0:1], v4, off offset:32
	global_load_ushort v4, v[2:3], off offset:64
	s_waitcnt vmcnt(0)
	v_mul_f16_e32 v4, s9, v4
	v_fma_f16 v4, v17, s8, v4
	global_store_short v[0:1], v4, off offset:64
	global_load_ushort v4, v[2:3], off offset:96
	v_add_co_u32_e32 v2, vcc, s2, v2
	v_addc_co_u32_e32 v3, vcc, v3, v5, vcc
	s_waitcnt vmcnt(0)
	v_mul_f16_e32 v4, s9, v4
	v_fma_f16 v4, v15, s8, v4
	global_store_short v[0:1], v4, off offset:96
	global_load_ushort v4, v[2:3], off
	v_add_co_u32_e32 v0, vcc, s0, v0
	v_addc_co_u32_e32 v1, vcc, v1, v14, vcc
	s_waitcnt vmcnt(0)
	v_mul_f16_e32 v4, s9, v4
	v_fma_f16 v4, v13, s8, v4
	global_store_short v[0:1], v4, off
	global_load_ushort v4, v[2:3], off offset:32
	;; [unrolled: 24-line block ×3, first 2 shown]
	s_waitcnt vmcnt(0)
	v_mul_f16_e32 v4, s9, v4
	v_fma_f16 v4, v8, s8, v4
	global_store_short v[0:1], v4, off offset:32
	global_load_ushort v4, v[2:3], off offset:64
	s_waitcnt vmcnt(0)
	v_mul_f16_e32 v4, s9, v4
	v_fma_f16 v4, v7, s8, v4
	global_store_short v[0:1], v4, off offset:64
	global_load_ushort v2, v[2:3], off offset:96
	s_waitcnt vmcnt(0)
	v_mul_f16_e32 v2, s9, v2
	v_fma_f16 v2, v6, s8, v2
	global_store_short v[0:1], v2, off offset:96
.LBB147_7:
	s_endpgm
.LBB147_8:
	s_branch .LBB147_6
	.section	.rodata,"a",@progbits
	.p2align	6, 0x0
	.amdhsa_kernel _ZN12_GLOBAL__N_127rocblas_gemm_batched_kernelIDF16_Li16ELi16ELi64ELi64ELi4ELi64ELi4ELi4ELi64ELc78ELc78EKPKDF16_S3_KPDF16_EEvlllT_PT11_llS8_llS6_PT12_llPT13_lli
		.amdhsa_group_segment_fixed_size 1024
		.amdhsa_private_segment_fixed_size 0
		.amdhsa_kernarg_size 140
		.amdhsa_user_sgpr_count 6
		.amdhsa_user_sgpr_private_segment_buffer 1
		.amdhsa_user_sgpr_dispatch_ptr 0
		.amdhsa_user_sgpr_queue_ptr 0
		.amdhsa_user_sgpr_kernarg_segment_ptr 1
		.amdhsa_user_sgpr_dispatch_id 0
		.amdhsa_user_sgpr_flat_scratch_init 0
		.amdhsa_user_sgpr_kernarg_preload_length 0
		.amdhsa_user_sgpr_kernarg_preload_offset 0
		.amdhsa_user_sgpr_private_segment_size 0
		.amdhsa_uses_dynamic_stack 0
		.amdhsa_system_sgpr_private_segment_wavefront_offset 0
		.amdhsa_system_sgpr_workgroup_id_x 1
		.amdhsa_system_sgpr_workgroup_id_y 1
		.amdhsa_system_sgpr_workgroup_id_z 1
		.amdhsa_system_sgpr_workgroup_info 0
		.amdhsa_system_vgpr_workitem_id 1
		.amdhsa_next_free_vgpr 58
		.amdhsa_next_free_sgpr 36
		.amdhsa_accum_offset 60
		.amdhsa_reserve_vcc 1
		.amdhsa_reserve_flat_scratch 0
		.amdhsa_float_round_mode_32 0
		.amdhsa_float_round_mode_16_64 0
		.amdhsa_float_denorm_mode_32 3
		.amdhsa_float_denorm_mode_16_64 3
		.amdhsa_dx10_clamp 1
		.amdhsa_ieee_mode 1
		.amdhsa_fp16_overflow 0
		.amdhsa_tg_split 0
		.amdhsa_exception_fp_ieee_invalid_op 0
		.amdhsa_exception_fp_denorm_src 0
		.amdhsa_exception_fp_ieee_div_zero 0
		.amdhsa_exception_fp_ieee_overflow 0
		.amdhsa_exception_fp_ieee_underflow 0
		.amdhsa_exception_fp_ieee_inexact 0
		.amdhsa_exception_int_div_zero 0
	.end_amdhsa_kernel
	.section	.text._ZN12_GLOBAL__N_127rocblas_gemm_batched_kernelIDF16_Li16ELi16ELi64ELi64ELi4ELi64ELi4ELi4ELi64ELc78ELc78EKPKDF16_S3_KPDF16_EEvlllT_PT11_llS8_llS6_PT12_llPT13_lli,"axG",@progbits,_ZN12_GLOBAL__N_127rocblas_gemm_batched_kernelIDF16_Li16ELi16ELi64ELi64ELi4ELi64ELi4ELi4ELi64ELc78ELc78EKPKDF16_S3_KPDF16_EEvlllT_PT11_llS8_llS6_PT12_llPT13_lli,comdat
.Lfunc_end147:
	.size	_ZN12_GLOBAL__N_127rocblas_gemm_batched_kernelIDF16_Li16ELi16ELi64ELi64ELi4ELi64ELi4ELi4ELi64ELc78ELc78EKPKDF16_S3_KPDF16_EEvlllT_PT11_llS8_llS6_PT12_llPT13_lli, .Lfunc_end147-_ZN12_GLOBAL__N_127rocblas_gemm_batched_kernelIDF16_Li16ELi16ELi64ELi64ELi4ELi64ELi4ELi4ELi64ELc78ELc78EKPKDF16_S3_KPDF16_EEvlllT_PT11_llS8_llS6_PT12_llPT13_lli
                                        ; -- End function
	.section	.AMDGPU.csdata,"",@progbits
; Kernel info:
; codeLenInByte = 2472
; NumSgprs: 40
; NumVgprs: 58
; NumAgprs: 0
; TotalNumVgprs: 58
; ScratchSize: 0
; MemoryBound: 0
; FloatMode: 240
; IeeeMode: 1
; LDSByteSize: 1024 bytes/workgroup (compile time only)
; SGPRBlocks: 4
; VGPRBlocks: 7
; NumSGPRsForWavesPerEU: 40
; NumVGPRsForWavesPerEU: 58
; AccumOffset: 60
; Occupancy: 8
; WaveLimiterHint : 1
; COMPUTE_PGM_RSRC2:SCRATCH_EN: 0
; COMPUTE_PGM_RSRC2:USER_SGPR: 6
; COMPUTE_PGM_RSRC2:TRAP_HANDLER: 0
; COMPUTE_PGM_RSRC2:TGID_X_EN: 1
; COMPUTE_PGM_RSRC2:TGID_Y_EN: 1
; COMPUTE_PGM_RSRC2:TGID_Z_EN: 1
; COMPUTE_PGM_RSRC2:TIDIG_COMP_CNT: 1
; COMPUTE_PGM_RSRC3_GFX90A:ACCUM_OFFSET: 14
; COMPUTE_PGM_RSRC3_GFX90A:TG_SPLIT: 0
	.section	.text._ZN12_GLOBAL__N_127rocblas_gemm_batched_kernelIDF16_Li16ELi16ELi64ELi64ELi4ELi64ELi4ELi4ELi64ELc84ELc78EKPKDF16_S3_KPDF16_EEvlllT_PT11_llS8_llS6_PT12_llPT13_lli,"axG",@progbits,_ZN12_GLOBAL__N_127rocblas_gemm_batched_kernelIDF16_Li16ELi16ELi64ELi64ELi4ELi64ELi4ELi4ELi64ELc84ELc78EKPKDF16_S3_KPDF16_EEvlllT_PT11_llS8_llS6_PT12_llPT13_lli,comdat
	.globl	_ZN12_GLOBAL__N_127rocblas_gemm_batched_kernelIDF16_Li16ELi16ELi64ELi64ELi4ELi64ELi4ELi4ELi64ELc84ELc78EKPKDF16_S3_KPDF16_EEvlllT_PT11_llS8_llS6_PT12_llPT13_lli ; -- Begin function _ZN12_GLOBAL__N_127rocblas_gemm_batched_kernelIDF16_Li16ELi16ELi64ELi64ELi4ELi64ELi4ELi4ELi64ELc84ELc78EKPKDF16_S3_KPDF16_EEvlllT_PT11_llS8_llS6_PT12_llPT13_lli
	.p2align	8
	.type	_ZN12_GLOBAL__N_127rocblas_gemm_batched_kernelIDF16_Li16ELi16ELi64ELi64ELi4ELi64ELi4ELi4ELi64ELc84ELc78EKPKDF16_S3_KPDF16_EEvlllT_PT11_llS8_llS6_PT12_llPT13_lli,@function
_ZN12_GLOBAL__N_127rocblas_gemm_batched_kernelIDF16_Li16ELi16ELi64ELi64ELi4ELi64ELi4ELi4ELi64ELc84ELc78EKPKDF16_S3_KPDF16_EEvlllT_PT11_llS8_llS6_PT12_llPT13_lli: ; @_ZN12_GLOBAL__N_127rocblas_gemm_batched_kernelIDF16_Li16ELi16ELi64ELi64ELi4ELi64ELi4ELi4ELi64ELc84ELc78EKPKDF16_S3_KPDF16_EEvlllT_PT11_llS8_llS6_PT12_llPT13_lli
; %bb.0:
	s_load_dwordx2 s[30:31], s[4:5], 0x10
	s_load_dwordx4 s[0:3], s[4:5], 0x78
	s_load_dwordx8 s[12:19], s[4:5], 0x58
	s_mov_b32 s9, 0
	s_lshl_b64 s[34:35], s[8:9], 3
	s_mov_b32 s10, s7
	v_bfe_u32 v16, v0, 10, 10
	s_waitcnt lgkmcnt(0)
	s_add_u32 s8, s12, s34
	s_addc_u32 s9, s13, s35
	s_load_dwordx2 s[12:13], s[8:9], 0x0
	s_add_u32 s8, s18, s34
	s_addc_u32 s9, s19, s35
	s_load_dwordx2 s[18:19], s[8:9], 0x0
	s_ashr_i32 s7, s6, 31
	s_ashr_i32 s11, s10, 31
	v_cmp_lt_i64_e64 s[8:9], s[30:31], 1
	v_and_b32_e32 v14, 0x3ff, v0
	s_lshl_b64 s[6:7], s[6:7], 6
	s_lshl_b64 s[28:29], s[10:11], 6
	s_and_b64 vcc, exec, s[8:9]
	s_cbranch_vccnz .LBB148_3
; %bb.1:
	s_load_dwordx8 s[20:27], s[4:5], 0x20
	s_load_dwordx4 s[8:11], s[4:5], 0x40
	v_lshl_add_u32 v0, v16, 4, v14
	v_and_b32_e32 v4, 3, v14
	v_and_b32_e32 v5, 63, v0
	v_lshrrev_b32_e32 v1, 2, v0
	v_lshrrev_b32_e32 v6, 6, v0
	v_lshlrev_b32_e32 v0, 1, v5
	v_lshlrev_b32_e32 v4, 1, v4
	s_waitcnt lgkmcnt(0)
	s_add_u32 s20, s20, s34
	v_mov_b32_e32 v2, s29
	v_add_co_u32_e32 v3, vcc, s28, v1
	v_lshl_or_b32 v24, v6, 7, v0
	v_lshl_or_b32 v0, v1, 3, v4
	s_addc_u32 s21, s21, s35
	v_addc_co_u32_e32 v2, vcc, 0, v2, vcc
	v_add_u32_e32 v25, 0x200, v0
	v_mov_b32_e32 v0, 0x200
	s_add_u32 s26, s26, s34
	v_lshl_add_u32 v27, v16, 3, v0
	v_mul_lo_u32 v7, s9, v3
	v_mul_lo_u32 v2, s8, v2
	v_mad_u64_u32 v[0:1], s[8:9], s8, v3, 0
	s_addc_u32 s27, s27, s35
	v_add3_u32 v1, v1, v2, v7
	s_load_dwordx2 s[26:27], s[26:27], 0x0
	v_lshlrev_b64 v[0:1], 1, v[0:1]
	s_lshl_b64 s[8:9], s[10:11], 1
	v_mov_b32_e32 v2, s9
	v_add_co_u32_e32 v0, vcc, s8, v0
	v_addc_co_u32_e32 v1, vcc, v1, v2, vcc
	v_add_co_u32_e32 v0, vcc, v0, v4
	v_addc_co_u32_e32 v1, vcc, 0, v1, vcc
	s_waitcnt lgkmcnt(0)
	v_mov_b32_e32 v2, s27
	v_add_co_u32_e32 v0, vcc, s26, v0
	v_addc_co_u32_e32 v1, vcc, v2, v1, vcc
	v_mov_b32_e32 v2, s7
	v_add_co_u32_e32 v3, vcc, s6, v5
	v_addc_co_u32_e32 v2, vcc, 0, v2, vcc
	v_mul_lo_u32 v4, s23, v3
	v_mul_lo_u32 v5, s22, v2
	v_mad_u64_u32 v[2:3], s[8:9], s22, v3, 0
	v_add3_u32 v3, v3, v5, v4
	s_load_dwordx2 s[20:21], s[20:21], 0x0
	v_lshlrev_b64 v[2:3], 1, v[2:3]
	s_lshl_b64 s[8:9], s[24:25], 1
	v_mov_b32_e32 v4, s9
	v_add_co_u32_e32 v2, vcc, s8, v2
	v_addc_co_u32_e32 v3, vcc, v3, v4, vcc
	v_lshlrev_b32_e32 v4, 1, v6
	v_add_co_u32_e32 v2, vcc, v2, v4
	v_addc_co_u32_e32 v3, vcc, 0, v3, vcc
	s_waitcnt lgkmcnt(0)
	v_mov_b32_e32 v4, s21
	v_add_co_u32_e32 v2, vcc, s20, v2
	v_lshlrev_b32_e32 v26, 1, v14
	v_addc_co_u32_e32 v3, vcc, v4, v3, vcc
	s_mov_b64 s[8:9], 0
	v_mov_b32_e32 v6, 0
	v_pk_mov_b32 v[4:5], s[30:31], s[30:31] op_sel:[0,1]
	v_mov_b32_e32 v7, 0
	v_mov_b32_e32 v8, 0
	;; [unrolled: 1-line block ×15, first 2 shown]
.LBB148_2:                              ; =>This Inner Loop Header: Depth=1
	global_load_ushort v28, v[2:3], off
	global_load_ushort v29, v[0:1], off
	v_add_co_u32_e32 v0, vcc, 8, v0
	v_addc_co_u32_e32 v1, vcc, 0, v1, vcc
	s_add_u32 s8, s8, 4
	v_add_co_u32_e32 v2, vcc, 8, v2
	v_addc_co_u32_e32 v3, vcc, 0, v3, vcc
	s_addc_u32 s9, s9, 0
	v_cmp_lt_i64_e32 vcc, s[8:9], v[4:5]
	s_and_b64 vcc, exec, vcc
	s_waitcnt vmcnt(1)
	ds_write_b16 v24, v28
	s_waitcnt vmcnt(0)
	ds_write_b16 v25, v29
	s_waitcnt lgkmcnt(0)
	s_barrier
	ds_read2_b64 v[28:31], v27 offset1:16
	ds_read2_b64 v[32:35], v27 offset0:32 offset1:48
	ds_read_u16 v36, v26
	ds_read_u16 v37, v26 offset:32
	ds_read_u16 v38, v26 offset:64
	;; [unrolled: 1-line block ×15, first 2 shown]
	s_waitcnt lgkmcnt(14)
	v_lshrrev_b32_e32 v52, 16, v28
	v_fma_f16 v23, v36, v28, v23
	v_fma_f16 v22, v37, v28, v22
	s_waitcnt lgkmcnt(13)
	v_fma_f16 v21, v38, v28, v21
	s_waitcnt lgkmcnt(12)
	v_fma_f16 v20, v39, v28, v20
	v_lshrrev_b32_e32 v28, 16, v30
	v_fma_f16 v19, v36, v30, v19
	v_fma_f16 v18, v37, v30, v18
	v_fma_f16 v17, v38, v30, v17
	v_fma_f16 v15, v39, v30, v15
	v_lshrrev_b32_e32 v30, 16, v32
	v_fma_f16 v13, v36, v32, v13
	v_fma_f16 v12, v37, v32, v12
	v_fma_f16 v11, v38, v32, v11
	;; [unrolled: 5-line block ×3, first 2 shown]
	v_fma_f16 v6, v39, v34, v6
	s_waitcnt lgkmcnt(11)
	v_fma_f16 v23, v40, v52, v23
	s_waitcnt lgkmcnt(10)
	;; [unrolled: 2-line block ×4, first 2 shown]
	v_fma_f16 v20, v43, v52, v20
	v_fma_f16 v19, v40, v28, v19
	;; [unrolled: 1-line block ×13, first 2 shown]
	v_lshrrev_b32_e32 v53, 16, v29
	v_lshrrev_b32_e32 v54, 16, v31
	;; [unrolled: 1-line block ×4, first 2 shown]
	s_waitcnt lgkmcnt(7)
	v_fma_f16 v23, v44, v29, v23
	s_waitcnt lgkmcnt(6)
	v_fma_f16 v22, v45, v29, v22
	;; [unrolled: 2-line block ×4, first 2 shown]
	v_fma_f16 v19, v44, v31, v19
	v_fma_f16 v18, v45, v31, v18
	v_fma_f16 v17, v46, v31, v17
	v_fma_f16 v15, v47, v31, v15
	v_fma_f16 v13, v44, v33, v13
	v_fma_f16 v12, v45, v33, v12
	v_fma_f16 v11, v46, v33, v11
	v_fma_f16 v10, v47, v33, v10
	v_fma_f16 v9, v44, v35, v9
	v_fma_f16 v8, v45, v35, v8
	v_fma_f16 v7, v46, v35, v7
	v_fma_f16 v6, v47, v35, v6
	s_waitcnt lgkmcnt(3)
	v_fma_f16 v23, v48, v53, v23
	s_waitcnt lgkmcnt(2)
	v_fma_f16 v22, v49, v53, v22
	;; [unrolled: 2-line block ×4, first 2 shown]
	v_fma_f16 v19, v48, v54, v19
	v_fma_f16 v18, v49, v54, v18
	;; [unrolled: 1-line block ×12, first 2 shown]
	s_barrier
	s_cbranch_vccnz .LBB148_2
	s_branch .LBB148_4
.LBB148_3:
	v_mov_b32_e32 v23, 0
	v_mov_b32_e32 v22, 0
	;; [unrolled: 1-line block ×16, first 2 shown]
.LBB148_4:
	s_load_dword s8, s[4:5], 0x18
	s_load_dword s9, s[4:5], 0x50
	v_mov_b32_e32 v0, s29
	v_add_co_u32_e32 v2, vcc, s28, v16
	s_lshl_b64 s[2:3], s[2:3], 1
	v_addc_co_u32_e32 v5, vcc, 0, v0, vcc
	s_waitcnt lgkmcnt(0)
	s_add_u32 s4, s18, s2
	v_mov_b32_e32 v1, s7
	v_add_co_u32_e32 v0, vcc, s6, v14
	s_addc_u32 s5, s19, s3
	v_cmp_neq_f16_e64 s[2:3], s9, 0
	v_addc_co_u32_e32 v1, vcc, 0, v1, vcc
	s_and_b64 vcc, exec, s[2:3]
	v_mul_lo_u32 v3, v5, s0
	v_mul_lo_u32 v4, v2, s1
	v_lshlrev_b64 v[0:1], 1, v[0:1]
	s_cbranch_vccnz .LBB148_8
; %bb.5:
	v_mad_u64_u32 v[24:25], s[2:3], v2, s0, 0
	v_add3_u32 v25, v25, v4, v3
	v_lshlrev_b64 v[24:25], 1, v[24:25]
	v_mov_b32_e32 v14, s5
	v_add_co_u32_e32 v16, vcc, s4, v24
	v_addc_co_u32_e32 v14, vcc, v14, v25, vcc
	v_add_co_u32_e32 v24, vcc, v16, v0
	v_addc_co_u32_e32 v25, vcc, v14, v1, vcc
	v_mul_f16_e32 v14, s8, v22
	global_store_short v[24:25], v14, off offset:32
	v_mul_f16_e32 v14, s8, v21
	v_mul_f16_e32 v26, s8, v23
	global_store_short v[24:25], v14, off offset:64
	v_mul_f16_e32 v14, s8, v20
	s_lshl_b64 s[2:3], s[0:1], 5
	global_store_short v[24:25], v26, off
	global_store_short v[24:25], v14, off offset:96
	v_mov_b32_e32 v16, s3
	v_add_co_u32_e32 v24, vcc, s2, v24
	v_mul_f16_e32 v14, s8, v19
	v_addc_co_u32_e32 v25, vcc, v25, v16, vcc
	global_store_short v[24:25], v14, off
	v_mul_f16_e32 v14, s8, v18
	global_store_short v[24:25], v14, off offset:32
	v_mul_f16_e32 v14, s8, v17
	global_store_short v[24:25], v14, off offset:64
	v_mul_f16_e32 v14, s8, v15
	global_store_short v[24:25], v14, off offset:96
	v_add_co_u32_e32 v24, vcc, s2, v24
	v_mul_f16_e32 v14, s8, v13
	v_addc_co_u32_e32 v25, vcc, v25, v16, vcc
	global_store_short v[24:25], v14, off
	v_mul_f16_e32 v14, s8, v12
	global_store_short v[24:25], v14, off offset:32
	v_mul_f16_e32 v14, s8, v11
	global_store_short v[24:25], v14, off offset:64
	v_mul_f16_e32 v14, s8, v10
	global_store_short v[24:25], v14, off offset:96
	;; [unrolled: 10-line block ×3, first 2 shown]
	s_cbranch_execnz .LBB148_7
.LBB148_6:
	s_lshl_b64 s[2:3], s[16:17], 1
	s_add_u32 s6, s12, s2
	s_addc_u32 s7, s13, s3
	v_mul_lo_u32 v5, v5, s14
	v_mul_lo_u32 v14, v2, s15
	v_mad_u64_u32 v[24:25], s[2:3], v2, s14, 0
	v_add3_u32 v25, v25, v14, v5
	v_lshlrev_b64 v[24:25], 1, v[24:25]
	v_mov_b32_e32 v5, s7
	v_add_co_u32_e32 v14, vcc, s6, v24
	v_addc_co_u32_e32 v5, vcc, v5, v25, vcc
	v_add_co_u32_e32 v24, vcc, v14, v0
	v_addc_co_u32_e32 v25, vcc, v5, v1, vcc
	global_load_ushort v5, v[24:25], off
	v_mad_u64_u32 v[26:27], s[2:3], v2, s0, 0
	v_add3_u32 v27, v27, v4, v3
	v_lshlrev_b64 v[2:3], 1, v[26:27]
	v_mov_b32_e32 v14, s5
	v_add_co_u32_e32 v2, vcc, s4, v2
	v_addc_co_u32_e32 v3, vcc, v14, v3, vcc
	v_add_co_u32_e32 v0, vcc, v2, v0
	v_addc_co_u32_e32 v1, vcc, v3, v1, vcc
	s_lshl_b64 s[2:3], s[14:15], 5
	s_lshl_b64 s[0:1], s[0:1], 5
	v_mov_b32_e32 v14, s1
	s_waitcnt vmcnt(0)
	v_mul_f16_e32 v2, s9, v5
	v_fma_f16 v2, v23, s8, v2
	global_store_short v[0:1], v2, off
	global_load_ushort v2, v[24:25], off offset:32
	v_mov_b32_e32 v5, s3
	s_waitcnt vmcnt(0)
	v_mul_f16_e32 v2, s9, v2
	v_fma_f16 v2, v22, s8, v2
	global_store_short v[0:1], v2, off offset:32
	global_load_ushort v2, v[24:25], off offset:64
	s_waitcnt vmcnt(0)
	v_mul_f16_e32 v2, s9, v2
	v_fma_f16 v2, v21, s8, v2
	global_store_short v[0:1], v2, off offset:64
	global_load_ushort v4, v[24:25], off offset:96
	v_add_co_u32_e32 v2, vcc, s2, v24
	v_addc_co_u32_e32 v3, vcc, v25, v5, vcc
	s_waitcnt vmcnt(0)
	v_mul_f16_e32 v4, s9, v4
	v_fma_f16 v4, v20, s8, v4
	global_store_short v[0:1], v4, off offset:96
	global_load_ushort v4, v[2:3], off
	v_add_co_u32_e32 v0, vcc, s0, v0
	v_addc_co_u32_e32 v1, vcc, v1, v14, vcc
	s_waitcnt vmcnt(0)
	v_mul_f16_e32 v4, s9, v4
	v_fma_f16 v4, v19, s8, v4
	global_store_short v[0:1], v4, off
	global_load_ushort v4, v[2:3], off offset:32
	s_waitcnt vmcnt(0)
	v_mul_f16_e32 v4, s9, v4
	v_fma_f16 v4, v18, s8, v4
	global_store_short v[0:1], v4, off offset:32
	global_load_ushort v4, v[2:3], off offset:64
	s_waitcnt vmcnt(0)
	v_mul_f16_e32 v4, s9, v4
	v_fma_f16 v4, v17, s8, v4
	global_store_short v[0:1], v4, off offset:64
	global_load_ushort v4, v[2:3], off offset:96
	v_add_co_u32_e32 v2, vcc, s2, v2
	v_addc_co_u32_e32 v3, vcc, v3, v5, vcc
	s_waitcnt vmcnt(0)
	v_mul_f16_e32 v4, s9, v4
	v_fma_f16 v4, v15, s8, v4
	global_store_short v[0:1], v4, off offset:96
	global_load_ushort v4, v[2:3], off
	v_add_co_u32_e32 v0, vcc, s0, v0
	v_addc_co_u32_e32 v1, vcc, v1, v14, vcc
	s_waitcnt vmcnt(0)
	v_mul_f16_e32 v4, s9, v4
	v_fma_f16 v4, v13, s8, v4
	global_store_short v[0:1], v4, off
	global_load_ushort v4, v[2:3], off offset:32
	;; [unrolled: 24-line block ×3, first 2 shown]
	s_waitcnt vmcnt(0)
	v_mul_f16_e32 v4, s9, v4
	v_fma_f16 v4, v8, s8, v4
	global_store_short v[0:1], v4, off offset:32
	global_load_ushort v4, v[2:3], off offset:64
	s_waitcnt vmcnt(0)
	v_mul_f16_e32 v4, s9, v4
	v_fma_f16 v4, v7, s8, v4
	global_store_short v[0:1], v4, off offset:64
	global_load_ushort v2, v[2:3], off offset:96
	s_waitcnt vmcnt(0)
	v_mul_f16_e32 v2, s9, v2
	v_fma_f16 v2, v6, s8, v2
	global_store_short v[0:1], v2, off offset:96
.LBB148_7:
	s_endpgm
.LBB148_8:
	s_branch .LBB148_6
	.section	.rodata,"a",@progbits
	.p2align	6, 0x0
	.amdhsa_kernel _ZN12_GLOBAL__N_127rocblas_gemm_batched_kernelIDF16_Li16ELi16ELi64ELi64ELi4ELi64ELi4ELi4ELi64ELc84ELc78EKPKDF16_S3_KPDF16_EEvlllT_PT11_llS8_llS6_PT12_llPT13_lli
		.amdhsa_group_segment_fixed_size 1024
		.amdhsa_private_segment_fixed_size 0
		.amdhsa_kernarg_size 140
		.amdhsa_user_sgpr_count 6
		.amdhsa_user_sgpr_private_segment_buffer 1
		.amdhsa_user_sgpr_dispatch_ptr 0
		.amdhsa_user_sgpr_queue_ptr 0
		.amdhsa_user_sgpr_kernarg_segment_ptr 1
		.amdhsa_user_sgpr_dispatch_id 0
		.amdhsa_user_sgpr_flat_scratch_init 0
		.amdhsa_user_sgpr_kernarg_preload_length 0
		.amdhsa_user_sgpr_kernarg_preload_offset 0
		.amdhsa_user_sgpr_private_segment_size 0
		.amdhsa_uses_dynamic_stack 0
		.amdhsa_system_sgpr_private_segment_wavefront_offset 0
		.amdhsa_system_sgpr_workgroup_id_x 1
		.amdhsa_system_sgpr_workgroup_id_y 1
		.amdhsa_system_sgpr_workgroup_id_z 1
		.amdhsa_system_sgpr_workgroup_info 0
		.amdhsa_system_vgpr_workitem_id 1
		.amdhsa_next_free_vgpr 57
		.amdhsa_next_free_sgpr 36
		.amdhsa_accum_offset 60
		.amdhsa_reserve_vcc 1
		.amdhsa_reserve_flat_scratch 0
		.amdhsa_float_round_mode_32 0
		.amdhsa_float_round_mode_16_64 0
		.amdhsa_float_denorm_mode_32 3
		.amdhsa_float_denorm_mode_16_64 3
		.amdhsa_dx10_clamp 1
		.amdhsa_ieee_mode 1
		.amdhsa_fp16_overflow 0
		.amdhsa_tg_split 0
		.amdhsa_exception_fp_ieee_invalid_op 0
		.amdhsa_exception_fp_denorm_src 0
		.amdhsa_exception_fp_ieee_div_zero 0
		.amdhsa_exception_fp_ieee_overflow 0
		.amdhsa_exception_fp_ieee_underflow 0
		.amdhsa_exception_fp_ieee_inexact 0
		.amdhsa_exception_int_div_zero 0
	.end_amdhsa_kernel
	.section	.text._ZN12_GLOBAL__N_127rocblas_gemm_batched_kernelIDF16_Li16ELi16ELi64ELi64ELi4ELi64ELi4ELi4ELi64ELc84ELc78EKPKDF16_S3_KPDF16_EEvlllT_PT11_llS8_llS6_PT12_llPT13_lli,"axG",@progbits,_ZN12_GLOBAL__N_127rocblas_gemm_batched_kernelIDF16_Li16ELi16ELi64ELi64ELi4ELi64ELi4ELi4ELi64ELc84ELc78EKPKDF16_S3_KPDF16_EEvlllT_PT11_llS8_llS6_PT12_llPT13_lli,comdat
.Lfunc_end148:
	.size	_ZN12_GLOBAL__N_127rocblas_gemm_batched_kernelIDF16_Li16ELi16ELi64ELi64ELi4ELi64ELi4ELi4ELi64ELc84ELc78EKPKDF16_S3_KPDF16_EEvlllT_PT11_llS8_llS6_PT12_llPT13_lli, .Lfunc_end148-_ZN12_GLOBAL__N_127rocblas_gemm_batched_kernelIDF16_Li16ELi16ELi64ELi64ELi4ELi64ELi4ELi4ELi64ELc84ELc78EKPKDF16_S3_KPDF16_EEvlllT_PT11_llS8_llS6_PT12_llPT13_lli
                                        ; -- End function
	.section	.AMDGPU.csdata,"",@progbits
; Kernel info:
; codeLenInByte = 2484
; NumSgprs: 40
; NumVgprs: 57
; NumAgprs: 0
; TotalNumVgprs: 57
; ScratchSize: 0
; MemoryBound: 0
; FloatMode: 240
; IeeeMode: 1
; LDSByteSize: 1024 bytes/workgroup (compile time only)
; SGPRBlocks: 4
; VGPRBlocks: 7
; NumSGPRsForWavesPerEU: 40
; NumVGPRsForWavesPerEU: 57
; AccumOffset: 60
; Occupancy: 8
; WaveLimiterHint : 1
; COMPUTE_PGM_RSRC2:SCRATCH_EN: 0
; COMPUTE_PGM_RSRC2:USER_SGPR: 6
; COMPUTE_PGM_RSRC2:TRAP_HANDLER: 0
; COMPUTE_PGM_RSRC2:TGID_X_EN: 1
; COMPUTE_PGM_RSRC2:TGID_Y_EN: 1
; COMPUTE_PGM_RSRC2:TGID_Z_EN: 1
; COMPUTE_PGM_RSRC2:TIDIG_COMP_CNT: 1
; COMPUTE_PGM_RSRC3_GFX90A:ACCUM_OFFSET: 14
; COMPUTE_PGM_RSRC3_GFX90A:TG_SPLIT: 0
	.section	.text._ZN12_GLOBAL__N_127rocblas_gemm_batched_kernelIDF16_Li16ELi16ELi64ELi64ELi4ELi64ELi4ELi4ELi64ELc78ELc84EKPKDF16_S3_KPDF16_EEvlllT_PT11_llS8_llS6_PT12_llPT13_lli,"axG",@progbits,_ZN12_GLOBAL__N_127rocblas_gemm_batched_kernelIDF16_Li16ELi16ELi64ELi64ELi4ELi64ELi4ELi4ELi64ELc78ELc84EKPKDF16_S3_KPDF16_EEvlllT_PT11_llS8_llS6_PT12_llPT13_lli,comdat
	.globl	_ZN12_GLOBAL__N_127rocblas_gemm_batched_kernelIDF16_Li16ELi16ELi64ELi64ELi4ELi64ELi4ELi4ELi64ELc78ELc84EKPKDF16_S3_KPDF16_EEvlllT_PT11_llS8_llS6_PT12_llPT13_lli ; -- Begin function _ZN12_GLOBAL__N_127rocblas_gemm_batched_kernelIDF16_Li16ELi16ELi64ELi64ELi4ELi64ELi4ELi4ELi64ELc78ELc84EKPKDF16_S3_KPDF16_EEvlllT_PT11_llS8_llS6_PT12_llPT13_lli
	.p2align	8
	.type	_ZN12_GLOBAL__N_127rocblas_gemm_batched_kernelIDF16_Li16ELi16ELi64ELi64ELi4ELi64ELi4ELi4ELi64ELc78ELc84EKPKDF16_S3_KPDF16_EEvlllT_PT11_llS8_llS6_PT12_llPT13_lli,@function
_ZN12_GLOBAL__N_127rocblas_gemm_batched_kernelIDF16_Li16ELi16ELi64ELi64ELi4ELi64ELi4ELi4ELi64ELc78ELc84EKPKDF16_S3_KPDF16_EEvlllT_PT11_llS8_llS6_PT12_llPT13_lli: ; @_ZN12_GLOBAL__N_127rocblas_gemm_batched_kernelIDF16_Li16ELi16ELi64ELi64ELi4ELi64ELi4ELi4ELi64ELc78ELc84EKPKDF16_S3_KPDF16_EEvlllT_PT11_llS8_llS6_PT12_llPT13_lli
; %bb.0:
	s_load_dwordx2 s[30:31], s[4:5], 0x10
	s_load_dwordx4 s[0:3], s[4:5], 0x78
	s_load_dwordx8 s[12:19], s[4:5], 0x58
	s_mov_b32 s9, 0
	s_lshl_b64 s[34:35], s[8:9], 3
	s_mov_b32 s10, s7
	v_bfe_u32 v15, v0, 10, 10
	s_waitcnt lgkmcnt(0)
	s_add_u32 s8, s12, s34
	s_addc_u32 s9, s13, s35
	s_load_dwordx2 s[12:13], s[8:9], 0x0
	s_add_u32 s8, s18, s34
	s_addc_u32 s9, s19, s35
	s_load_dwordx2 s[18:19], s[8:9], 0x0
	s_ashr_i32 s7, s6, 31
	s_ashr_i32 s11, s10, 31
	v_cmp_lt_i64_e64 s[8:9], s[30:31], 1
	v_and_b32_e32 v14, 0x3ff, v0
	s_lshl_b64 s[6:7], s[6:7], 6
	s_lshl_b64 s[28:29], s[10:11], 6
	s_and_b64 vcc, exec, s[8:9]
	s_cbranch_vccnz .LBB149_3
; %bb.1:
	s_load_dwordx8 s[20:27], s[4:5], 0x20
	s_load_dwordx4 s[8:11], s[4:5], 0x40
	v_lshl_add_u32 v2, v15, 4, v14
	v_and_b32_e32 v8, 63, v2
	v_lshrrev_b32_e32 v0, 2, v2
	s_waitcnt lgkmcnt(0)
	s_add_u32 s20, s20, s34
	s_addc_u32 s21, s21, s35
	v_and_b32_e32 v4, 3, v14
	v_lshrrev_b32_e32 v6, 6, v2
	v_lshlrev_b32_e32 v2, 1, v8
	s_add_u32 s26, s26, s34
	v_lshl_or_b32 v24, v6, 7, v2
	v_lshlrev_b32_e32 v2, 1, v4
	s_addc_u32 s27, s27, s35
	v_lshl_or_b32 v2, v0, 3, v2
	s_load_dwordx2 s[26:27], s[26:27], 0x0
	v_mov_b32_e32 v1, 0
	v_add_u32_e32 v25, 0x200, v2
	v_mov_b32_e32 v2, 0x200
	v_lshl_add_u32 v27, v15, 3, v2
	v_mad_u64_u32 v[2:3], s[34:35], v4, s8, v[0:1]
	v_mov_b32_e32 v0, v3
	v_mad_u64_u32 v[4:5], s[34:35], v4, s9, v[0:1]
	s_lshl_b64 s[10:11], s[10:11], 1
	v_mov_b32_e32 v3, v4
	v_mov_b32_e32 v0, s29
	v_add_co_u32_e32 v2, vcc, s28, v2
	v_addc_co_u32_e32 v3, vcc, v3, v0, vcc
	s_waitcnt lgkmcnt(0)
	s_add_u32 s10, s26, s10
	s_load_dwordx2 s[20:21], s[20:21], 0x0
	v_lshlrev_b64 v[2:3], 1, v[2:3]
	s_addc_u32 s11, s27, s11
	v_pk_mov_b32 v[4:5], s[6:7], s[6:7] op_sel:[0,1]
	v_mov_b32_e32 v0, s11
	v_add_co_u32_e32 v2, vcc, s10, v2
	s_lshl_b64 s[10:11], s[24:25], 1
	v_mad_u64_u32 v[4:5], s[24:25], v6, s22, v[4:5]
	v_addc_co_u32_e32 v3, vcc, v0, v3, vcc
	v_mov_b32_e32 v0, v5
	v_mad_u64_u32 v[6:7], s[24:25], v6, s23, v[0:1]
	s_lshl_b64 s[8:9], s[8:9], 3
	v_mov_b32_e32 v5, v6
	v_add_co_u32_e32 v4, vcc, v4, v8
	v_addc_co_u32_e32 v5, vcc, 0, v5, vcc
	s_waitcnt lgkmcnt(0)
	s_add_u32 s10, s20, s10
	v_lshlrev_b64 v[4:5], 1, v[4:5]
	s_addc_u32 s11, s21, s11
	v_mov_b32_e32 v0, s11
	v_add_co_u32_e32 v4, vcc, s10, v4
	s_lshl_b64 s[10:11], s[22:23], 3
	v_lshlrev_b32_e32 v26, 1, v14
	v_addc_co_u32_e32 v5, vcc, v0, v5, vcc
	s_mov_b64 s[20:21], 0
	v_mov_b32_e32 v28, s9
	v_mov_b32_e32 v29, s11
	v_pk_mov_b32 v[6:7], s[30:31], s[30:31] op_sel:[0,1]
	v_mov_b32_e32 v0, v1
	v_mov_b32_e32 v8, v1
	v_mov_b32_e32 v9, v1
	v_mov_b32_e32 v10, v1
	v_mov_b32_e32 v11, v1
	v_mov_b32_e32 v12, v1
	v_mov_b32_e32 v13, v1
	v_mov_b32_e32 v16, v1
	v_mov_b32_e32 v17, v1
	v_mov_b32_e32 v18, v1
	v_mov_b32_e32 v19, v1
	v_mov_b32_e32 v20, v1
	v_mov_b32_e32 v21, v1
	v_mov_b32_e32 v22, v1
	v_mov_b32_e32 v23, v1
.LBB149_2:                              ; =>This Inner Loop Header: Depth=1
	global_load_ushort v30, v[4:5], off
	global_load_ushort v31, v[2:3], off
	v_add_co_u32_e32 v2, vcc, s8, v2
	v_addc_co_u32_e32 v3, vcc, v3, v28, vcc
	s_add_u32 s20, s20, 4
	v_add_co_u32_e32 v4, vcc, s10, v4
	v_addc_co_u32_e32 v5, vcc, v5, v29, vcc
	s_addc_u32 s21, s21, 0
	v_cmp_lt_i64_e32 vcc, s[20:21], v[6:7]
	s_and_b64 vcc, exec, vcc
	s_waitcnt vmcnt(1)
	ds_write_b16 v24, v30
	s_waitcnt vmcnt(0)
	ds_write_b16 v25, v31
	s_waitcnt lgkmcnt(0)
	s_barrier
	ds_read2_b64 v[30:33], v27 offset1:16
	ds_read2_b64 v[34:37], v27 offset0:32 offset1:48
	ds_read_u16 v38, v26
	ds_read_u16 v39, v26 offset:32
	ds_read_u16 v40, v26 offset:64
	;; [unrolled: 1-line block ×15, first 2 shown]
	s_waitcnt lgkmcnt(14)
	v_lshrrev_b32_e32 v54, 16, v30
	v_fma_f16 v23, v38, v30, v23
	v_fma_f16 v22, v39, v30, v22
	s_waitcnt lgkmcnt(13)
	v_fma_f16 v21, v40, v30, v21
	s_waitcnt lgkmcnt(12)
	v_fma_f16 v20, v41, v30, v20
	v_lshrrev_b32_e32 v30, 16, v32
	v_fma_f16 v19, v38, v32, v19
	v_fma_f16 v18, v39, v32, v18
	v_fma_f16 v17, v40, v32, v17
	v_fma_f16 v16, v41, v32, v16
	v_lshrrev_b32_e32 v32, 16, v34
	v_fma_f16 v13, v38, v34, v13
	v_fma_f16 v12, v39, v34, v12
	v_fma_f16 v11, v40, v34, v11
	;; [unrolled: 5-line block ×3, first 2 shown]
	v_fma_f16 v1, v41, v36, v1
	s_waitcnt lgkmcnt(11)
	v_fma_f16 v23, v42, v54, v23
	s_waitcnt lgkmcnt(10)
	;; [unrolled: 2-line block ×4, first 2 shown]
	v_fma_f16 v20, v45, v54, v20
	v_fma_f16 v19, v42, v30, v19
	;; [unrolled: 1-line block ×13, first 2 shown]
	v_lshrrev_b32_e32 v55, 16, v31
	v_lshrrev_b32_e32 v56, 16, v33
	;; [unrolled: 1-line block ×4, first 2 shown]
	s_waitcnt lgkmcnt(7)
	v_fma_f16 v23, v46, v31, v23
	s_waitcnt lgkmcnt(6)
	v_fma_f16 v22, v47, v31, v22
	;; [unrolled: 2-line block ×4, first 2 shown]
	v_fma_f16 v19, v46, v33, v19
	v_fma_f16 v18, v47, v33, v18
	;; [unrolled: 1-line block ×12, first 2 shown]
	s_waitcnt lgkmcnt(3)
	v_fma_f16 v23, v50, v55, v23
	s_waitcnt lgkmcnt(2)
	v_fma_f16 v22, v51, v55, v22
	;; [unrolled: 2-line block ×4, first 2 shown]
	v_fma_f16 v19, v50, v56, v19
	v_fma_f16 v18, v51, v56, v18
	;; [unrolled: 1-line block ×12, first 2 shown]
	s_barrier
	s_cbranch_vccnz .LBB149_2
	s_branch .LBB149_4
.LBB149_3:
	v_mov_b32_e32 v23, 0
	v_mov_b32_e32 v22, 0
	;; [unrolled: 1-line block ×16, first 2 shown]
.LBB149_4:
	s_load_dword s8, s[4:5], 0x18
	s_load_dword s9, s[4:5], 0x50
	v_mov_b32_e32 v2, s29
	v_add_co_u32_e32 v4, vcc, s28, v15
	s_lshl_b64 s[2:3], s[2:3], 1
	v_addc_co_u32_e32 v7, vcc, 0, v2, vcc
	s_waitcnt lgkmcnt(0)
	s_add_u32 s4, s18, s2
	v_mov_b32_e32 v3, s7
	v_add_co_u32_e32 v2, vcc, s6, v14
	s_addc_u32 s5, s19, s3
	v_cmp_neq_f16_e64 s[2:3], s9, 0
	v_addc_co_u32_e32 v3, vcc, 0, v3, vcc
	s_and_b64 vcc, exec, s[2:3]
	v_mul_lo_u32 v5, v7, s0
	v_mul_lo_u32 v6, v4, s1
	v_lshlrev_b64 v[2:3], 1, v[2:3]
	s_cbranch_vccnz .LBB149_8
; %bb.5:
	v_mad_u64_u32 v[14:15], s[2:3], v4, s0, 0
	v_add3_u32 v15, v15, v6, v5
	v_lshlrev_b64 v[14:15], 1, v[14:15]
	v_mov_b32_e32 v24, s5
	v_add_co_u32_e32 v14, vcc, s4, v14
	v_addc_co_u32_e32 v15, vcc, v24, v15, vcc
	v_add_co_u32_e32 v14, vcc, v14, v2
	v_mul_f16_e32 v24, s8, v23
	v_addc_co_u32_e32 v15, vcc, v15, v3, vcc
	global_store_short v[14:15], v24, off
	v_mul_f16_e32 v24, s8, v22
	global_store_short v[14:15], v24, off offset:32
	v_mul_f16_e32 v24, s8, v21
	global_store_short v[14:15], v24, off offset:64
	v_mul_f16_e32 v24, s8, v20
	s_lshl_b64 s[2:3], s[0:1], 5
	global_store_short v[14:15], v24, off offset:96
	v_mov_b32_e32 v25, s3
	v_add_co_u32_e32 v14, vcc, s2, v14
	v_mul_f16_e32 v24, s8, v19
	v_addc_co_u32_e32 v15, vcc, v15, v25, vcc
	global_store_short v[14:15], v24, off
	v_mul_f16_e32 v24, s8, v18
	global_store_short v[14:15], v24, off offset:32
	v_mul_f16_e32 v24, s8, v17
	global_store_short v[14:15], v24, off offset:64
	v_mul_f16_e32 v24, s8, v16
	global_store_short v[14:15], v24, off offset:96
	v_add_co_u32_e32 v14, vcc, s2, v14
	v_mul_f16_e32 v24, s8, v13
	v_addc_co_u32_e32 v15, vcc, v15, v25, vcc
	global_store_short v[14:15], v24, off
	v_mul_f16_e32 v24, s8, v12
	global_store_short v[14:15], v24, off offset:32
	v_mul_f16_e32 v24, s8, v11
	global_store_short v[14:15], v24, off offset:64
	v_mul_f16_e32 v24, s8, v10
	global_store_short v[14:15], v24, off offset:96
	;; [unrolled: 10-line block ×3, first 2 shown]
	s_cbranch_execnz .LBB149_7
.LBB149_6:
	s_lshl_b64 s[2:3], s[16:17], 1
	s_add_u32 s6, s12, s2
	s_addc_u32 s7, s13, s3
	v_mul_lo_u32 v7, v7, s14
	v_mul_lo_u32 v24, v4, s15
	v_mad_u64_u32 v[14:15], s[2:3], v4, s14, 0
	v_add3_u32 v15, v15, v24, v7
	v_lshlrev_b64 v[14:15], 1, v[14:15]
	v_mov_b32_e32 v7, s7
	v_add_co_u32_e32 v14, vcc, s6, v14
	v_addc_co_u32_e32 v7, vcc, v7, v15, vcc
	v_add_co_u32_e32 v14, vcc, v14, v2
	v_addc_co_u32_e32 v15, vcc, v7, v3, vcc
	global_load_ushort v7, v[14:15], off
	v_mad_u64_u32 v[24:25], s[2:3], v4, s0, 0
	v_add3_u32 v25, v25, v6, v5
	v_lshlrev_b64 v[4:5], 1, v[24:25]
	v_mov_b32_e32 v26, s5
	v_add_co_u32_e32 v4, vcc, s4, v4
	v_addc_co_u32_e32 v5, vcc, v26, v5, vcc
	v_add_co_u32_e32 v2, vcc, v4, v2
	v_addc_co_u32_e32 v3, vcc, v5, v3, vcc
	s_lshl_b64 s[2:3], s[14:15], 5
	s_lshl_b64 s[0:1], s[0:1], 5
	s_waitcnt vmcnt(0)
	v_mul_f16_e32 v4, s9, v7
	v_fma_f16 v4, v23, s8, v4
	global_store_short v[2:3], v4, off
	global_load_ushort v4, v[14:15], off offset:32
	v_mov_b32_e32 v7, s3
	s_waitcnt vmcnt(0)
	v_mul_f16_e32 v4, s9, v4
	v_fma_f16 v4, v22, s8, v4
	global_store_short v[2:3], v4, off offset:32
	global_load_ushort v4, v[14:15], off offset:64
	s_waitcnt vmcnt(0)
	v_mul_f16_e32 v4, s9, v4
	v_fma_f16 v4, v21, s8, v4
	global_store_short v[2:3], v4, off offset:64
	global_load_ushort v6, v[14:15], off offset:96
	v_add_co_u32_e32 v4, vcc, s2, v14
	v_addc_co_u32_e32 v5, vcc, v15, v7, vcc
	v_mov_b32_e32 v14, s1
	s_waitcnt vmcnt(0)
	v_mul_f16_e32 v6, s9, v6
	v_fma_f16 v6, v20, s8, v6
	global_store_short v[2:3], v6, off offset:96
	global_load_ushort v6, v[4:5], off
	v_add_co_u32_e32 v2, vcc, s0, v2
	v_addc_co_u32_e32 v3, vcc, v3, v14, vcc
	s_waitcnt vmcnt(0)
	v_mul_f16_e32 v6, s9, v6
	v_fma_f16 v6, v19, s8, v6
	global_store_short v[2:3], v6, off
	global_load_ushort v6, v[4:5], off offset:32
	s_waitcnt vmcnt(0)
	v_mul_f16_e32 v6, s9, v6
	v_fma_f16 v6, v18, s8, v6
	global_store_short v[2:3], v6, off offset:32
	global_load_ushort v6, v[4:5], off offset:64
	s_waitcnt vmcnt(0)
	v_mul_f16_e32 v6, s9, v6
	v_fma_f16 v6, v17, s8, v6
	global_store_short v[2:3], v6, off offset:64
	global_load_ushort v6, v[4:5], off offset:96
	v_add_co_u32_e32 v4, vcc, s2, v4
	v_addc_co_u32_e32 v5, vcc, v5, v7, vcc
	s_waitcnt vmcnt(0)
	v_mul_f16_e32 v6, s9, v6
	v_fma_f16 v6, v16, s8, v6
	global_store_short v[2:3], v6, off offset:96
	global_load_ushort v6, v[4:5], off
	v_add_co_u32_e32 v2, vcc, s0, v2
	v_addc_co_u32_e32 v3, vcc, v3, v14, vcc
	s_waitcnt vmcnt(0)
	v_mul_f16_e32 v6, s9, v6
	v_fma_f16 v6, v13, s8, v6
	global_store_short v[2:3], v6, off
	global_load_ushort v6, v[4:5], off offset:32
	s_waitcnt vmcnt(0)
	v_mul_f16_e32 v6, s9, v6
	v_fma_f16 v6, v12, s8, v6
	global_store_short v[2:3], v6, off offset:32
	global_load_ushort v6, v[4:5], off offset:64
	s_waitcnt vmcnt(0)
	v_mul_f16_e32 v6, s9, v6
	v_fma_f16 v6, v11, s8, v6
	global_store_short v[2:3], v6, off offset:64
	global_load_ushort v6, v[4:5], off offset:96
	v_add_co_u32_e32 v4, vcc, s2, v4
	v_addc_co_u32_e32 v5, vcc, v5, v7, vcc
	s_waitcnt vmcnt(0)
	v_mul_f16_e32 v6, s9, v6
	v_fma_f16 v6, v10, s8, v6
	global_store_short v[2:3], v6, off offset:96
	global_load_ushort v6, v[4:5], off
	v_add_co_u32_e32 v2, vcc, s0, v2
	v_addc_co_u32_e32 v3, vcc, v3, v14, vcc
	s_waitcnt vmcnt(0)
	v_mul_f16_e32 v6, s9, v6
	v_fma_f16 v6, v9, s8, v6
	global_store_short v[2:3], v6, off
	global_load_ushort v6, v[4:5], off offset:32
	s_waitcnt vmcnt(0)
	v_mul_f16_e32 v6, s9, v6
	v_fma_f16 v6, v8, s8, v6
	global_store_short v[2:3], v6, off offset:32
	global_load_ushort v6, v[4:5], off offset:64
	s_waitcnt vmcnt(0)
	v_mul_f16_e32 v6, s9, v6
	v_fma_f16 v0, v0, s8, v6
	global_store_short v[2:3], v0, off offset:64
	;; [unrolled: 5-line block ×3, first 2 shown]
.LBB149_7:
	s_endpgm
.LBB149_8:
	s_branch .LBB149_6
	.section	.rodata,"a",@progbits
	.p2align	6, 0x0
	.amdhsa_kernel _ZN12_GLOBAL__N_127rocblas_gemm_batched_kernelIDF16_Li16ELi16ELi64ELi64ELi4ELi64ELi4ELi4ELi64ELc78ELc84EKPKDF16_S3_KPDF16_EEvlllT_PT11_llS8_llS6_PT12_llPT13_lli
		.amdhsa_group_segment_fixed_size 1024
		.amdhsa_private_segment_fixed_size 0
		.amdhsa_kernarg_size 140
		.amdhsa_user_sgpr_count 6
		.amdhsa_user_sgpr_private_segment_buffer 1
		.amdhsa_user_sgpr_dispatch_ptr 0
		.amdhsa_user_sgpr_queue_ptr 0
		.amdhsa_user_sgpr_kernarg_segment_ptr 1
		.amdhsa_user_sgpr_dispatch_id 0
		.amdhsa_user_sgpr_flat_scratch_init 0
		.amdhsa_user_sgpr_kernarg_preload_length 0
		.amdhsa_user_sgpr_kernarg_preload_offset 0
		.amdhsa_user_sgpr_private_segment_size 0
		.amdhsa_uses_dynamic_stack 0
		.amdhsa_system_sgpr_private_segment_wavefront_offset 0
		.amdhsa_system_sgpr_workgroup_id_x 1
		.amdhsa_system_sgpr_workgroup_id_y 1
		.amdhsa_system_sgpr_workgroup_id_z 1
		.amdhsa_system_sgpr_workgroup_info 0
		.amdhsa_system_vgpr_workitem_id 1
		.amdhsa_next_free_vgpr 58
		.amdhsa_next_free_sgpr 36
		.amdhsa_accum_offset 60
		.amdhsa_reserve_vcc 1
		.amdhsa_reserve_flat_scratch 0
		.amdhsa_float_round_mode_32 0
		.amdhsa_float_round_mode_16_64 0
		.amdhsa_float_denorm_mode_32 3
		.amdhsa_float_denorm_mode_16_64 3
		.amdhsa_dx10_clamp 1
		.amdhsa_ieee_mode 1
		.amdhsa_fp16_overflow 0
		.amdhsa_tg_split 0
		.amdhsa_exception_fp_ieee_invalid_op 0
		.amdhsa_exception_fp_denorm_src 0
		.amdhsa_exception_fp_ieee_div_zero 0
		.amdhsa_exception_fp_ieee_overflow 0
		.amdhsa_exception_fp_ieee_underflow 0
		.amdhsa_exception_fp_ieee_inexact 0
		.amdhsa_exception_int_div_zero 0
	.end_amdhsa_kernel
	.section	.text._ZN12_GLOBAL__N_127rocblas_gemm_batched_kernelIDF16_Li16ELi16ELi64ELi64ELi4ELi64ELi4ELi4ELi64ELc78ELc84EKPKDF16_S3_KPDF16_EEvlllT_PT11_llS8_llS6_PT12_llPT13_lli,"axG",@progbits,_ZN12_GLOBAL__N_127rocblas_gemm_batched_kernelIDF16_Li16ELi16ELi64ELi64ELi4ELi64ELi4ELi4ELi64ELc78ELc84EKPKDF16_S3_KPDF16_EEvlllT_PT11_llS8_llS6_PT12_llPT13_lli,comdat
.Lfunc_end149:
	.size	_ZN12_GLOBAL__N_127rocblas_gemm_batched_kernelIDF16_Li16ELi16ELi64ELi64ELi4ELi64ELi4ELi4ELi64ELc78ELc84EKPKDF16_S3_KPDF16_EEvlllT_PT11_llS8_llS6_PT12_llPT13_lli, .Lfunc_end149-_ZN12_GLOBAL__N_127rocblas_gemm_batched_kernelIDF16_Li16ELi16ELi64ELi64ELi4ELi64ELi4ELi4ELi64ELc78ELc84EKPKDF16_S3_KPDF16_EEvlllT_PT11_llS8_llS6_PT12_llPT13_lli
                                        ; -- End function
	.section	.AMDGPU.csdata,"",@progbits
; Kernel info:
; codeLenInByte = 2460
; NumSgprs: 40
; NumVgprs: 58
; NumAgprs: 0
; TotalNumVgprs: 58
; ScratchSize: 0
; MemoryBound: 0
; FloatMode: 240
; IeeeMode: 1
; LDSByteSize: 1024 bytes/workgroup (compile time only)
; SGPRBlocks: 4
; VGPRBlocks: 7
; NumSGPRsForWavesPerEU: 40
; NumVGPRsForWavesPerEU: 58
; AccumOffset: 60
; Occupancy: 8
; WaveLimiterHint : 1
; COMPUTE_PGM_RSRC2:SCRATCH_EN: 0
; COMPUTE_PGM_RSRC2:USER_SGPR: 6
; COMPUTE_PGM_RSRC2:TRAP_HANDLER: 0
; COMPUTE_PGM_RSRC2:TGID_X_EN: 1
; COMPUTE_PGM_RSRC2:TGID_Y_EN: 1
; COMPUTE_PGM_RSRC2:TGID_Z_EN: 1
; COMPUTE_PGM_RSRC2:TIDIG_COMP_CNT: 1
; COMPUTE_PGM_RSRC3_GFX90A:ACCUM_OFFSET: 14
; COMPUTE_PGM_RSRC3_GFX90A:TG_SPLIT: 0
	.section	.text._ZN12_GLOBAL__N_127rocblas_gemm_batched_kernelIDF16_Li16ELi16ELi64ELi64ELi4ELi64ELi4ELi4ELi64ELc84ELc84EKPKDF16_S3_KPDF16_EEvlllT_PT11_llS8_llS6_PT12_llPT13_lli,"axG",@progbits,_ZN12_GLOBAL__N_127rocblas_gemm_batched_kernelIDF16_Li16ELi16ELi64ELi64ELi4ELi64ELi4ELi4ELi64ELc84ELc84EKPKDF16_S3_KPDF16_EEvlllT_PT11_llS8_llS6_PT12_llPT13_lli,comdat
	.globl	_ZN12_GLOBAL__N_127rocblas_gemm_batched_kernelIDF16_Li16ELi16ELi64ELi64ELi4ELi64ELi4ELi4ELi64ELc84ELc84EKPKDF16_S3_KPDF16_EEvlllT_PT11_llS8_llS6_PT12_llPT13_lli ; -- Begin function _ZN12_GLOBAL__N_127rocblas_gemm_batched_kernelIDF16_Li16ELi16ELi64ELi64ELi4ELi64ELi4ELi4ELi64ELc84ELc84EKPKDF16_S3_KPDF16_EEvlllT_PT11_llS8_llS6_PT12_llPT13_lli
	.p2align	8
	.type	_ZN12_GLOBAL__N_127rocblas_gemm_batched_kernelIDF16_Li16ELi16ELi64ELi64ELi4ELi64ELi4ELi4ELi64ELc84ELc84EKPKDF16_S3_KPDF16_EEvlllT_PT11_llS8_llS6_PT12_llPT13_lli,@function
_ZN12_GLOBAL__N_127rocblas_gemm_batched_kernelIDF16_Li16ELi16ELi64ELi64ELi4ELi64ELi4ELi4ELi64ELc84ELc84EKPKDF16_S3_KPDF16_EEvlllT_PT11_llS8_llS6_PT12_llPT13_lli: ; @_ZN12_GLOBAL__N_127rocblas_gemm_batched_kernelIDF16_Li16ELi16ELi64ELi64ELi4ELi64ELi4ELi4ELi64ELc84ELc84EKPKDF16_S3_KPDF16_EEvlllT_PT11_llS8_llS6_PT12_llPT13_lli
; %bb.0:
	s_load_dwordx2 s[30:31], s[4:5], 0x10
	s_load_dwordx4 s[0:3], s[4:5], 0x78
	s_load_dwordx8 s[12:19], s[4:5], 0x58
	s_mov_b32 s9, 0
	s_lshl_b64 s[34:35], s[8:9], 3
	s_mov_b32 s10, s7
	v_bfe_u32 v15, v0, 10, 10
	s_waitcnt lgkmcnt(0)
	s_add_u32 s8, s12, s34
	s_addc_u32 s9, s13, s35
	s_load_dwordx2 s[12:13], s[8:9], 0x0
	s_add_u32 s8, s18, s34
	s_addc_u32 s9, s19, s35
	s_load_dwordx2 s[18:19], s[8:9], 0x0
	s_ashr_i32 s7, s6, 31
	s_ashr_i32 s11, s10, 31
	v_cmp_lt_i64_e64 s[8:9], s[30:31], 1
	v_and_b32_e32 v14, 0x3ff, v0
	s_lshl_b64 s[6:7], s[6:7], 6
	s_lshl_b64 s[28:29], s[10:11], 6
	s_and_b64 vcc, exec, s[8:9]
	s_cbranch_vccnz .LBB150_3
; %bb.1:
	s_load_dwordx8 s[20:27], s[4:5], 0x20
	s_load_dwordx4 s[8:11], s[4:5], 0x40
	v_lshl_add_u32 v2, v15, 4, v14
	v_and_b32_e32 v6, 63, v2
	v_lshrrev_b32_e32 v0, 2, v2
	s_waitcnt lgkmcnt(0)
	s_add_u32 s20, s20, s34
	s_addc_u32 s21, s21, s35
	v_and_b32_e32 v4, 3, v14
	v_lshrrev_b32_e32 v7, 6, v2
	v_lshlrev_b32_e32 v2, 1, v6
	s_add_u32 s26, s26, s34
	v_lshl_or_b32 v24, v7, 7, v2
	v_lshlrev_b32_e32 v2, 1, v4
	s_addc_u32 s27, s27, s35
	v_lshl_or_b32 v2, v0, 3, v2
	s_load_dwordx2 s[26:27], s[26:27], 0x0
	v_mov_b32_e32 v1, 0
	v_add_u32_e32 v25, 0x200, v2
	v_mov_b32_e32 v2, 0x200
	v_lshl_add_u32 v27, v15, 3, v2
	v_mad_u64_u32 v[2:3], s[34:35], v4, s8, v[0:1]
	v_mov_b32_e32 v0, v3
	v_mad_u64_u32 v[4:5], s[34:35], v4, s9, v[0:1]
	s_lshl_b64 s[10:11], s[10:11], 1
	v_mov_b32_e32 v3, v4
	v_mov_b32_e32 v0, s29
	v_add_co_u32_e32 v2, vcc, s28, v2
	v_addc_co_u32_e32 v3, vcc, v3, v0, vcc
	s_waitcnt lgkmcnt(0)
	s_add_u32 s10, s26, s10
	v_lshlrev_b64 v[2:3], 1, v[2:3]
	s_addc_u32 s11, s27, s11
	v_mov_b32_e32 v0, s11
	v_add_co_u32_e32 v2, vcc, s10, v2
	v_addc_co_u32_e32 v3, vcc, v0, v3, vcc
	v_mov_b32_e32 v0, s7
	v_add_co_u32_e32 v4, vcc, s6, v6
	v_addc_co_u32_e32 v0, vcc, 0, v0, vcc
	v_mul_lo_u32 v6, s23, v4
	v_mul_lo_u32 v0, s22, v0
	v_mad_u64_u32 v[4:5], s[10:11], s22, v4, 0
	v_add3_u32 v5, v5, v0, v6
	s_load_dwordx2 s[20:21], s[20:21], 0x0
	v_lshlrev_b64 v[4:5], 1, v[4:5]
	s_lshl_b64 s[10:11], s[24:25], 1
	v_mov_b32_e32 v0, s11
	v_add_co_u32_e32 v4, vcc, s10, v4
	v_addc_co_u32_e32 v0, vcc, v5, v0, vcc
	v_lshlrev_b32_e32 v5, 1, v7
	v_add_co_u32_e32 v4, vcc, v4, v5
	v_addc_co_u32_e32 v0, vcc, 0, v0, vcc
	s_lshl_b64 s[8:9], s[8:9], 3
	s_waitcnt lgkmcnt(0)
	v_mov_b32_e32 v5, s21
	v_add_co_u32_e32 v4, vcc, s20, v4
	v_lshlrev_b32_e32 v26, 1, v14
	v_addc_co_u32_e32 v5, vcc, v5, v0, vcc
	s_mov_b64 s[10:11], 0
	v_mov_b32_e32 v28, s9
	v_pk_mov_b32 v[6:7], s[30:31], s[30:31] op_sel:[0,1]
	v_mov_b32_e32 v0, v1
	v_mov_b32_e32 v8, v1
	;; [unrolled: 1-line block ×15, first 2 shown]
.LBB150_2:                              ; =>This Inner Loop Header: Depth=1
	global_load_ushort v29, v[4:5], off
	global_load_ushort v30, v[2:3], off
	v_add_co_u32_e32 v2, vcc, s8, v2
	v_addc_co_u32_e32 v3, vcc, v3, v28, vcc
	s_add_u32 s10, s10, 4
	v_add_co_u32_e32 v4, vcc, 8, v4
	v_addc_co_u32_e32 v5, vcc, 0, v5, vcc
	s_addc_u32 s11, s11, 0
	v_cmp_lt_i64_e32 vcc, s[10:11], v[6:7]
	s_and_b64 vcc, exec, vcc
	s_waitcnt vmcnt(1)
	ds_write_b16 v24, v29
	s_waitcnt vmcnt(0)
	ds_write_b16 v25, v30
	s_waitcnt lgkmcnt(0)
	s_barrier
	ds_read2_b64 v[30:33], v27 offset1:16
	ds_read2_b64 v[34:37], v27 offset0:32 offset1:48
	ds_read_u16 v29, v26
	ds_read_u16 v38, v26 offset:32
	ds_read_u16 v39, v26 offset:64
	;; [unrolled: 1-line block ×15, first 2 shown]
	s_waitcnt lgkmcnt(14)
	v_lshrrev_b32_e32 v53, 16, v30
	v_fma_f16 v23, v29, v30, v23
	v_fma_f16 v22, v38, v30, v22
	s_waitcnt lgkmcnt(13)
	v_fma_f16 v21, v39, v30, v21
	s_waitcnt lgkmcnt(12)
	v_fma_f16 v20, v40, v30, v20
	v_lshrrev_b32_e32 v30, 16, v32
	v_fma_f16 v19, v29, v32, v19
	v_fma_f16 v18, v38, v32, v18
	v_fma_f16 v17, v39, v32, v17
	v_fma_f16 v16, v40, v32, v16
	v_lshrrev_b32_e32 v32, 16, v34
	v_fma_f16 v13, v29, v34, v13
	v_fma_f16 v12, v38, v34, v12
	v_fma_f16 v11, v39, v34, v11
	;; [unrolled: 5-line block ×3, first 2 shown]
	v_fma_f16 v1, v40, v36, v1
	s_waitcnt lgkmcnt(11)
	v_fma_f16 v23, v41, v53, v23
	s_waitcnt lgkmcnt(10)
	;; [unrolled: 2-line block ×4, first 2 shown]
	v_fma_f16 v20, v44, v53, v20
	v_fma_f16 v19, v41, v30, v19
	;; [unrolled: 1-line block ×13, first 2 shown]
	v_lshrrev_b32_e32 v54, 16, v31
	v_lshrrev_b32_e32 v55, 16, v33
	;; [unrolled: 1-line block ×4, first 2 shown]
	s_waitcnt lgkmcnt(7)
	v_fma_f16 v23, v45, v31, v23
	s_waitcnt lgkmcnt(6)
	v_fma_f16 v22, v46, v31, v22
	;; [unrolled: 2-line block ×4, first 2 shown]
	v_fma_f16 v19, v45, v33, v19
	v_fma_f16 v18, v46, v33, v18
	;; [unrolled: 1-line block ×12, first 2 shown]
	s_waitcnt lgkmcnt(3)
	v_fma_f16 v23, v49, v54, v23
	s_waitcnt lgkmcnt(2)
	v_fma_f16 v22, v50, v54, v22
	;; [unrolled: 2-line block ×4, first 2 shown]
	v_fma_f16 v19, v49, v55, v19
	v_fma_f16 v18, v50, v55, v18
	;; [unrolled: 1-line block ×12, first 2 shown]
	s_barrier
	s_cbranch_vccnz .LBB150_2
	s_branch .LBB150_4
.LBB150_3:
	v_mov_b32_e32 v23, 0
	v_mov_b32_e32 v22, 0
	;; [unrolled: 1-line block ×16, first 2 shown]
.LBB150_4:
	s_load_dword s8, s[4:5], 0x18
	s_load_dword s9, s[4:5], 0x50
	v_mov_b32_e32 v2, s29
	v_add_co_u32_e32 v4, vcc, s28, v15
	s_lshl_b64 s[2:3], s[2:3], 1
	v_addc_co_u32_e32 v7, vcc, 0, v2, vcc
	s_waitcnt lgkmcnt(0)
	s_add_u32 s4, s18, s2
	v_mov_b32_e32 v3, s7
	v_add_co_u32_e32 v2, vcc, s6, v14
	s_addc_u32 s5, s19, s3
	v_cmp_neq_f16_e64 s[2:3], s9, 0
	v_addc_co_u32_e32 v3, vcc, 0, v3, vcc
	s_and_b64 vcc, exec, s[2:3]
	v_mul_lo_u32 v5, v7, s0
	v_mul_lo_u32 v6, v4, s1
	v_lshlrev_b64 v[2:3], 1, v[2:3]
	s_cbranch_vccnz .LBB150_8
; %bb.5:
	v_mad_u64_u32 v[14:15], s[2:3], v4, s0, 0
	v_add3_u32 v15, v15, v6, v5
	v_lshlrev_b64 v[14:15], 1, v[14:15]
	v_mov_b32_e32 v24, s5
	v_add_co_u32_e32 v14, vcc, s4, v14
	v_addc_co_u32_e32 v15, vcc, v24, v15, vcc
	v_add_co_u32_e32 v14, vcc, v14, v2
	v_mul_f16_e32 v24, s8, v23
	v_addc_co_u32_e32 v15, vcc, v15, v3, vcc
	global_store_short v[14:15], v24, off
	v_mul_f16_e32 v24, s8, v22
	global_store_short v[14:15], v24, off offset:32
	v_mul_f16_e32 v24, s8, v21
	global_store_short v[14:15], v24, off offset:64
	v_mul_f16_e32 v24, s8, v20
	s_lshl_b64 s[2:3], s[0:1], 5
	global_store_short v[14:15], v24, off offset:96
	v_mov_b32_e32 v25, s3
	v_add_co_u32_e32 v14, vcc, s2, v14
	v_mul_f16_e32 v24, s8, v19
	v_addc_co_u32_e32 v15, vcc, v15, v25, vcc
	global_store_short v[14:15], v24, off
	v_mul_f16_e32 v24, s8, v18
	global_store_short v[14:15], v24, off offset:32
	v_mul_f16_e32 v24, s8, v17
	global_store_short v[14:15], v24, off offset:64
	v_mul_f16_e32 v24, s8, v16
	global_store_short v[14:15], v24, off offset:96
	v_add_co_u32_e32 v14, vcc, s2, v14
	v_mul_f16_e32 v24, s8, v13
	v_addc_co_u32_e32 v15, vcc, v15, v25, vcc
	global_store_short v[14:15], v24, off
	v_mul_f16_e32 v24, s8, v12
	global_store_short v[14:15], v24, off offset:32
	v_mul_f16_e32 v24, s8, v11
	global_store_short v[14:15], v24, off offset:64
	v_mul_f16_e32 v24, s8, v10
	global_store_short v[14:15], v24, off offset:96
	;; [unrolled: 10-line block ×3, first 2 shown]
	s_cbranch_execnz .LBB150_7
.LBB150_6:
	s_lshl_b64 s[2:3], s[16:17], 1
	s_add_u32 s6, s12, s2
	s_addc_u32 s7, s13, s3
	v_mul_lo_u32 v7, v7, s14
	v_mul_lo_u32 v24, v4, s15
	v_mad_u64_u32 v[14:15], s[2:3], v4, s14, 0
	v_add3_u32 v15, v15, v24, v7
	v_lshlrev_b64 v[14:15], 1, v[14:15]
	v_mov_b32_e32 v7, s7
	v_add_co_u32_e32 v14, vcc, s6, v14
	v_addc_co_u32_e32 v7, vcc, v7, v15, vcc
	v_add_co_u32_e32 v14, vcc, v14, v2
	v_addc_co_u32_e32 v15, vcc, v7, v3, vcc
	global_load_ushort v7, v[14:15], off
	v_mad_u64_u32 v[24:25], s[2:3], v4, s0, 0
	v_add3_u32 v25, v25, v6, v5
	v_lshlrev_b64 v[4:5], 1, v[24:25]
	v_mov_b32_e32 v26, s5
	v_add_co_u32_e32 v4, vcc, s4, v4
	v_addc_co_u32_e32 v5, vcc, v26, v5, vcc
	v_add_co_u32_e32 v2, vcc, v4, v2
	v_addc_co_u32_e32 v3, vcc, v5, v3, vcc
	s_lshl_b64 s[2:3], s[14:15], 5
	s_lshl_b64 s[0:1], s[0:1], 5
	s_waitcnt vmcnt(0)
	v_mul_f16_e32 v4, s9, v7
	v_fma_f16 v4, v23, s8, v4
	global_store_short v[2:3], v4, off
	global_load_ushort v4, v[14:15], off offset:32
	v_mov_b32_e32 v7, s3
	s_waitcnt vmcnt(0)
	v_mul_f16_e32 v4, s9, v4
	v_fma_f16 v4, v22, s8, v4
	global_store_short v[2:3], v4, off offset:32
	global_load_ushort v4, v[14:15], off offset:64
	s_waitcnt vmcnt(0)
	v_mul_f16_e32 v4, s9, v4
	v_fma_f16 v4, v21, s8, v4
	global_store_short v[2:3], v4, off offset:64
	global_load_ushort v6, v[14:15], off offset:96
	v_add_co_u32_e32 v4, vcc, s2, v14
	v_addc_co_u32_e32 v5, vcc, v15, v7, vcc
	v_mov_b32_e32 v14, s1
	s_waitcnt vmcnt(0)
	v_mul_f16_e32 v6, s9, v6
	v_fma_f16 v6, v20, s8, v6
	global_store_short v[2:3], v6, off offset:96
	global_load_ushort v6, v[4:5], off
	v_add_co_u32_e32 v2, vcc, s0, v2
	v_addc_co_u32_e32 v3, vcc, v3, v14, vcc
	s_waitcnt vmcnt(0)
	v_mul_f16_e32 v6, s9, v6
	v_fma_f16 v6, v19, s8, v6
	global_store_short v[2:3], v6, off
	global_load_ushort v6, v[4:5], off offset:32
	s_waitcnt vmcnt(0)
	v_mul_f16_e32 v6, s9, v6
	v_fma_f16 v6, v18, s8, v6
	global_store_short v[2:3], v6, off offset:32
	global_load_ushort v6, v[4:5], off offset:64
	s_waitcnt vmcnt(0)
	v_mul_f16_e32 v6, s9, v6
	v_fma_f16 v6, v17, s8, v6
	global_store_short v[2:3], v6, off offset:64
	global_load_ushort v6, v[4:5], off offset:96
	v_add_co_u32_e32 v4, vcc, s2, v4
	v_addc_co_u32_e32 v5, vcc, v5, v7, vcc
	s_waitcnt vmcnt(0)
	v_mul_f16_e32 v6, s9, v6
	v_fma_f16 v6, v16, s8, v6
	global_store_short v[2:3], v6, off offset:96
	global_load_ushort v6, v[4:5], off
	v_add_co_u32_e32 v2, vcc, s0, v2
	v_addc_co_u32_e32 v3, vcc, v3, v14, vcc
	s_waitcnt vmcnt(0)
	v_mul_f16_e32 v6, s9, v6
	v_fma_f16 v6, v13, s8, v6
	global_store_short v[2:3], v6, off
	global_load_ushort v6, v[4:5], off offset:32
	s_waitcnt vmcnt(0)
	v_mul_f16_e32 v6, s9, v6
	v_fma_f16 v6, v12, s8, v6
	global_store_short v[2:3], v6, off offset:32
	global_load_ushort v6, v[4:5], off offset:64
	s_waitcnt vmcnt(0)
	v_mul_f16_e32 v6, s9, v6
	v_fma_f16 v6, v11, s8, v6
	global_store_short v[2:3], v6, off offset:64
	global_load_ushort v6, v[4:5], off offset:96
	v_add_co_u32_e32 v4, vcc, s2, v4
	v_addc_co_u32_e32 v5, vcc, v5, v7, vcc
	s_waitcnt vmcnt(0)
	v_mul_f16_e32 v6, s9, v6
	v_fma_f16 v6, v10, s8, v6
	global_store_short v[2:3], v6, off offset:96
	global_load_ushort v6, v[4:5], off
	v_add_co_u32_e32 v2, vcc, s0, v2
	v_addc_co_u32_e32 v3, vcc, v3, v14, vcc
	s_waitcnt vmcnt(0)
	v_mul_f16_e32 v6, s9, v6
	v_fma_f16 v6, v9, s8, v6
	global_store_short v[2:3], v6, off
	global_load_ushort v6, v[4:5], off offset:32
	s_waitcnt vmcnt(0)
	v_mul_f16_e32 v6, s9, v6
	v_fma_f16 v6, v8, s8, v6
	global_store_short v[2:3], v6, off offset:32
	global_load_ushort v6, v[4:5], off offset:64
	s_waitcnt vmcnt(0)
	v_mul_f16_e32 v6, s9, v6
	v_fma_f16 v0, v0, s8, v6
	global_store_short v[2:3], v0, off offset:64
	;; [unrolled: 5-line block ×3, first 2 shown]
.LBB150_7:
	s_endpgm
.LBB150_8:
	s_branch .LBB150_6
	.section	.rodata,"a",@progbits
	.p2align	6, 0x0
	.amdhsa_kernel _ZN12_GLOBAL__N_127rocblas_gemm_batched_kernelIDF16_Li16ELi16ELi64ELi64ELi4ELi64ELi4ELi4ELi64ELc84ELc84EKPKDF16_S3_KPDF16_EEvlllT_PT11_llS8_llS6_PT12_llPT13_lli
		.amdhsa_group_segment_fixed_size 1024
		.amdhsa_private_segment_fixed_size 0
		.amdhsa_kernarg_size 140
		.amdhsa_user_sgpr_count 6
		.amdhsa_user_sgpr_private_segment_buffer 1
		.amdhsa_user_sgpr_dispatch_ptr 0
		.amdhsa_user_sgpr_queue_ptr 0
		.amdhsa_user_sgpr_kernarg_segment_ptr 1
		.amdhsa_user_sgpr_dispatch_id 0
		.amdhsa_user_sgpr_flat_scratch_init 0
		.amdhsa_user_sgpr_kernarg_preload_length 0
		.amdhsa_user_sgpr_kernarg_preload_offset 0
		.amdhsa_user_sgpr_private_segment_size 0
		.amdhsa_uses_dynamic_stack 0
		.amdhsa_system_sgpr_private_segment_wavefront_offset 0
		.amdhsa_system_sgpr_workgroup_id_x 1
		.amdhsa_system_sgpr_workgroup_id_y 1
		.amdhsa_system_sgpr_workgroup_id_z 1
		.amdhsa_system_sgpr_workgroup_info 0
		.amdhsa_system_vgpr_workitem_id 1
		.amdhsa_next_free_vgpr 58
		.amdhsa_next_free_sgpr 36
		.amdhsa_accum_offset 60
		.amdhsa_reserve_vcc 1
		.amdhsa_reserve_flat_scratch 0
		.amdhsa_float_round_mode_32 0
		.amdhsa_float_round_mode_16_64 0
		.amdhsa_float_denorm_mode_32 3
		.amdhsa_float_denorm_mode_16_64 3
		.amdhsa_dx10_clamp 1
		.amdhsa_ieee_mode 1
		.amdhsa_fp16_overflow 0
		.amdhsa_tg_split 0
		.amdhsa_exception_fp_ieee_invalid_op 0
		.amdhsa_exception_fp_denorm_src 0
		.amdhsa_exception_fp_ieee_div_zero 0
		.amdhsa_exception_fp_ieee_overflow 0
		.amdhsa_exception_fp_ieee_underflow 0
		.amdhsa_exception_fp_ieee_inexact 0
		.amdhsa_exception_int_div_zero 0
	.end_amdhsa_kernel
	.section	.text._ZN12_GLOBAL__N_127rocblas_gemm_batched_kernelIDF16_Li16ELi16ELi64ELi64ELi4ELi64ELi4ELi4ELi64ELc84ELc84EKPKDF16_S3_KPDF16_EEvlllT_PT11_llS8_llS6_PT12_llPT13_lli,"axG",@progbits,_ZN12_GLOBAL__N_127rocblas_gemm_batched_kernelIDF16_Li16ELi16ELi64ELi64ELi4ELi64ELi4ELi4ELi64ELc84ELc84EKPKDF16_S3_KPDF16_EEvlllT_PT11_llS8_llS6_PT12_llPT13_lli,comdat
.Lfunc_end150:
	.size	_ZN12_GLOBAL__N_127rocblas_gemm_batched_kernelIDF16_Li16ELi16ELi64ELi64ELi4ELi64ELi4ELi4ELi64ELc84ELc84EKPKDF16_S3_KPDF16_EEvlllT_PT11_llS8_llS6_PT12_llPT13_lli, .Lfunc_end150-_ZN12_GLOBAL__N_127rocblas_gemm_batched_kernelIDF16_Li16ELi16ELi64ELi64ELi4ELi64ELi4ELi4ELi64ELc84ELc84EKPKDF16_S3_KPDF16_EEvlllT_PT11_llS8_llS6_PT12_llPT13_lli
                                        ; -- End function
	.section	.AMDGPU.csdata,"",@progbits
; Kernel info:
; codeLenInByte = 2472
; NumSgprs: 40
; NumVgprs: 58
; NumAgprs: 0
; TotalNumVgprs: 58
; ScratchSize: 0
; MemoryBound: 0
; FloatMode: 240
; IeeeMode: 1
; LDSByteSize: 1024 bytes/workgroup (compile time only)
; SGPRBlocks: 4
; VGPRBlocks: 7
; NumSGPRsForWavesPerEU: 40
; NumVGPRsForWavesPerEU: 58
; AccumOffset: 60
; Occupancy: 8
; WaveLimiterHint : 1
; COMPUTE_PGM_RSRC2:SCRATCH_EN: 0
; COMPUTE_PGM_RSRC2:USER_SGPR: 6
; COMPUTE_PGM_RSRC2:TRAP_HANDLER: 0
; COMPUTE_PGM_RSRC2:TGID_X_EN: 1
; COMPUTE_PGM_RSRC2:TGID_Y_EN: 1
; COMPUTE_PGM_RSRC2:TGID_Z_EN: 1
; COMPUTE_PGM_RSRC2:TIDIG_COMP_CNT: 1
; COMPUTE_PGM_RSRC3_GFX90A:ACCUM_OFFSET: 14
; COMPUTE_PGM_RSRC3_GFX90A:TG_SPLIT: 0
	.section	.text._ZN12_GLOBAL__N_127rocblas_gemm_batched_kernelIDF16_Li16ELi16ELi64ELi64ELi4ELi64ELi4ELi4ELi64ELc67ELc67EKPKDF16_S3_KPDF16_EEvlllT_PT11_llS8_llS6_PT12_llPT13_lli,"axG",@progbits,_ZN12_GLOBAL__N_127rocblas_gemm_batched_kernelIDF16_Li16ELi16ELi64ELi64ELi4ELi64ELi4ELi4ELi64ELc67ELc67EKPKDF16_S3_KPDF16_EEvlllT_PT11_llS8_llS6_PT12_llPT13_lli,comdat
	.globl	_ZN12_GLOBAL__N_127rocblas_gemm_batched_kernelIDF16_Li16ELi16ELi64ELi64ELi4ELi64ELi4ELi4ELi64ELc67ELc67EKPKDF16_S3_KPDF16_EEvlllT_PT11_llS8_llS6_PT12_llPT13_lli ; -- Begin function _ZN12_GLOBAL__N_127rocblas_gemm_batched_kernelIDF16_Li16ELi16ELi64ELi64ELi4ELi64ELi4ELi4ELi64ELc67ELc67EKPKDF16_S3_KPDF16_EEvlllT_PT11_llS8_llS6_PT12_llPT13_lli
	.p2align	8
	.type	_ZN12_GLOBAL__N_127rocblas_gemm_batched_kernelIDF16_Li16ELi16ELi64ELi64ELi4ELi64ELi4ELi4ELi64ELc67ELc67EKPKDF16_S3_KPDF16_EEvlllT_PT11_llS8_llS6_PT12_llPT13_lli,@function
_ZN12_GLOBAL__N_127rocblas_gemm_batched_kernelIDF16_Li16ELi16ELi64ELi64ELi4ELi64ELi4ELi4ELi64ELc67ELc67EKPKDF16_S3_KPDF16_EEvlllT_PT11_llS8_llS6_PT12_llPT13_lli: ; @_ZN12_GLOBAL__N_127rocblas_gemm_batched_kernelIDF16_Li16ELi16ELi64ELi64ELi4ELi64ELi4ELi4ELi64ELc67ELc67EKPKDF16_S3_KPDF16_EEvlllT_PT11_llS8_llS6_PT12_llPT13_lli
; %bb.0:
	s_load_dwordx2 s[30:31], s[4:5], 0x10
	s_load_dwordx4 s[0:3], s[4:5], 0x78
	s_load_dwordx8 s[12:19], s[4:5], 0x58
	s_mov_b32 s9, 0
	s_lshl_b64 s[34:35], s[8:9], 3
	s_mov_b32 s10, s7
	v_bfe_u32 v15, v0, 10, 10
	s_waitcnt lgkmcnt(0)
	s_add_u32 s8, s12, s34
	s_addc_u32 s9, s13, s35
	s_load_dwordx2 s[12:13], s[8:9], 0x0
	s_add_u32 s8, s18, s34
	s_addc_u32 s9, s19, s35
	s_load_dwordx2 s[18:19], s[8:9], 0x0
	s_ashr_i32 s7, s6, 31
	s_ashr_i32 s11, s10, 31
	v_cmp_lt_i64_e64 s[8:9], s[30:31], 1
	v_and_b32_e32 v14, 0x3ff, v0
	s_lshl_b64 s[6:7], s[6:7], 6
	s_lshl_b64 s[28:29], s[10:11], 6
	s_and_b64 vcc, exec, s[8:9]
	s_cbranch_vccnz .LBB151_3
; %bb.1:
	s_load_dwordx8 s[20:27], s[4:5], 0x20
	s_load_dwordx4 s[8:11], s[4:5], 0x40
	v_lshl_add_u32 v2, v15, 4, v14
	v_and_b32_e32 v6, 63, v2
	v_lshrrev_b32_e32 v0, 2, v2
	s_waitcnt lgkmcnt(0)
	s_add_u32 s20, s20, s34
	s_addc_u32 s21, s21, s35
	v_and_b32_e32 v4, 3, v14
	v_lshrrev_b32_e32 v7, 6, v2
	v_lshlrev_b32_e32 v2, 1, v6
	s_add_u32 s26, s26, s34
	v_lshl_or_b32 v24, v7, 7, v2
	v_lshlrev_b32_e32 v2, 1, v4
	s_addc_u32 s27, s27, s35
	v_lshl_or_b32 v2, v0, 3, v2
	s_load_dwordx2 s[26:27], s[26:27], 0x0
	v_mov_b32_e32 v1, 0
	v_add_u32_e32 v25, 0x200, v2
	v_mov_b32_e32 v2, 0x200
	v_lshl_add_u32 v27, v15, 3, v2
	v_mad_u64_u32 v[2:3], s[34:35], v4, s8, v[0:1]
	v_mov_b32_e32 v0, v3
	v_mad_u64_u32 v[4:5], s[34:35], v4, s9, v[0:1]
	s_lshl_b64 s[10:11], s[10:11], 1
	v_mov_b32_e32 v3, v4
	v_mov_b32_e32 v0, s29
	v_add_co_u32_e32 v2, vcc, s28, v2
	v_addc_co_u32_e32 v3, vcc, v3, v0, vcc
	s_waitcnt lgkmcnt(0)
	s_add_u32 s10, s26, s10
	v_lshlrev_b64 v[2:3], 1, v[2:3]
	s_addc_u32 s11, s27, s11
	v_mov_b32_e32 v0, s11
	v_add_co_u32_e32 v2, vcc, s10, v2
	v_addc_co_u32_e32 v3, vcc, v0, v3, vcc
	v_mov_b32_e32 v0, s7
	v_add_co_u32_e32 v4, vcc, s6, v6
	v_addc_co_u32_e32 v0, vcc, 0, v0, vcc
	v_mul_lo_u32 v6, s23, v4
	v_mul_lo_u32 v0, s22, v0
	v_mad_u64_u32 v[4:5], s[10:11], s22, v4, 0
	v_add3_u32 v5, v5, v0, v6
	s_load_dwordx2 s[20:21], s[20:21], 0x0
	v_lshlrev_b64 v[4:5], 1, v[4:5]
	s_lshl_b64 s[10:11], s[24:25], 1
	v_mov_b32_e32 v0, s11
	v_add_co_u32_e32 v4, vcc, s10, v4
	v_addc_co_u32_e32 v0, vcc, v5, v0, vcc
	v_lshlrev_b32_e32 v5, 1, v7
	v_add_co_u32_e32 v4, vcc, v4, v5
	v_addc_co_u32_e32 v0, vcc, 0, v0, vcc
	s_lshl_b64 s[8:9], s[8:9], 3
	s_waitcnt lgkmcnt(0)
	v_mov_b32_e32 v5, s21
	v_add_co_u32_e32 v4, vcc, s20, v4
	v_lshlrev_b32_e32 v26, 1, v14
	v_addc_co_u32_e32 v5, vcc, v5, v0, vcc
	s_mov_b64 s[10:11], 0
	v_mov_b32_e32 v28, s9
	v_pk_mov_b32 v[6:7], s[30:31], s[30:31] op_sel:[0,1]
	v_mov_b32_e32 v0, v1
	v_mov_b32_e32 v8, v1
	;; [unrolled: 1-line block ×15, first 2 shown]
.LBB151_2:                              ; =>This Inner Loop Header: Depth=1
	global_load_ushort v29, v[4:5], off
	global_load_ushort v30, v[2:3], off
	v_add_co_u32_e32 v2, vcc, s8, v2
	v_addc_co_u32_e32 v3, vcc, v3, v28, vcc
	s_add_u32 s10, s10, 4
	v_add_co_u32_e32 v4, vcc, 8, v4
	v_addc_co_u32_e32 v5, vcc, 0, v5, vcc
	s_addc_u32 s11, s11, 0
	v_cmp_lt_i64_e32 vcc, s[10:11], v[6:7]
	s_and_b64 vcc, exec, vcc
	s_waitcnt vmcnt(1)
	ds_write_b16 v24, v29
	s_waitcnt vmcnt(0)
	ds_write_b16 v25, v30
	s_waitcnt lgkmcnt(0)
	s_barrier
	ds_read2_b64 v[30:33], v27 offset1:16
	ds_read2_b64 v[34:37], v27 offset0:32 offset1:48
	ds_read_u16 v29, v26
	ds_read_u16 v38, v26 offset:32
	ds_read_u16 v39, v26 offset:64
	;; [unrolled: 1-line block ×15, first 2 shown]
	s_waitcnt lgkmcnt(14)
	v_lshrrev_b32_e32 v53, 16, v30
	v_fma_f16 v23, v29, v30, v23
	v_fma_f16 v22, v38, v30, v22
	s_waitcnt lgkmcnt(13)
	v_fma_f16 v21, v39, v30, v21
	s_waitcnt lgkmcnt(12)
	v_fma_f16 v20, v40, v30, v20
	v_lshrrev_b32_e32 v30, 16, v32
	v_fma_f16 v19, v29, v32, v19
	v_fma_f16 v18, v38, v32, v18
	v_fma_f16 v17, v39, v32, v17
	v_fma_f16 v16, v40, v32, v16
	v_lshrrev_b32_e32 v32, 16, v34
	v_fma_f16 v13, v29, v34, v13
	v_fma_f16 v12, v38, v34, v12
	v_fma_f16 v11, v39, v34, v11
	;; [unrolled: 5-line block ×3, first 2 shown]
	v_fma_f16 v1, v40, v36, v1
	s_waitcnt lgkmcnt(11)
	v_fma_f16 v23, v41, v53, v23
	s_waitcnt lgkmcnt(10)
	;; [unrolled: 2-line block ×4, first 2 shown]
	v_fma_f16 v20, v44, v53, v20
	v_fma_f16 v19, v41, v30, v19
	v_fma_f16 v18, v42, v30, v18
	v_fma_f16 v17, v43, v30, v17
	v_fma_f16 v16, v44, v30, v16
	v_fma_f16 v13, v41, v32, v13
	v_fma_f16 v12, v42, v32, v12
	v_fma_f16 v11, v43, v32, v11
	v_fma_f16 v10, v44, v32, v10
	v_fma_f16 v9, v41, v34, v9
	v_fma_f16 v8, v42, v34, v8
	v_fma_f16 v0, v43, v34, v0
	v_fma_f16 v1, v44, v34, v1
	v_lshrrev_b32_e32 v54, 16, v31
	v_lshrrev_b32_e32 v55, 16, v33
	;; [unrolled: 1-line block ×4, first 2 shown]
	s_waitcnt lgkmcnt(7)
	v_fma_f16 v23, v45, v31, v23
	s_waitcnt lgkmcnt(6)
	v_fma_f16 v22, v46, v31, v22
	;; [unrolled: 2-line block ×4, first 2 shown]
	v_fma_f16 v19, v45, v33, v19
	v_fma_f16 v18, v46, v33, v18
	;; [unrolled: 1-line block ×12, first 2 shown]
	s_waitcnt lgkmcnt(3)
	v_fma_f16 v23, v49, v54, v23
	s_waitcnt lgkmcnt(2)
	v_fma_f16 v22, v50, v54, v22
	;; [unrolled: 2-line block ×4, first 2 shown]
	v_fma_f16 v19, v49, v55, v19
	v_fma_f16 v18, v50, v55, v18
	v_fma_f16 v17, v51, v55, v17
	v_fma_f16 v16, v52, v55, v16
	v_fma_f16 v13, v49, v56, v13
	v_fma_f16 v12, v50, v56, v12
	v_fma_f16 v11, v51, v56, v11
	v_fma_f16 v10, v52, v56, v10
	v_fma_f16 v9, v49, v57, v9
	v_fma_f16 v8, v50, v57, v8
	v_fma_f16 v0, v51, v57, v0
	v_fma_f16 v1, v52, v57, v1
	s_barrier
	s_cbranch_vccnz .LBB151_2
	s_branch .LBB151_4
.LBB151_3:
	v_mov_b32_e32 v23, 0
	v_mov_b32_e32 v22, 0
	;; [unrolled: 1-line block ×16, first 2 shown]
.LBB151_4:
	s_load_dword s8, s[4:5], 0x18
	s_load_dword s9, s[4:5], 0x50
	v_mov_b32_e32 v2, s29
	v_add_co_u32_e32 v4, vcc, s28, v15
	s_lshl_b64 s[2:3], s[2:3], 1
	v_addc_co_u32_e32 v7, vcc, 0, v2, vcc
	s_waitcnt lgkmcnt(0)
	s_add_u32 s4, s18, s2
	v_mov_b32_e32 v3, s7
	v_add_co_u32_e32 v2, vcc, s6, v14
	s_addc_u32 s5, s19, s3
	v_cmp_neq_f16_e64 s[2:3], s9, 0
	v_addc_co_u32_e32 v3, vcc, 0, v3, vcc
	s_and_b64 vcc, exec, s[2:3]
	v_mul_lo_u32 v5, v7, s0
	v_mul_lo_u32 v6, v4, s1
	v_lshlrev_b64 v[2:3], 1, v[2:3]
	s_cbranch_vccnz .LBB151_8
; %bb.5:
	v_mad_u64_u32 v[14:15], s[2:3], v4, s0, 0
	v_add3_u32 v15, v15, v6, v5
	v_lshlrev_b64 v[14:15], 1, v[14:15]
	v_mov_b32_e32 v24, s5
	v_add_co_u32_e32 v14, vcc, s4, v14
	v_addc_co_u32_e32 v15, vcc, v24, v15, vcc
	v_add_co_u32_e32 v14, vcc, v14, v2
	v_mul_f16_e32 v24, s8, v23
	v_addc_co_u32_e32 v15, vcc, v15, v3, vcc
	global_store_short v[14:15], v24, off
	v_mul_f16_e32 v24, s8, v22
	global_store_short v[14:15], v24, off offset:32
	v_mul_f16_e32 v24, s8, v21
	global_store_short v[14:15], v24, off offset:64
	v_mul_f16_e32 v24, s8, v20
	s_lshl_b64 s[2:3], s[0:1], 5
	global_store_short v[14:15], v24, off offset:96
	v_mov_b32_e32 v25, s3
	v_add_co_u32_e32 v14, vcc, s2, v14
	v_mul_f16_e32 v24, s8, v19
	v_addc_co_u32_e32 v15, vcc, v15, v25, vcc
	global_store_short v[14:15], v24, off
	v_mul_f16_e32 v24, s8, v18
	global_store_short v[14:15], v24, off offset:32
	v_mul_f16_e32 v24, s8, v17
	global_store_short v[14:15], v24, off offset:64
	v_mul_f16_e32 v24, s8, v16
	global_store_short v[14:15], v24, off offset:96
	v_add_co_u32_e32 v14, vcc, s2, v14
	v_mul_f16_e32 v24, s8, v13
	v_addc_co_u32_e32 v15, vcc, v15, v25, vcc
	global_store_short v[14:15], v24, off
	v_mul_f16_e32 v24, s8, v12
	global_store_short v[14:15], v24, off offset:32
	v_mul_f16_e32 v24, s8, v11
	global_store_short v[14:15], v24, off offset:64
	v_mul_f16_e32 v24, s8, v10
	global_store_short v[14:15], v24, off offset:96
	;; [unrolled: 10-line block ×3, first 2 shown]
	s_cbranch_execnz .LBB151_7
.LBB151_6:
	s_lshl_b64 s[2:3], s[16:17], 1
	s_add_u32 s6, s12, s2
	s_addc_u32 s7, s13, s3
	v_mul_lo_u32 v7, v7, s14
	v_mul_lo_u32 v24, v4, s15
	v_mad_u64_u32 v[14:15], s[2:3], v4, s14, 0
	v_add3_u32 v15, v15, v24, v7
	v_lshlrev_b64 v[14:15], 1, v[14:15]
	v_mov_b32_e32 v7, s7
	v_add_co_u32_e32 v14, vcc, s6, v14
	v_addc_co_u32_e32 v7, vcc, v7, v15, vcc
	v_add_co_u32_e32 v14, vcc, v14, v2
	v_addc_co_u32_e32 v15, vcc, v7, v3, vcc
	global_load_ushort v7, v[14:15], off
	v_mad_u64_u32 v[24:25], s[2:3], v4, s0, 0
	v_add3_u32 v25, v25, v6, v5
	v_lshlrev_b64 v[4:5], 1, v[24:25]
	v_mov_b32_e32 v26, s5
	v_add_co_u32_e32 v4, vcc, s4, v4
	v_addc_co_u32_e32 v5, vcc, v26, v5, vcc
	v_add_co_u32_e32 v2, vcc, v4, v2
	v_addc_co_u32_e32 v3, vcc, v5, v3, vcc
	s_lshl_b64 s[2:3], s[14:15], 5
	s_lshl_b64 s[0:1], s[0:1], 5
	s_waitcnt vmcnt(0)
	v_mul_f16_e32 v4, s9, v7
	v_fma_f16 v4, v23, s8, v4
	global_store_short v[2:3], v4, off
	global_load_ushort v4, v[14:15], off offset:32
	v_mov_b32_e32 v7, s3
	s_waitcnt vmcnt(0)
	v_mul_f16_e32 v4, s9, v4
	v_fma_f16 v4, v22, s8, v4
	global_store_short v[2:3], v4, off offset:32
	global_load_ushort v4, v[14:15], off offset:64
	s_waitcnt vmcnt(0)
	v_mul_f16_e32 v4, s9, v4
	v_fma_f16 v4, v21, s8, v4
	global_store_short v[2:3], v4, off offset:64
	global_load_ushort v6, v[14:15], off offset:96
	v_add_co_u32_e32 v4, vcc, s2, v14
	v_addc_co_u32_e32 v5, vcc, v15, v7, vcc
	v_mov_b32_e32 v14, s1
	s_waitcnt vmcnt(0)
	v_mul_f16_e32 v6, s9, v6
	v_fma_f16 v6, v20, s8, v6
	global_store_short v[2:3], v6, off offset:96
	global_load_ushort v6, v[4:5], off
	v_add_co_u32_e32 v2, vcc, s0, v2
	v_addc_co_u32_e32 v3, vcc, v3, v14, vcc
	s_waitcnt vmcnt(0)
	v_mul_f16_e32 v6, s9, v6
	v_fma_f16 v6, v19, s8, v6
	global_store_short v[2:3], v6, off
	global_load_ushort v6, v[4:5], off offset:32
	s_waitcnt vmcnt(0)
	v_mul_f16_e32 v6, s9, v6
	v_fma_f16 v6, v18, s8, v6
	global_store_short v[2:3], v6, off offset:32
	global_load_ushort v6, v[4:5], off offset:64
	s_waitcnt vmcnt(0)
	v_mul_f16_e32 v6, s9, v6
	v_fma_f16 v6, v17, s8, v6
	global_store_short v[2:3], v6, off offset:64
	global_load_ushort v6, v[4:5], off offset:96
	v_add_co_u32_e32 v4, vcc, s2, v4
	v_addc_co_u32_e32 v5, vcc, v5, v7, vcc
	s_waitcnt vmcnt(0)
	v_mul_f16_e32 v6, s9, v6
	v_fma_f16 v6, v16, s8, v6
	global_store_short v[2:3], v6, off offset:96
	global_load_ushort v6, v[4:5], off
	v_add_co_u32_e32 v2, vcc, s0, v2
	v_addc_co_u32_e32 v3, vcc, v3, v14, vcc
	s_waitcnt vmcnt(0)
	v_mul_f16_e32 v6, s9, v6
	v_fma_f16 v6, v13, s8, v6
	global_store_short v[2:3], v6, off
	global_load_ushort v6, v[4:5], off offset:32
	s_waitcnt vmcnt(0)
	v_mul_f16_e32 v6, s9, v6
	v_fma_f16 v6, v12, s8, v6
	global_store_short v[2:3], v6, off offset:32
	global_load_ushort v6, v[4:5], off offset:64
	s_waitcnt vmcnt(0)
	v_mul_f16_e32 v6, s9, v6
	v_fma_f16 v6, v11, s8, v6
	global_store_short v[2:3], v6, off offset:64
	global_load_ushort v6, v[4:5], off offset:96
	v_add_co_u32_e32 v4, vcc, s2, v4
	v_addc_co_u32_e32 v5, vcc, v5, v7, vcc
	s_waitcnt vmcnt(0)
	v_mul_f16_e32 v6, s9, v6
	v_fma_f16 v6, v10, s8, v6
	global_store_short v[2:3], v6, off offset:96
	global_load_ushort v6, v[4:5], off
	v_add_co_u32_e32 v2, vcc, s0, v2
	v_addc_co_u32_e32 v3, vcc, v3, v14, vcc
	s_waitcnt vmcnt(0)
	v_mul_f16_e32 v6, s9, v6
	v_fma_f16 v6, v9, s8, v6
	global_store_short v[2:3], v6, off
	global_load_ushort v6, v[4:5], off offset:32
	s_waitcnt vmcnt(0)
	v_mul_f16_e32 v6, s9, v6
	v_fma_f16 v6, v8, s8, v6
	global_store_short v[2:3], v6, off offset:32
	global_load_ushort v6, v[4:5], off offset:64
	s_waitcnt vmcnt(0)
	v_mul_f16_e32 v6, s9, v6
	v_fma_f16 v0, v0, s8, v6
	global_store_short v[2:3], v0, off offset:64
	;; [unrolled: 5-line block ×3, first 2 shown]
.LBB151_7:
	s_endpgm
.LBB151_8:
	s_branch .LBB151_6
	.section	.rodata,"a",@progbits
	.p2align	6, 0x0
	.amdhsa_kernel _ZN12_GLOBAL__N_127rocblas_gemm_batched_kernelIDF16_Li16ELi16ELi64ELi64ELi4ELi64ELi4ELi4ELi64ELc67ELc67EKPKDF16_S3_KPDF16_EEvlllT_PT11_llS8_llS6_PT12_llPT13_lli
		.amdhsa_group_segment_fixed_size 1024
		.amdhsa_private_segment_fixed_size 0
		.amdhsa_kernarg_size 140
		.amdhsa_user_sgpr_count 6
		.amdhsa_user_sgpr_private_segment_buffer 1
		.amdhsa_user_sgpr_dispatch_ptr 0
		.amdhsa_user_sgpr_queue_ptr 0
		.amdhsa_user_sgpr_kernarg_segment_ptr 1
		.amdhsa_user_sgpr_dispatch_id 0
		.amdhsa_user_sgpr_flat_scratch_init 0
		.amdhsa_user_sgpr_kernarg_preload_length 0
		.amdhsa_user_sgpr_kernarg_preload_offset 0
		.amdhsa_user_sgpr_private_segment_size 0
		.amdhsa_uses_dynamic_stack 0
		.amdhsa_system_sgpr_private_segment_wavefront_offset 0
		.amdhsa_system_sgpr_workgroup_id_x 1
		.amdhsa_system_sgpr_workgroup_id_y 1
		.amdhsa_system_sgpr_workgroup_id_z 1
		.amdhsa_system_sgpr_workgroup_info 0
		.amdhsa_system_vgpr_workitem_id 1
		.amdhsa_next_free_vgpr 58
		.amdhsa_next_free_sgpr 36
		.amdhsa_accum_offset 60
		.amdhsa_reserve_vcc 1
		.amdhsa_reserve_flat_scratch 0
		.amdhsa_float_round_mode_32 0
		.amdhsa_float_round_mode_16_64 0
		.amdhsa_float_denorm_mode_32 3
		.amdhsa_float_denorm_mode_16_64 3
		.amdhsa_dx10_clamp 1
		.amdhsa_ieee_mode 1
		.amdhsa_fp16_overflow 0
		.amdhsa_tg_split 0
		.amdhsa_exception_fp_ieee_invalid_op 0
		.amdhsa_exception_fp_denorm_src 0
		.amdhsa_exception_fp_ieee_div_zero 0
		.amdhsa_exception_fp_ieee_overflow 0
		.amdhsa_exception_fp_ieee_underflow 0
		.amdhsa_exception_fp_ieee_inexact 0
		.amdhsa_exception_int_div_zero 0
	.end_amdhsa_kernel
	.section	.text._ZN12_GLOBAL__N_127rocblas_gemm_batched_kernelIDF16_Li16ELi16ELi64ELi64ELi4ELi64ELi4ELi4ELi64ELc67ELc67EKPKDF16_S3_KPDF16_EEvlllT_PT11_llS8_llS6_PT12_llPT13_lli,"axG",@progbits,_ZN12_GLOBAL__N_127rocblas_gemm_batched_kernelIDF16_Li16ELi16ELi64ELi64ELi4ELi64ELi4ELi4ELi64ELc67ELc67EKPKDF16_S3_KPDF16_EEvlllT_PT11_llS8_llS6_PT12_llPT13_lli,comdat
.Lfunc_end151:
	.size	_ZN12_GLOBAL__N_127rocblas_gemm_batched_kernelIDF16_Li16ELi16ELi64ELi64ELi4ELi64ELi4ELi4ELi64ELc67ELc67EKPKDF16_S3_KPDF16_EEvlllT_PT11_llS8_llS6_PT12_llPT13_lli, .Lfunc_end151-_ZN12_GLOBAL__N_127rocblas_gemm_batched_kernelIDF16_Li16ELi16ELi64ELi64ELi4ELi64ELi4ELi4ELi64ELc67ELc67EKPKDF16_S3_KPDF16_EEvlllT_PT11_llS8_llS6_PT12_llPT13_lli
                                        ; -- End function
	.section	.AMDGPU.csdata,"",@progbits
; Kernel info:
; codeLenInByte = 2472
; NumSgprs: 40
; NumVgprs: 58
; NumAgprs: 0
; TotalNumVgprs: 58
; ScratchSize: 0
; MemoryBound: 0
; FloatMode: 240
; IeeeMode: 1
; LDSByteSize: 1024 bytes/workgroup (compile time only)
; SGPRBlocks: 4
; VGPRBlocks: 7
; NumSGPRsForWavesPerEU: 40
; NumVGPRsForWavesPerEU: 58
; AccumOffset: 60
; Occupancy: 8
; WaveLimiterHint : 1
; COMPUTE_PGM_RSRC2:SCRATCH_EN: 0
; COMPUTE_PGM_RSRC2:USER_SGPR: 6
; COMPUTE_PGM_RSRC2:TRAP_HANDLER: 0
; COMPUTE_PGM_RSRC2:TGID_X_EN: 1
; COMPUTE_PGM_RSRC2:TGID_Y_EN: 1
; COMPUTE_PGM_RSRC2:TGID_Z_EN: 1
; COMPUTE_PGM_RSRC2:TIDIG_COMP_CNT: 1
; COMPUTE_PGM_RSRC3_GFX90A:ACCUM_OFFSET: 14
; COMPUTE_PGM_RSRC3_GFX90A:TG_SPLIT: 0
	.section	.text._ZN12_GLOBAL__N_127rocblas_gemm_batched_kernelIDF16_Li16ELi16ELi64ELi64ELi4ELi64ELi4ELi4ELi64ELc67ELc78EKPKDF16_S3_KPDF16_EEvlllT_PT11_llS8_llS6_PT12_llPT13_lli,"axG",@progbits,_ZN12_GLOBAL__N_127rocblas_gemm_batched_kernelIDF16_Li16ELi16ELi64ELi64ELi4ELi64ELi4ELi4ELi64ELc67ELc78EKPKDF16_S3_KPDF16_EEvlllT_PT11_llS8_llS6_PT12_llPT13_lli,comdat
	.globl	_ZN12_GLOBAL__N_127rocblas_gemm_batched_kernelIDF16_Li16ELi16ELi64ELi64ELi4ELi64ELi4ELi4ELi64ELc67ELc78EKPKDF16_S3_KPDF16_EEvlllT_PT11_llS8_llS6_PT12_llPT13_lli ; -- Begin function _ZN12_GLOBAL__N_127rocblas_gemm_batched_kernelIDF16_Li16ELi16ELi64ELi64ELi4ELi64ELi4ELi4ELi64ELc67ELc78EKPKDF16_S3_KPDF16_EEvlllT_PT11_llS8_llS6_PT12_llPT13_lli
	.p2align	8
	.type	_ZN12_GLOBAL__N_127rocblas_gemm_batched_kernelIDF16_Li16ELi16ELi64ELi64ELi4ELi64ELi4ELi4ELi64ELc67ELc78EKPKDF16_S3_KPDF16_EEvlllT_PT11_llS8_llS6_PT12_llPT13_lli,@function
_ZN12_GLOBAL__N_127rocblas_gemm_batched_kernelIDF16_Li16ELi16ELi64ELi64ELi4ELi64ELi4ELi4ELi64ELc67ELc78EKPKDF16_S3_KPDF16_EEvlllT_PT11_llS8_llS6_PT12_llPT13_lli: ; @_ZN12_GLOBAL__N_127rocblas_gemm_batched_kernelIDF16_Li16ELi16ELi64ELi64ELi4ELi64ELi4ELi4ELi64ELc67ELc78EKPKDF16_S3_KPDF16_EEvlllT_PT11_llS8_llS6_PT12_llPT13_lli
; %bb.0:
	s_load_dwordx2 s[30:31], s[4:5], 0x10
	s_load_dwordx4 s[0:3], s[4:5], 0x78
	s_load_dwordx8 s[12:19], s[4:5], 0x58
	s_mov_b32 s9, 0
	s_lshl_b64 s[34:35], s[8:9], 3
	s_mov_b32 s10, s7
	v_bfe_u32 v16, v0, 10, 10
	s_waitcnt lgkmcnt(0)
	s_add_u32 s8, s12, s34
	s_addc_u32 s9, s13, s35
	s_load_dwordx2 s[12:13], s[8:9], 0x0
	s_add_u32 s8, s18, s34
	s_addc_u32 s9, s19, s35
	s_load_dwordx2 s[18:19], s[8:9], 0x0
	s_ashr_i32 s7, s6, 31
	s_ashr_i32 s11, s10, 31
	v_cmp_lt_i64_e64 s[8:9], s[30:31], 1
	v_and_b32_e32 v14, 0x3ff, v0
	s_lshl_b64 s[6:7], s[6:7], 6
	s_lshl_b64 s[28:29], s[10:11], 6
	s_and_b64 vcc, exec, s[8:9]
	s_cbranch_vccnz .LBB152_3
; %bb.1:
	s_load_dwordx8 s[20:27], s[4:5], 0x20
	s_load_dwordx4 s[8:11], s[4:5], 0x40
	v_lshl_add_u32 v0, v16, 4, v14
	v_and_b32_e32 v4, 3, v14
	v_and_b32_e32 v5, 63, v0
	v_lshrrev_b32_e32 v1, 2, v0
	v_lshrrev_b32_e32 v6, 6, v0
	v_lshlrev_b32_e32 v0, 1, v5
	v_lshlrev_b32_e32 v4, 1, v4
	s_waitcnt lgkmcnt(0)
	s_add_u32 s20, s20, s34
	v_mov_b32_e32 v2, s29
	v_add_co_u32_e32 v3, vcc, s28, v1
	v_lshl_or_b32 v24, v6, 7, v0
	v_lshl_or_b32 v0, v1, 3, v4
	s_addc_u32 s21, s21, s35
	v_addc_co_u32_e32 v2, vcc, 0, v2, vcc
	v_add_u32_e32 v25, 0x200, v0
	v_mov_b32_e32 v0, 0x200
	s_add_u32 s26, s26, s34
	v_lshl_add_u32 v27, v16, 3, v0
	v_mul_lo_u32 v7, s9, v3
	v_mul_lo_u32 v2, s8, v2
	v_mad_u64_u32 v[0:1], s[8:9], s8, v3, 0
	s_addc_u32 s27, s27, s35
	v_add3_u32 v1, v1, v2, v7
	s_load_dwordx2 s[26:27], s[26:27], 0x0
	v_lshlrev_b64 v[0:1], 1, v[0:1]
	s_lshl_b64 s[8:9], s[10:11], 1
	v_mov_b32_e32 v2, s9
	v_add_co_u32_e32 v0, vcc, s8, v0
	v_addc_co_u32_e32 v1, vcc, v1, v2, vcc
	v_add_co_u32_e32 v0, vcc, v0, v4
	v_addc_co_u32_e32 v1, vcc, 0, v1, vcc
	s_waitcnt lgkmcnt(0)
	v_mov_b32_e32 v2, s27
	v_add_co_u32_e32 v0, vcc, s26, v0
	v_addc_co_u32_e32 v1, vcc, v2, v1, vcc
	v_mov_b32_e32 v2, s7
	v_add_co_u32_e32 v3, vcc, s6, v5
	v_addc_co_u32_e32 v2, vcc, 0, v2, vcc
	v_mul_lo_u32 v4, s23, v3
	v_mul_lo_u32 v5, s22, v2
	v_mad_u64_u32 v[2:3], s[8:9], s22, v3, 0
	v_add3_u32 v3, v3, v5, v4
	s_load_dwordx2 s[20:21], s[20:21], 0x0
	v_lshlrev_b64 v[2:3], 1, v[2:3]
	s_lshl_b64 s[8:9], s[24:25], 1
	v_mov_b32_e32 v4, s9
	v_add_co_u32_e32 v2, vcc, s8, v2
	v_addc_co_u32_e32 v3, vcc, v3, v4, vcc
	v_lshlrev_b32_e32 v4, 1, v6
	v_add_co_u32_e32 v2, vcc, v2, v4
	v_addc_co_u32_e32 v3, vcc, 0, v3, vcc
	s_waitcnt lgkmcnt(0)
	v_mov_b32_e32 v4, s21
	v_add_co_u32_e32 v2, vcc, s20, v2
	v_lshlrev_b32_e32 v26, 1, v14
	v_addc_co_u32_e32 v3, vcc, v4, v3, vcc
	s_mov_b64 s[8:9], 0
	v_mov_b32_e32 v6, 0
	v_pk_mov_b32 v[4:5], s[30:31], s[30:31] op_sel:[0,1]
	v_mov_b32_e32 v7, 0
	v_mov_b32_e32 v8, 0
	;; [unrolled: 1-line block ×15, first 2 shown]
.LBB152_2:                              ; =>This Inner Loop Header: Depth=1
	global_load_ushort v28, v[2:3], off
	global_load_ushort v29, v[0:1], off
	v_add_co_u32_e32 v0, vcc, 8, v0
	v_addc_co_u32_e32 v1, vcc, 0, v1, vcc
	s_add_u32 s8, s8, 4
	v_add_co_u32_e32 v2, vcc, 8, v2
	v_addc_co_u32_e32 v3, vcc, 0, v3, vcc
	s_addc_u32 s9, s9, 0
	v_cmp_lt_i64_e32 vcc, s[8:9], v[4:5]
	s_and_b64 vcc, exec, vcc
	s_waitcnt vmcnt(1)
	ds_write_b16 v24, v28
	s_waitcnt vmcnt(0)
	ds_write_b16 v25, v29
	s_waitcnt lgkmcnt(0)
	s_barrier
	ds_read2_b64 v[28:31], v27 offset1:16
	ds_read2_b64 v[32:35], v27 offset0:32 offset1:48
	ds_read_u16 v36, v26
	ds_read_u16 v37, v26 offset:32
	ds_read_u16 v38, v26 offset:64
	;; [unrolled: 1-line block ×15, first 2 shown]
	s_waitcnt lgkmcnt(14)
	v_lshrrev_b32_e32 v52, 16, v28
	v_fma_f16 v23, v36, v28, v23
	v_fma_f16 v22, v37, v28, v22
	s_waitcnt lgkmcnt(13)
	v_fma_f16 v21, v38, v28, v21
	s_waitcnt lgkmcnt(12)
	v_fma_f16 v20, v39, v28, v20
	v_lshrrev_b32_e32 v28, 16, v30
	v_fma_f16 v19, v36, v30, v19
	v_fma_f16 v18, v37, v30, v18
	v_fma_f16 v17, v38, v30, v17
	v_fma_f16 v15, v39, v30, v15
	v_lshrrev_b32_e32 v30, 16, v32
	v_fma_f16 v13, v36, v32, v13
	v_fma_f16 v12, v37, v32, v12
	v_fma_f16 v11, v38, v32, v11
	;; [unrolled: 5-line block ×3, first 2 shown]
	v_fma_f16 v6, v39, v34, v6
	s_waitcnt lgkmcnt(11)
	v_fma_f16 v23, v40, v52, v23
	s_waitcnt lgkmcnt(10)
	;; [unrolled: 2-line block ×4, first 2 shown]
	v_fma_f16 v20, v43, v52, v20
	v_fma_f16 v19, v40, v28, v19
	;; [unrolled: 1-line block ×13, first 2 shown]
	v_lshrrev_b32_e32 v53, 16, v29
	v_lshrrev_b32_e32 v54, 16, v31
	;; [unrolled: 1-line block ×4, first 2 shown]
	s_waitcnt lgkmcnt(7)
	v_fma_f16 v23, v44, v29, v23
	s_waitcnt lgkmcnt(6)
	v_fma_f16 v22, v45, v29, v22
	;; [unrolled: 2-line block ×4, first 2 shown]
	v_fma_f16 v19, v44, v31, v19
	v_fma_f16 v18, v45, v31, v18
	;; [unrolled: 1-line block ×12, first 2 shown]
	s_waitcnt lgkmcnt(3)
	v_fma_f16 v23, v48, v53, v23
	s_waitcnt lgkmcnt(2)
	v_fma_f16 v22, v49, v53, v22
	;; [unrolled: 2-line block ×4, first 2 shown]
	v_fma_f16 v19, v48, v54, v19
	v_fma_f16 v18, v49, v54, v18
	;; [unrolled: 1-line block ×12, first 2 shown]
	s_barrier
	s_cbranch_vccnz .LBB152_2
	s_branch .LBB152_4
.LBB152_3:
	v_mov_b32_e32 v23, 0
	v_mov_b32_e32 v22, 0
	v_mov_b32_e32 v21, 0
	v_mov_b32_e32 v20, 0
	v_mov_b32_e32 v19, 0
	v_mov_b32_e32 v18, 0
	v_mov_b32_e32 v17, 0
	v_mov_b32_e32 v15, 0
	v_mov_b32_e32 v13, 0
	v_mov_b32_e32 v12, 0
	v_mov_b32_e32 v11, 0
	v_mov_b32_e32 v10, 0
	v_mov_b32_e32 v9, 0
	v_mov_b32_e32 v8, 0
	v_mov_b32_e32 v7, 0
	v_mov_b32_e32 v6, 0
.LBB152_4:
	s_load_dword s8, s[4:5], 0x18
	s_load_dword s9, s[4:5], 0x50
	v_mov_b32_e32 v0, s29
	v_add_co_u32_e32 v2, vcc, s28, v16
	s_lshl_b64 s[2:3], s[2:3], 1
	v_addc_co_u32_e32 v5, vcc, 0, v0, vcc
	s_waitcnt lgkmcnt(0)
	s_add_u32 s4, s18, s2
	v_mov_b32_e32 v1, s7
	v_add_co_u32_e32 v0, vcc, s6, v14
	s_addc_u32 s5, s19, s3
	v_cmp_neq_f16_e64 s[2:3], s9, 0
	v_addc_co_u32_e32 v1, vcc, 0, v1, vcc
	s_and_b64 vcc, exec, s[2:3]
	v_mul_lo_u32 v3, v5, s0
	v_mul_lo_u32 v4, v2, s1
	v_lshlrev_b64 v[0:1], 1, v[0:1]
	s_cbranch_vccnz .LBB152_8
; %bb.5:
	v_mad_u64_u32 v[24:25], s[2:3], v2, s0, 0
	v_add3_u32 v25, v25, v4, v3
	v_lshlrev_b64 v[24:25], 1, v[24:25]
	v_mov_b32_e32 v14, s5
	v_add_co_u32_e32 v16, vcc, s4, v24
	v_addc_co_u32_e32 v14, vcc, v14, v25, vcc
	v_add_co_u32_e32 v24, vcc, v16, v0
	v_addc_co_u32_e32 v25, vcc, v14, v1, vcc
	v_mul_f16_e32 v14, s8, v22
	global_store_short v[24:25], v14, off offset:32
	v_mul_f16_e32 v14, s8, v21
	v_mul_f16_e32 v26, s8, v23
	global_store_short v[24:25], v14, off offset:64
	v_mul_f16_e32 v14, s8, v20
	s_lshl_b64 s[2:3], s[0:1], 5
	global_store_short v[24:25], v26, off
	global_store_short v[24:25], v14, off offset:96
	v_mov_b32_e32 v16, s3
	v_add_co_u32_e32 v24, vcc, s2, v24
	v_mul_f16_e32 v14, s8, v19
	v_addc_co_u32_e32 v25, vcc, v25, v16, vcc
	global_store_short v[24:25], v14, off
	v_mul_f16_e32 v14, s8, v18
	global_store_short v[24:25], v14, off offset:32
	v_mul_f16_e32 v14, s8, v17
	global_store_short v[24:25], v14, off offset:64
	v_mul_f16_e32 v14, s8, v15
	global_store_short v[24:25], v14, off offset:96
	v_add_co_u32_e32 v24, vcc, s2, v24
	v_mul_f16_e32 v14, s8, v13
	v_addc_co_u32_e32 v25, vcc, v25, v16, vcc
	global_store_short v[24:25], v14, off
	v_mul_f16_e32 v14, s8, v12
	global_store_short v[24:25], v14, off offset:32
	v_mul_f16_e32 v14, s8, v11
	global_store_short v[24:25], v14, off offset:64
	v_mul_f16_e32 v14, s8, v10
	global_store_short v[24:25], v14, off offset:96
	;; [unrolled: 10-line block ×3, first 2 shown]
	s_cbranch_execnz .LBB152_7
.LBB152_6:
	s_lshl_b64 s[2:3], s[16:17], 1
	s_add_u32 s6, s12, s2
	s_addc_u32 s7, s13, s3
	v_mul_lo_u32 v5, v5, s14
	v_mul_lo_u32 v14, v2, s15
	v_mad_u64_u32 v[24:25], s[2:3], v2, s14, 0
	v_add3_u32 v25, v25, v14, v5
	v_lshlrev_b64 v[24:25], 1, v[24:25]
	v_mov_b32_e32 v5, s7
	v_add_co_u32_e32 v14, vcc, s6, v24
	v_addc_co_u32_e32 v5, vcc, v5, v25, vcc
	v_add_co_u32_e32 v24, vcc, v14, v0
	v_addc_co_u32_e32 v25, vcc, v5, v1, vcc
	global_load_ushort v5, v[24:25], off
	v_mad_u64_u32 v[26:27], s[2:3], v2, s0, 0
	v_add3_u32 v27, v27, v4, v3
	v_lshlrev_b64 v[2:3], 1, v[26:27]
	v_mov_b32_e32 v14, s5
	v_add_co_u32_e32 v2, vcc, s4, v2
	v_addc_co_u32_e32 v3, vcc, v14, v3, vcc
	v_add_co_u32_e32 v0, vcc, v2, v0
	v_addc_co_u32_e32 v1, vcc, v3, v1, vcc
	s_lshl_b64 s[2:3], s[14:15], 5
	s_lshl_b64 s[0:1], s[0:1], 5
	v_mov_b32_e32 v14, s1
	s_waitcnt vmcnt(0)
	v_mul_f16_e32 v2, s9, v5
	v_fma_f16 v2, v23, s8, v2
	global_store_short v[0:1], v2, off
	global_load_ushort v2, v[24:25], off offset:32
	v_mov_b32_e32 v5, s3
	s_waitcnt vmcnt(0)
	v_mul_f16_e32 v2, s9, v2
	v_fma_f16 v2, v22, s8, v2
	global_store_short v[0:1], v2, off offset:32
	global_load_ushort v2, v[24:25], off offset:64
	s_waitcnt vmcnt(0)
	v_mul_f16_e32 v2, s9, v2
	v_fma_f16 v2, v21, s8, v2
	global_store_short v[0:1], v2, off offset:64
	global_load_ushort v4, v[24:25], off offset:96
	v_add_co_u32_e32 v2, vcc, s2, v24
	v_addc_co_u32_e32 v3, vcc, v25, v5, vcc
	s_waitcnt vmcnt(0)
	v_mul_f16_e32 v4, s9, v4
	v_fma_f16 v4, v20, s8, v4
	global_store_short v[0:1], v4, off offset:96
	global_load_ushort v4, v[2:3], off
	v_add_co_u32_e32 v0, vcc, s0, v0
	v_addc_co_u32_e32 v1, vcc, v1, v14, vcc
	s_waitcnt vmcnt(0)
	v_mul_f16_e32 v4, s9, v4
	v_fma_f16 v4, v19, s8, v4
	global_store_short v[0:1], v4, off
	global_load_ushort v4, v[2:3], off offset:32
	s_waitcnt vmcnt(0)
	v_mul_f16_e32 v4, s9, v4
	v_fma_f16 v4, v18, s8, v4
	global_store_short v[0:1], v4, off offset:32
	global_load_ushort v4, v[2:3], off offset:64
	s_waitcnt vmcnt(0)
	v_mul_f16_e32 v4, s9, v4
	v_fma_f16 v4, v17, s8, v4
	global_store_short v[0:1], v4, off offset:64
	global_load_ushort v4, v[2:3], off offset:96
	v_add_co_u32_e32 v2, vcc, s2, v2
	v_addc_co_u32_e32 v3, vcc, v3, v5, vcc
	s_waitcnt vmcnt(0)
	v_mul_f16_e32 v4, s9, v4
	v_fma_f16 v4, v15, s8, v4
	global_store_short v[0:1], v4, off offset:96
	global_load_ushort v4, v[2:3], off
	v_add_co_u32_e32 v0, vcc, s0, v0
	v_addc_co_u32_e32 v1, vcc, v1, v14, vcc
	s_waitcnt vmcnt(0)
	v_mul_f16_e32 v4, s9, v4
	v_fma_f16 v4, v13, s8, v4
	global_store_short v[0:1], v4, off
	global_load_ushort v4, v[2:3], off offset:32
	;; [unrolled: 24-line block ×3, first 2 shown]
	s_waitcnt vmcnt(0)
	v_mul_f16_e32 v4, s9, v4
	v_fma_f16 v4, v8, s8, v4
	global_store_short v[0:1], v4, off offset:32
	global_load_ushort v4, v[2:3], off offset:64
	s_waitcnt vmcnt(0)
	v_mul_f16_e32 v4, s9, v4
	v_fma_f16 v4, v7, s8, v4
	global_store_short v[0:1], v4, off offset:64
	global_load_ushort v2, v[2:3], off offset:96
	s_waitcnt vmcnt(0)
	v_mul_f16_e32 v2, s9, v2
	v_fma_f16 v2, v6, s8, v2
	global_store_short v[0:1], v2, off offset:96
.LBB152_7:
	s_endpgm
.LBB152_8:
	s_branch .LBB152_6
	.section	.rodata,"a",@progbits
	.p2align	6, 0x0
	.amdhsa_kernel _ZN12_GLOBAL__N_127rocblas_gemm_batched_kernelIDF16_Li16ELi16ELi64ELi64ELi4ELi64ELi4ELi4ELi64ELc67ELc78EKPKDF16_S3_KPDF16_EEvlllT_PT11_llS8_llS6_PT12_llPT13_lli
		.amdhsa_group_segment_fixed_size 1024
		.amdhsa_private_segment_fixed_size 0
		.amdhsa_kernarg_size 140
		.amdhsa_user_sgpr_count 6
		.amdhsa_user_sgpr_private_segment_buffer 1
		.amdhsa_user_sgpr_dispatch_ptr 0
		.amdhsa_user_sgpr_queue_ptr 0
		.amdhsa_user_sgpr_kernarg_segment_ptr 1
		.amdhsa_user_sgpr_dispatch_id 0
		.amdhsa_user_sgpr_flat_scratch_init 0
		.amdhsa_user_sgpr_kernarg_preload_length 0
		.amdhsa_user_sgpr_kernarg_preload_offset 0
		.amdhsa_user_sgpr_private_segment_size 0
		.amdhsa_uses_dynamic_stack 0
		.amdhsa_system_sgpr_private_segment_wavefront_offset 0
		.amdhsa_system_sgpr_workgroup_id_x 1
		.amdhsa_system_sgpr_workgroup_id_y 1
		.amdhsa_system_sgpr_workgroup_id_z 1
		.amdhsa_system_sgpr_workgroup_info 0
		.amdhsa_system_vgpr_workitem_id 1
		.amdhsa_next_free_vgpr 57
		.amdhsa_next_free_sgpr 36
		.amdhsa_accum_offset 60
		.amdhsa_reserve_vcc 1
		.amdhsa_reserve_flat_scratch 0
		.amdhsa_float_round_mode_32 0
		.amdhsa_float_round_mode_16_64 0
		.amdhsa_float_denorm_mode_32 3
		.amdhsa_float_denorm_mode_16_64 3
		.amdhsa_dx10_clamp 1
		.amdhsa_ieee_mode 1
		.amdhsa_fp16_overflow 0
		.amdhsa_tg_split 0
		.amdhsa_exception_fp_ieee_invalid_op 0
		.amdhsa_exception_fp_denorm_src 0
		.amdhsa_exception_fp_ieee_div_zero 0
		.amdhsa_exception_fp_ieee_overflow 0
		.amdhsa_exception_fp_ieee_underflow 0
		.amdhsa_exception_fp_ieee_inexact 0
		.amdhsa_exception_int_div_zero 0
	.end_amdhsa_kernel
	.section	.text._ZN12_GLOBAL__N_127rocblas_gemm_batched_kernelIDF16_Li16ELi16ELi64ELi64ELi4ELi64ELi4ELi4ELi64ELc67ELc78EKPKDF16_S3_KPDF16_EEvlllT_PT11_llS8_llS6_PT12_llPT13_lli,"axG",@progbits,_ZN12_GLOBAL__N_127rocblas_gemm_batched_kernelIDF16_Li16ELi16ELi64ELi64ELi4ELi64ELi4ELi4ELi64ELc67ELc78EKPKDF16_S3_KPDF16_EEvlllT_PT11_llS8_llS6_PT12_llPT13_lli,comdat
.Lfunc_end152:
	.size	_ZN12_GLOBAL__N_127rocblas_gemm_batched_kernelIDF16_Li16ELi16ELi64ELi64ELi4ELi64ELi4ELi4ELi64ELc67ELc78EKPKDF16_S3_KPDF16_EEvlllT_PT11_llS8_llS6_PT12_llPT13_lli, .Lfunc_end152-_ZN12_GLOBAL__N_127rocblas_gemm_batched_kernelIDF16_Li16ELi16ELi64ELi64ELi4ELi64ELi4ELi4ELi64ELc67ELc78EKPKDF16_S3_KPDF16_EEvlllT_PT11_llS8_llS6_PT12_llPT13_lli
                                        ; -- End function
	.section	.AMDGPU.csdata,"",@progbits
; Kernel info:
; codeLenInByte = 2484
; NumSgprs: 40
; NumVgprs: 57
; NumAgprs: 0
; TotalNumVgprs: 57
; ScratchSize: 0
; MemoryBound: 0
; FloatMode: 240
; IeeeMode: 1
; LDSByteSize: 1024 bytes/workgroup (compile time only)
; SGPRBlocks: 4
; VGPRBlocks: 7
; NumSGPRsForWavesPerEU: 40
; NumVGPRsForWavesPerEU: 57
; AccumOffset: 60
; Occupancy: 8
; WaveLimiterHint : 1
; COMPUTE_PGM_RSRC2:SCRATCH_EN: 0
; COMPUTE_PGM_RSRC2:USER_SGPR: 6
; COMPUTE_PGM_RSRC2:TRAP_HANDLER: 0
; COMPUTE_PGM_RSRC2:TGID_X_EN: 1
; COMPUTE_PGM_RSRC2:TGID_Y_EN: 1
; COMPUTE_PGM_RSRC2:TGID_Z_EN: 1
; COMPUTE_PGM_RSRC2:TIDIG_COMP_CNT: 1
; COMPUTE_PGM_RSRC3_GFX90A:ACCUM_OFFSET: 14
; COMPUTE_PGM_RSRC3_GFX90A:TG_SPLIT: 0
	.section	.text._ZN12_GLOBAL__N_127rocblas_gemm_batched_kernelIDF16_Li16ELi16ELi64ELi64ELi4ELi64ELi4ELi4ELi64ELc67ELc84EKPKDF16_S3_KPDF16_EEvlllT_PT11_llS8_llS6_PT12_llPT13_lli,"axG",@progbits,_ZN12_GLOBAL__N_127rocblas_gemm_batched_kernelIDF16_Li16ELi16ELi64ELi64ELi4ELi64ELi4ELi4ELi64ELc67ELc84EKPKDF16_S3_KPDF16_EEvlllT_PT11_llS8_llS6_PT12_llPT13_lli,comdat
	.globl	_ZN12_GLOBAL__N_127rocblas_gemm_batched_kernelIDF16_Li16ELi16ELi64ELi64ELi4ELi64ELi4ELi4ELi64ELc67ELc84EKPKDF16_S3_KPDF16_EEvlllT_PT11_llS8_llS6_PT12_llPT13_lli ; -- Begin function _ZN12_GLOBAL__N_127rocblas_gemm_batched_kernelIDF16_Li16ELi16ELi64ELi64ELi4ELi64ELi4ELi4ELi64ELc67ELc84EKPKDF16_S3_KPDF16_EEvlllT_PT11_llS8_llS6_PT12_llPT13_lli
	.p2align	8
	.type	_ZN12_GLOBAL__N_127rocblas_gemm_batched_kernelIDF16_Li16ELi16ELi64ELi64ELi4ELi64ELi4ELi4ELi64ELc67ELc84EKPKDF16_S3_KPDF16_EEvlllT_PT11_llS8_llS6_PT12_llPT13_lli,@function
_ZN12_GLOBAL__N_127rocblas_gemm_batched_kernelIDF16_Li16ELi16ELi64ELi64ELi4ELi64ELi4ELi4ELi64ELc67ELc84EKPKDF16_S3_KPDF16_EEvlllT_PT11_llS8_llS6_PT12_llPT13_lli: ; @_ZN12_GLOBAL__N_127rocblas_gemm_batched_kernelIDF16_Li16ELi16ELi64ELi64ELi4ELi64ELi4ELi4ELi64ELc67ELc84EKPKDF16_S3_KPDF16_EEvlllT_PT11_llS8_llS6_PT12_llPT13_lli
; %bb.0:
	s_load_dwordx2 s[30:31], s[4:5], 0x10
	s_load_dwordx4 s[0:3], s[4:5], 0x78
	s_load_dwordx8 s[12:19], s[4:5], 0x58
	s_mov_b32 s9, 0
	s_lshl_b64 s[34:35], s[8:9], 3
	s_mov_b32 s10, s7
	v_bfe_u32 v15, v0, 10, 10
	s_waitcnt lgkmcnt(0)
	s_add_u32 s8, s12, s34
	s_addc_u32 s9, s13, s35
	s_load_dwordx2 s[12:13], s[8:9], 0x0
	s_add_u32 s8, s18, s34
	s_addc_u32 s9, s19, s35
	s_load_dwordx2 s[18:19], s[8:9], 0x0
	s_ashr_i32 s7, s6, 31
	s_ashr_i32 s11, s10, 31
	v_cmp_lt_i64_e64 s[8:9], s[30:31], 1
	v_and_b32_e32 v14, 0x3ff, v0
	s_lshl_b64 s[6:7], s[6:7], 6
	s_lshl_b64 s[28:29], s[10:11], 6
	s_and_b64 vcc, exec, s[8:9]
	s_cbranch_vccnz .LBB153_3
; %bb.1:
	s_load_dwordx8 s[20:27], s[4:5], 0x20
	s_load_dwordx4 s[8:11], s[4:5], 0x40
	v_lshl_add_u32 v2, v15, 4, v14
	v_and_b32_e32 v6, 63, v2
	v_lshrrev_b32_e32 v0, 2, v2
	s_waitcnt lgkmcnt(0)
	s_add_u32 s20, s20, s34
	s_addc_u32 s21, s21, s35
	v_and_b32_e32 v4, 3, v14
	v_lshrrev_b32_e32 v7, 6, v2
	v_lshlrev_b32_e32 v2, 1, v6
	s_add_u32 s26, s26, s34
	v_lshl_or_b32 v24, v7, 7, v2
	v_lshlrev_b32_e32 v2, 1, v4
	s_addc_u32 s27, s27, s35
	v_lshl_or_b32 v2, v0, 3, v2
	s_load_dwordx2 s[26:27], s[26:27], 0x0
	v_mov_b32_e32 v1, 0
	v_add_u32_e32 v25, 0x200, v2
	v_mov_b32_e32 v2, 0x200
	v_lshl_add_u32 v27, v15, 3, v2
	v_mad_u64_u32 v[2:3], s[34:35], v4, s8, v[0:1]
	v_mov_b32_e32 v0, v3
	v_mad_u64_u32 v[4:5], s[34:35], v4, s9, v[0:1]
	s_lshl_b64 s[10:11], s[10:11], 1
	v_mov_b32_e32 v3, v4
	v_mov_b32_e32 v0, s29
	v_add_co_u32_e32 v2, vcc, s28, v2
	v_addc_co_u32_e32 v3, vcc, v3, v0, vcc
	s_waitcnt lgkmcnt(0)
	s_add_u32 s10, s26, s10
	v_lshlrev_b64 v[2:3], 1, v[2:3]
	s_addc_u32 s11, s27, s11
	v_mov_b32_e32 v0, s11
	v_add_co_u32_e32 v2, vcc, s10, v2
	v_addc_co_u32_e32 v3, vcc, v0, v3, vcc
	v_mov_b32_e32 v0, s7
	v_add_co_u32_e32 v4, vcc, s6, v6
	v_addc_co_u32_e32 v0, vcc, 0, v0, vcc
	v_mul_lo_u32 v6, s23, v4
	v_mul_lo_u32 v0, s22, v0
	v_mad_u64_u32 v[4:5], s[10:11], s22, v4, 0
	v_add3_u32 v5, v5, v0, v6
	s_load_dwordx2 s[20:21], s[20:21], 0x0
	v_lshlrev_b64 v[4:5], 1, v[4:5]
	s_lshl_b64 s[10:11], s[24:25], 1
	v_mov_b32_e32 v0, s11
	v_add_co_u32_e32 v4, vcc, s10, v4
	v_addc_co_u32_e32 v0, vcc, v5, v0, vcc
	v_lshlrev_b32_e32 v5, 1, v7
	v_add_co_u32_e32 v4, vcc, v4, v5
	v_addc_co_u32_e32 v0, vcc, 0, v0, vcc
	s_lshl_b64 s[8:9], s[8:9], 3
	s_waitcnt lgkmcnt(0)
	v_mov_b32_e32 v5, s21
	v_add_co_u32_e32 v4, vcc, s20, v4
	v_lshlrev_b32_e32 v26, 1, v14
	v_addc_co_u32_e32 v5, vcc, v5, v0, vcc
	s_mov_b64 s[10:11], 0
	v_mov_b32_e32 v28, s9
	v_pk_mov_b32 v[6:7], s[30:31], s[30:31] op_sel:[0,1]
	v_mov_b32_e32 v0, v1
	v_mov_b32_e32 v8, v1
	v_mov_b32_e32 v9, v1
	v_mov_b32_e32 v10, v1
	v_mov_b32_e32 v11, v1
	v_mov_b32_e32 v12, v1
	v_mov_b32_e32 v13, v1
	v_mov_b32_e32 v16, v1
	v_mov_b32_e32 v17, v1
	v_mov_b32_e32 v18, v1
	v_mov_b32_e32 v19, v1
	v_mov_b32_e32 v20, v1
	v_mov_b32_e32 v21, v1
	v_mov_b32_e32 v22, v1
	v_mov_b32_e32 v23, v1
.LBB153_2:                              ; =>This Inner Loop Header: Depth=1
	global_load_ushort v29, v[4:5], off
	global_load_ushort v30, v[2:3], off
	v_add_co_u32_e32 v2, vcc, s8, v2
	v_addc_co_u32_e32 v3, vcc, v3, v28, vcc
	s_add_u32 s10, s10, 4
	v_add_co_u32_e32 v4, vcc, 8, v4
	v_addc_co_u32_e32 v5, vcc, 0, v5, vcc
	s_addc_u32 s11, s11, 0
	v_cmp_lt_i64_e32 vcc, s[10:11], v[6:7]
	s_and_b64 vcc, exec, vcc
	s_waitcnt vmcnt(1)
	ds_write_b16 v24, v29
	s_waitcnt vmcnt(0)
	ds_write_b16 v25, v30
	s_waitcnt lgkmcnt(0)
	s_barrier
	ds_read2_b64 v[30:33], v27 offset1:16
	ds_read2_b64 v[34:37], v27 offset0:32 offset1:48
	ds_read_u16 v29, v26
	ds_read_u16 v38, v26 offset:32
	ds_read_u16 v39, v26 offset:64
	;; [unrolled: 1-line block ×15, first 2 shown]
	s_waitcnt lgkmcnt(14)
	v_lshrrev_b32_e32 v53, 16, v30
	v_fma_f16 v23, v29, v30, v23
	v_fma_f16 v22, v38, v30, v22
	s_waitcnt lgkmcnt(13)
	v_fma_f16 v21, v39, v30, v21
	s_waitcnt lgkmcnt(12)
	v_fma_f16 v20, v40, v30, v20
	v_lshrrev_b32_e32 v30, 16, v32
	v_fma_f16 v19, v29, v32, v19
	v_fma_f16 v18, v38, v32, v18
	v_fma_f16 v17, v39, v32, v17
	v_fma_f16 v16, v40, v32, v16
	v_lshrrev_b32_e32 v32, 16, v34
	v_fma_f16 v13, v29, v34, v13
	v_fma_f16 v12, v38, v34, v12
	v_fma_f16 v11, v39, v34, v11
	;; [unrolled: 5-line block ×3, first 2 shown]
	v_fma_f16 v1, v40, v36, v1
	s_waitcnt lgkmcnt(11)
	v_fma_f16 v23, v41, v53, v23
	s_waitcnt lgkmcnt(10)
	;; [unrolled: 2-line block ×4, first 2 shown]
	v_fma_f16 v20, v44, v53, v20
	v_fma_f16 v19, v41, v30, v19
	v_fma_f16 v18, v42, v30, v18
	v_fma_f16 v17, v43, v30, v17
	v_fma_f16 v16, v44, v30, v16
	v_fma_f16 v13, v41, v32, v13
	v_fma_f16 v12, v42, v32, v12
	v_fma_f16 v11, v43, v32, v11
	v_fma_f16 v10, v44, v32, v10
	v_fma_f16 v9, v41, v34, v9
	v_fma_f16 v8, v42, v34, v8
	v_fma_f16 v0, v43, v34, v0
	v_fma_f16 v1, v44, v34, v1
	v_lshrrev_b32_e32 v54, 16, v31
	v_lshrrev_b32_e32 v55, 16, v33
	;; [unrolled: 1-line block ×4, first 2 shown]
	s_waitcnt lgkmcnt(7)
	v_fma_f16 v23, v45, v31, v23
	s_waitcnt lgkmcnt(6)
	v_fma_f16 v22, v46, v31, v22
	;; [unrolled: 2-line block ×4, first 2 shown]
	v_fma_f16 v19, v45, v33, v19
	v_fma_f16 v18, v46, v33, v18
	;; [unrolled: 1-line block ×12, first 2 shown]
	s_waitcnt lgkmcnt(3)
	v_fma_f16 v23, v49, v54, v23
	s_waitcnt lgkmcnt(2)
	v_fma_f16 v22, v50, v54, v22
	;; [unrolled: 2-line block ×4, first 2 shown]
	v_fma_f16 v19, v49, v55, v19
	v_fma_f16 v18, v50, v55, v18
	;; [unrolled: 1-line block ×12, first 2 shown]
	s_barrier
	s_cbranch_vccnz .LBB153_2
	s_branch .LBB153_4
.LBB153_3:
	v_mov_b32_e32 v23, 0
	v_mov_b32_e32 v22, 0
	;; [unrolled: 1-line block ×16, first 2 shown]
.LBB153_4:
	s_load_dword s8, s[4:5], 0x18
	s_load_dword s9, s[4:5], 0x50
	v_mov_b32_e32 v2, s29
	v_add_co_u32_e32 v4, vcc, s28, v15
	s_lshl_b64 s[2:3], s[2:3], 1
	v_addc_co_u32_e32 v7, vcc, 0, v2, vcc
	s_waitcnt lgkmcnt(0)
	s_add_u32 s4, s18, s2
	v_mov_b32_e32 v3, s7
	v_add_co_u32_e32 v2, vcc, s6, v14
	s_addc_u32 s5, s19, s3
	v_cmp_neq_f16_e64 s[2:3], s9, 0
	v_addc_co_u32_e32 v3, vcc, 0, v3, vcc
	s_and_b64 vcc, exec, s[2:3]
	v_mul_lo_u32 v5, v7, s0
	v_mul_lo_u32 v6, v4, s1
	v_lshlrev_b64 v[2:3], 1, v[2:3]
	s_cbranch_vccnz .LBB153_8
; %bb.5:
	v_mad_u64_u32 v[14:15], s[2:3], v4, s0, 0
	v_add3_u32 v15, v15, v6, v5
	v_lshlrev_b64 v[14:15], 1, v[14:15]
	v_mov_b32_e32 v24, s5
	v_add_co_u32_e32 v14, vcc, s4, v14
	v_addc_co_u32_e32 v15, vcc, v24, v15, vcc
	v_add_co_u32_e32 v14, vcc, v14, v2
	v_mul_f16_e32 v24, s8, v23
	v_addc_co_u32_e32 v15, vcc, v15, v3, vcc
	global_store_short v[14:15], v24, off
	v_mul_f16_e32 v24, s8, v22
	global_store_short v[14:15], v24, off offset:32
	v_mul_f16_e32 v24, s8, v21
	global_store_short v[14:15], v24, off offset:64
	v_mul_f16_e32 v24, s8, v20
	s_lshl_b64 s[2:3], s[0:1], 5
	global_store_short v[14:15], v24, off offset:96
	v_mov_b32_e32 v25, s3
	v_add_co_u32_e32 v14, vcc, s2, v14
	v_mul_f16_e32 v24, s8, v19
	v_addc_co_u32_e32 v15, vcc, v15, v25, vcc
	global_store_short v[14:15], v24, off
	v_mul_f16_e32 v24, s8, v18
	global_store_short v[14:15], v24, off offset:32
	v_mul_f16_e32 v24, s8, v17
	global_store_short v[14:15], v24, off offset:64
	v_mul_f16_e32 v24, s8, v16
	global_store_short v[14:15], v24, off offset:96
	v_add_co_u32_e32 v14, vcc, s2, v14
	v_mul_f16_e32 v24, s8, v13
	v_addc_co_u32_e32 v15, vcc, v15, v25, vcc
	global_store_short v[14:15], v24, off
	v_mul_f16_e32 v24, s8, v12
	global_store_short v[14:15], v24, off offset:32
	v_mul_f16_e32 v24, s8, v11
	global_store_short v[14:15], v24, off offset:64
	v_mul_f16_e32 v24, s8, v10
	global_store_short v[14:15], v24, off offset:96
	;; [unrolled: 10-line block ×3, first 2 shown]
	s_cbranch_execnz .LBB153_7
.LBB153_6:
	s_lshl_b64 s[2:3], s[16:17], 1
	s_add_u32 s6, s12, s2
	s_addc_u32 s7, s13, s3
	v_mul_lo_u32 v7, v7, s14
	v_mul_lo_u32 v24, v4, s15
	v_mad_u64_u32 v[14:15], s[2:3], v4, s14, 0
	v_add3_u32 v15, v15, v24, v7
	v_lshlrev_b64 v[14:15], 1, v[14:15]
	v_mov_b32_e32 v7, s7
	v_add_co_u32_e32 v14, vcc, s6, v14
	v_addc_co_u32_e32 v7, vcc, v7, v15, vcc
	v_add_co_u32_e32 v14, vcc, v14, v2
	v_addc_co_u32_e32 v15, vcc, v7, v3, vcc
	global_load_ushort v7, v[14:15], off
	v_mad_u64_u32 v[24:25], s[2:3], v4, s0, 0
	v_add3_u32 v25, v25, v6, v5
	v_lshlrev_b64 v[4:5], 1, v[24:25]
	v_mov_b32_e32 v26, s5
	v_add_co_u32_e32 v4, vcc, s4, v4
	v_addc_co_u32_e32 v5, vcc, v26, v5, vcc
	v_add_co_u32_e32 v2, vcc, v4, v2
	v_addc_co_u32_e32 v3, vcc, v5, v3, vcc
	s_lshl_b64 s[2:3], s[14:15], 5
	s_lshl_b64 s[0:1], s[0:1], 5
	s_waitcnt vmcnt(0)
	v_mul_f16_e32 v4, s9, v7
	v_fma_f16 v4, v23, s8, v4
	global_store_short v[2:3], v4, off
	global_load_ushort v4, v[14:15], off offset:32
	v_mov_b32_e32 v7, s3
	s_waitcnt vmcnt(0)
	v_mul_f16_e32 v4, s9, v4
	v_fma_f16 v4, v22, s8, v4
	global_store_short v[2:3], v4, off offset:32
	global_load_ushort v4, v[14:15], off offset:64
	s_waitcnt vmcnt(0)
	v_mul_f16_e32 v4, s9, v4
	v_fma_f16 v4, v21, s8, v4
	global_store_short v[2:3], v4, off offset:64
	global_load_ushort v6, v[14:15], off offset:96
	v_add_co_u32_e32 v4, vcc, s2, v14
	v_addc_co_u32_e32 v5, vcc, v15, v7, vcc
	v_mov_b32_e32 v14, s1
	s_waitcnt vmcnt(0)
	v_mul_f16_e32 v6, s9, v6
	v_fma_f16 v6, v20, s8, v6
	global_store_short v[2:3], v6, off offset:96
	global_load_ushort v6, v[4:5], off
	v_add_co_u32_e32 v2, vcc, s0, v2
	v_addc_co_u32_e32 v3, vcc, v3, v14, vcc
	s_waitcnt vmcnt(0)
	v_mul_f16_e32 v6, s9, v6
	v_fma_f16 v6, v19, s8, v6
	global_store_short v[2:3], v6, off
	global_load_ushort v6, v[4:5], off offset:32
	s_waitcnt vmcnt(0)
	v_mul_f16_e32 v6, s9, v6
	v_fma_f16 v6, v18, s8, v6
	global_store_short v[2:3], v6, off offset:32
	global_load_ushort v6, v[4:5], off offset:64
	s_waitcnt vmcnt(0)
	v_mul_f16_e32 v6, s9, v6
	v_fma_f16 v6, v17, s8, v6
	global_store_short v[2:3], v6, off offset:64
	global_load_ushort v6, v[4:5], off offset:96
	v_add_co_u32_e32 v4, vcc, s2, v4
	v_addc_co_u32_e32 v5, vcc, v5, v7, vcc
	s_waitcnt vmcnt(0)
	v_mul_f16_e32 v6, s9, v6
	v_fma_f16 v6, v16, s8, v6
	global_store_short v[2:3], v6, off offset:96
	global_load_ushort v6, v[4:5], off
	v_add_co_u32_e32 v2, vcc, s0, v2
	v_addc_co_u32_e32 v3, vcc, v3, v14, vcc
	s_waitcnt vmcnt(0)
	v_mul_f16_e32 v6, s9, v6
	v_fma_f16 v6, v13, s8, v6
	global_store_short v[2:3], v6, off
	global_load_ushort v6, v[4:5], off offset:32
	s_waitcnt vmcnt(0)
	v_mul_f16_e32 v6, s9, v6
	v_fma_f16 v6, v12, s8, v6
	global_store_short v[2:3], v6, off offset:32
	global_load_ushort v6, v[4:5], off offset:64
	s_waitcnt vmcnt(0)
	v_mul_f16_e32 v6, s9, v6
	v_fma_f16 v6, v11, s8, v6
	global_store_short v[2:3], v6, off offset:64
	global_load_ushort v6, v[4:5], off offset:96
	v_add_co_u32_e32 v4, vcc, s2, v4
	v_addc_co_u32_e32 v5, vcc, v5, v7, vcc
	s_waitcnt vmcnt(0)
	v_mul_f16_e32 v6, s9, v6
	v_fma_f16 v6, v10, s8, v6
	global_store_short v[2:3], v6, off offset:96
	global_load_ushort v6, v[4:5], off
	v_add_co_u32_e32 v2, vcc, s0, v2
	v_addc_co_u32_e32 v3, vcc, v3, v14, vcc
	s_waitcnt vmcnt(0)
	v_mul_f16_e32 v6, s9, v6
	v_fma_f16 v6, v9, s8, v6
	global_store_short v[2:3], v6, off
	global_load_ushort v6, v[4:5], off offset:32
	s_waitcnt vmcnt(0)
	v_mul_f16_e32 v6, s9, v6
	v_fma_f16 v6, v8, s8, v6
	global_store_short v[2:3], v6, off offset:32
	global_load_ushort v6, v[4:5], off offset:64
	s_waitcnt vmcnt(0)
	v_mul_f16_e32 v6, s9, v6
	v_fma_f16 v0, v0, s8, v6
	global_store_short v[2:3], v0, off offset:64
	;; [unrolled: 5-line block ×3, first 2 shown]
.LBB153_7:
	s_endpgm
.LBB153_8:
	s_branch .LBB153_6
	.section	.rodata,"a",@progbits
	.p2align	6, 0x0
	.amdhsa_kernel _ZN12_GLOBAL__N_127rocblas_gemm_batched_kernelIDF16_Li16ELi16ELi64ELi64ELi4ELi64ELi4ELi4ELi64ELc67ELc84EKPKDF16_S3_KPDF16_EEvlllT_PT11_llS8_llS6_PT12_llPT13_lli
		.amdhsa_group_segment_fixed_size 1024
		.amdhsa_private_segment_fixed_size 0
		.amdhsa_kernarg_size 140
		.amdhsa_user_sgpr_count 6
		.amdhsa_user_sgpr_private_segment_buffer 1
		.amdhsa_user_sgpr_dispatch_ptr 0
		.amdhsa_user_sgpr_queue_ptr 0
		.amdhsa_user_sgpr_kernarg_segment_ptr 1
		.amdhsa_user_sgpr_dispatch_id 0
		.amdhsa_user_sgpr_flat_scratch_init 0
		.amdhsa_user_sgpr_kernarg_preload_length 0
		.amdhsa_user_sgpr_kernarg_preload_offset 0
		.amdhsa_user_sgpr_private_segment_size 0
		.amdhsa_uses_dynamic_stack 0
		.amdhsa_system_sgpr_private_segment_wavefront_offset 0
		.amdhsa_system_sgpr_workgroup_id_x 1
		.amdhsa_system_sgpr_workgroup_id_y 1
		.amdhsa_system_sgpr_workgroup_id_z 1
		.amdhsa_system_sgpr_workgroup_info 0
		.amdhsa_system_vgpr_workitem_id 1
		.amdhsa_next_free_vgpr 58
		.amdhsa_next_free_sgpr 36
		.amdhsa_accum_offset 60
		.amdhsa_reserve_vcc 1
		.amdhsa_reserve_flat_scratch 0
		.amdhsa_float_round_mode_32 0
		.amdhsa_float_round_mode_16_64 0
		.amdhsa_float_denorm_mode_32 3
		.amdhsa_float_denorm_mode_16_64 3
		.amdhsa_dx10_clamp 1
		.amdhsa_ieee_mode 1
		.amdhsa_fp16_overflow 0
		.amdhsa_tg_split 0
		.amdhsa_exception_fp_ieee_invalid_op 0
		.amdhsa_exception_fp_denorm_src 0
		.amdhsa_exception_fp_ieee_div_zero 0
		.amdhsa_exception_fp_ieee_overflow 0
		.amdhsa_exception_fp_ieee_underflow 0
		.amdhsa_exception_fp_ieee_inexact 0
		.amdhsa_exception_int_div_zero 0
	.end_amdhsa_kernel
	.section	.text._ZN12_GLOBAL__N_127rocblas_gemm_batched_kernelIDF16_Li16ELi16ELi64ELi64ELi4ELi64ELi4ELi4ELi64ELc67ELc84EKPKDF16_S3_KPDF16_EEvlllT_PT11_llS8_llS6_PT12_llPT13_lli,"axG",@progbits,_ZN12_GLOBAL__N_127rocblas_gemm_batched_kernelIDF16_Li16ELi16ELi64ELi64ELi4ELi64ELi4ELi4ELi64ELc67ELc84EKPKDF16_S3_KPDF16_EEvlllT_PT11_llS8_llS6_PT12_llPT13_lli,comdat
.Lfunc_end153:
	.size	_ZN12_GLOBAL__N_127rocblas_gemm_batched_kernelIDF16_Li16ELi16ELi64ELi64ELi4ELi64ELi4ELi4ELi64ELc67ELc84EKPKDF16_S3_KPDF16_EEvlllT_PT11_llS8_llS6_PT12_llPT13_lli, .Lfunc_end153-_ZN12_GLOBAL__N_127rocblas_gemm_batched_kernelIDF16_Li16ELi16ELi64ELi64ELi4ELi64ELi4ELi4ELi64ELc67ELc84EKPKDF16_S3_KPDF16_EEvlllT_PT11_llS8_llS6_PT12_llPT13_lli
                                        ; -- End function
	.section	.AMDGPU.csdata,"",@progbits
; Kernel info:
; codeLenInByte = 2472
; NumSgprs: 40
; NumVgprs: 58
; NumAgprs: 0
; TotalNumVgprs: 58
; ScratchSize: 0
; MemoryBound: 0
; FloatMode: 240
; IeeeMode: 1
; LDSByteSize: 1024 bytes/workgroup (compile time only)
; SGPRBlocks: 4
; VGPRBlocks: 7
; NumSGPRsForWavesPerEU: 40
; NumVGPRsForWavesPerEU: 58
; AccumOffset: 60
; Occupancy: 8
; WaveLimiterHint : 1
; COMPUTE_PGM_RSRC2:SCRATCH_EN: 0
; COMPUTE_PGM_RSRC2:USER_SGPR: 6
; COMPUTE_PGM_RSRC2:TRAP_HANDLER: 0
; COMPUTE_PGM_RSRC2:TGID_X_EN: 1
; COMPUTE_PGM_RSRC2:TGID_Y_EN: 1
; COMPUTE_PGM_RSRC2:TGID_Z_EN: 1
; COMPUTE_PGM_RSRC2:TIDIG_COMP_CNT: 1
; COMPUTE_PGM_RSRC3_GFX90A:ACCUM_OFFSET: 14
; COMPUTE_PGM_RSRC3_GFX90A:TG_SPLIT: 0
	.section	.text._ZN12_GLOBAL__N_127rocblas_gemm_batched_kernelIDF16_Li16ELi16ELi64ELi64ELi4ELi64ELi4ELi4ELi64ELc78ELc67EKPKDF16_S3_KPDF16_EEvlllT_PT11_llS8_llS6_PT12_llPT13_lli,"axG",@progbits,_ZN12_GLOBAL__N_127rocblas_gemm_batched_kernelIDF16_Li16ELi16ELi64ELi64ELi4ELi64ELi4ELi4ELi64ELc78ELc67EKPKDF16_S3_KPDF16_EEvlllT_PT11_llS8_llS6_PT12_llPT13_lli,comdat
	.globl	_ZN12_GLOBAL__N_127rocblas_gemm_batched_kernelIDF16_Li16ELi16ELi64ELi64ELi4ELi64ELi4ELi4ELi64ELc78ELc67EKPKDF16_S3_KPDF16_EEvlllT_PT11_llS8_llS6_PT12_llPT13_lli ; -- Begin function _ZN12_GLOBAL__N_127rocblas_gemm_batched_kernelIDF16_Li16ELi16ELi64ELi64ELi4ELi64ELi4ELi4ELi64ELc78ELc67EKPKDF16_S3_KPDF16_EEvlllT_PT11_llS8_llS6_PT12_llPT13_lli
	.p2align	8
	.type	_ZN12_GLOBAL__N_127rocblas_gemm_batched_kernelIDF16_Li16ELi16ELi64ELi64ELi4ELi64ELi4ELi4ELi64ELc78ELc67EKPKDF16_S3_KPDF16_EEvlllT_PT11_llS8_llS6_PT12_llPT13_lli,@function
_ZN12_GLOBAL__N_127rocblas_gemm_batched_kernelIDF16_Li16ELi16ELi64ELi64ELi4ELi64ELi4ELi4ELi64ELc78ELc67EKPKDF16_S3_KPDF16_EEvlllT_PT11_llS8_llS6_PT12_llPT13_lli: ; @_ZN12_GLOBAL__N_127rocblas_gemm_batched_kernelIDF16_Li16ELi16ELi64ELi64ELi4ELi64ELi4ELi4ELi64ELc78ELc67EKPKDF16_S3_KPDF16_EEvlllT_PT11_llS8_llS6_PT12_llPT13_lli
; %bb.0:
	s_load_dwordx2 s[30:31], s[4:5], 0x10
	s_load_dwordx4 s[0:3], s[4:5], 0x78
	s_load_dwordx8 s[12:19], s[4:5], 0x58
	s_mov_b32 s9, 0
	s_lshl_b64 s[34:35], s[8:9], 3
	s_mov_b32 s10, s7
	v_bfe_u32 v15, v0, 10, 10
	s_waitcnt lgkmcnt(0)
	s_add_u32 s8, s12, s34
	s_addc_u32 s9, s13, s35
	s_load_dwordx2 s[12:13], s[8:9], 0x0
	s_add_u32 s8, s18, s34
	s_addc_u32 s9, s19, s35
	s_load_dwordx2 s[18:19], s[8:9], 0x0
	s_ashr_i32 s7, s6, 31
	s_ashr_i32 s11, s10, 31
	v_cmp_lt_i64_e64 s[8:9], s[30:31], 1
	v_and_b32_e32 v14, 0x3ff, v0
	s_lshl_b64 s[6:7], s[6:7], 6
	s_lshl_b64 s[28:29], s[10:11], 6
	s_and_b64 vcc, exec, s[8:9]
	s_cbranch_vccnz .LBB154_3
; %bb.1:
	s_load_dwordx8 s[20:27], s[4:5], 0x20
	s_load_dwordx4 s[8:11], s[4:5], 0x40
	v_lshl_add_u32 v2, v15, 4, v14
	v_and_b32_e32 v8, 63, v2
	v_lshrrev_b32_e32 v0, 2, v2
	s_waitcnt lgkmcnt(0)
	s_add_u32 s20, s20, s34
	s_addc_u32 s21, s21, s35
	v_and_b32_e32 v4, 3, v14
	v_lshrrev_b32_e32 v6, 6, v2
	v_lshlrev_b32_e32 v2, 1, v8
	s_add_u32 s26, s26, s34
	v_lshl_or_b32 v24, v6, 7, v2
	v_lshlrev_b32_e32 v2, 1, v4
	s_addc_u32 s27, s27, s35
	v_lshl_or_b32 v2, v0, 3, v2
	s_load_dwordx2 s[26:27], s[26:27], 0x0
	v_mov_b32_e32 v1, 0
	v_add_u32_e32 v25, 0x200, v2
	v_mov_b32_e32 v2, 0x200
	v_lshl_add_u32 v27, v15, 3, v2
	v_mad_u64_u32 v[2:3], s[34:35], v4, s8, v[0:1]
	v_mov_b32_e32 v0, v3
	v_mad_u64_u32 v[4:5], s[34:35], v4, s9, v[0:1]
	s_lshl_b64 s[10:11], s[10:11], 1
	v_mov_b32_e32 v3, v4
	v_mov_b32_e32 v0, s29
	v_add_co_u32_e32 v2, vcc, s28, v2
	v_addc_co_u32_e32 v3, vcc, v3, v0, vcc
	s_waitcnt lgkmcnt(0)
	s_add_u32 s10, s26, s10
	s_load_dwordx2 s[20:21], s[20:21], 0x0
	v_lshlrev_b64 v[2:3], 1, v[2:3]
	s_addc_u32 s11, s27, s11
	v_pk_mov_b32 v[4:5], s[6:7], s[6:7] op_sel:[0,1]
	v_mov_b32_e32 v0, s11
	v_add_co_u32_e32 v2, vcc, s10, v2
	s_lshl_b64 s[10:11], s[24:25], 1
	v_mad_u64_u32 v[4:5], s[24:25], v6, s22, v[4:5]
	v_addc_co_u32_e32 v3, vcc, v0, v3, vcc
	v_mov_b32_e32 v0, v5
	v_mad_u64_u32 v[6:7], s[24:25], v6, s23, v[0:1]
	s_lshl_b64 s[8:9], s[8:9], 3
	v_mov_b32_e32 v5, v6
	v_add_co_u32_e32 v4, vcc, v4, v8
	v_addc_co_u32_e32 v5, vcc, 0, v5, vcc
	s_waitcnt lgkmcnt(0)
	s_add_u32 s10, s20, s10
	v_lshlrev_b64 v[4:5], 1, v[4:5]
	s_addc_u32 s11, s21, s11
	v_mov_b32_e32 v0, s11
	v_add_co_u32_e32 v4, vcc, s10, v4
	s_lshl_b64 s[10:11], s[22:23], 3
	v_lshlrev_b32_e32 v26, 1, v14
	v_addc_co_u32_e32 v5, vcc, v0, v5, vcc
	s_mov_b64 s[20:21], 0
	v_mov_b32_e32 v28, s9
	v_mov_b32_e32 v29, s11
	v_pk_mov_b32 v[6:7], s[30:31], s[30:31] op_sel:[0,1]
	v_mov_b32_e32 v0, v1
	v_mov_b32_e32 v8, v1
	;; [unrolled: 1-line block ×15, first 2 shown]
.LBB154_2:                              ; =>This Inner Loop Header: Depth=1
	global_load_ushort v30, v[4:5], off
	global_load_ushort v31, v[2:3], off
	v_add_co_u32_e32 v2, vcc, s8, v2
	v_addc_co_u32_e32 v3, vcc, v3, v28, vcc
	s_add_u32 s20, s20, 4
	v_add_co_u32_e32 v4, vcc, s10, v4
	v_addc_co_u32_e32 v5, vcc, v5, v29, vcc
	s_addc_u32 s21, s21, 0
	v_cmp_lt_i64_e32 vcc, s[20:21], v[6:7]
	s_and_b64 vcc, exec, vcc
	s_waitcnt vmcnt(1)
	ds_write_b16 v24, v30
	s_waitcnt vmcnt(0)
	ds_write_b16 v25, v31
	s_waitcnt lgkmcnt(0)
	s_barrier
	ds_read2_b64 v[30:33], v27 offset1:16
	ds_read2_b64 v[34:37], v27 offset0:32 offset1:48
	ds_read_u16 v38, v26
	ds_read_u16 v39, v26 offset:32
	ds_read_u16 v40, v26 offset:64
	;; [unrolled: 1-line block ×15, first 2 shown]
	s_waitcnt lgkmcnt(14)
	v_lshrrev_b32_e32 v54, 16, v30
	v_fma_f16 v23, v38, v30, v23
	v_fma_f16 v22, v39, v30, v22
	s_waitcnt lgkmcnt(13)
	v_fma_f16 v21, v40, v30, v21
	s_waitcnt lgkmcnt(12)
	v_fma_f16 v20, v41, v30, v20
	v_lshrrev_b32_e32 v30, 16, v32
	v_fma_f16 v19, v38, v32, v19
	v_fma_f16 v18, v39, v32, v18
	v_fma_f16 v17, v40, v32, v17
	v_fma_f16 v16, v41, v32, v16
	v_lshrrev_b32_e32 v32, 16, v34
	v_fma_f16 v13, v38, v34, v13
	v_fma_f16 v12, v39, v34, v12
	v_fma_f16 v11, v40, v34, v11
	v_fma_f16 v10, v41, v34, v10
	v_lshrrev_b32_e32 v34, 16, v36
	v_fma_f16 v9, v38, v36, v9
	v_fma_f16 v8, v39, v36, v8
	v_fma_f16 v0, v40, v36, v0
	v_fma_f16 v1, v41, v36, v1
	s_waitcnt lgkmcnt(11)
	v_fma_f16 v23, v42, v54, v23
	s_waitcnt lgkmcnt(10)
	;; [unrolled: 2-line block ×4, first 2 shown]
	v_fma_f16 v20, v45, v54, v20
	v_fma_f16 v19, v42, v30, v19
	;; [unrolled: 1-line block ×13, first 2 shown]
	v_lshrrev_b32_e32 v55, 16, v31
	v_lshrrev_b32_e32 v56, 16, v33
	;; [unrolled: 1-line block ×4, first 2 shown]
	s_waitcnt lgkmcnt(7)
	v_fma_f16 v23, v46, v31, v23
	s_waitcnt lgkmcnt(6)
	v_fma_f16 v22, v47, v31, v22
	;; [unrolled: 2-line block ×4, first 2 shown]
	v_fma_f16 v19, v46, v33, v19
	v_fma_f16 v18, v47, v33, v18
	;; [unrolled: 1-line block ×12, first 2 shown]
	s_waitcnt lgkmcnt(3)
	v_fma_f16 v23, v50, v55, v23
	s_waitcnt lgkmcnt(2)
	v_fma_f16 v22, v51, v55, v22
	;; [unrolled: 2-line block ×4, first 2 shown]
	v_fma_f16 v19, v50, v56, v19
	v_fma_f16 v18, v51, v56, v18
	;; [unrolled: 1-line block ×12, first 2 shown]
	s_barrier
	s_cbranch_vccnz .LBB154_2
	s_branch .LBB154_4
.LBB154_3:
	v_mov_b32_e32 v23, 0
	v_mov_b32_e32 v22, 0
	;; [unrolled: 1-line block ×16, first 2 shown]
.LBB154_4:
	s_load_dword s8, s[4:5], 0x18
	s_load_dword s9, s[4:5], 0x50
	v_mov_b32_e32 v2, s29
	v_add_co_u32_e32 v4, vcc, s28, v15
	s_lshl_b64 s[2:3], s[2:3], 1
	v_addc_co_u32_e32 v7, vcc, 0, v2, vcc
	s_waitcnt lgkmcnt(0)
	s_add_u32 s4, s18, s2
	v_mov_b32_e32 v3, s7
	v_add_co_u32_e32 v2, vcc, s6, v14
	s_addc_u32 s5, s19, s3
	v_cmp_neq_f16_e64 s[2:3], s9, 0
	v_addc_co_u32_e32 v3, vcc, 0, v3, vcc
	s_and_b64 vcc, exec, s[2:3]
	v_mul_lo_u32 v5, v7, s0
	v_mul_lo_u32 v6, v4, s1
	v_lshlrev_b64 v[2:3], 1, v[2:3]
	s_cbranch_vccnz .LBB154_8
; %bb.5:
	v_mad_u64_u32 v[14:15], s[2:3], v4, s0, 0
	v_add3_u32 v15, v15, v6, v5
	v_lshlrev_b64 v[14:15], 1, v[14:15]
	v_mov_b32_e32 v24, s5
	v_add_co_u32_e32 v14, vcc, s4, v14
	v_addc_co_u32_e32 v15, vcc, v24, v15, vcc
	v_add_co_u32_e32 v14, vcc, v14, v2
	v_mul_f16_e32 v24, s8, v23
	v_addc_co_u32_e32 v15, vcc, v15, v3, vcc
	global_store_short v[14:15], v24, off
	v_mul_f16_e32 v24, s8, v22
	global_store_short v[14:15], v24, off offset:32
	v_mul_f16_e32 v24, s8, v21
	global_store_short v[14:15], v24, off offset:64
	v_mul_f16_e32 v24, s8, v20
	s_lshl_b64 s[2:3], s[0:1], 5
	global_store_short v[14:15], v24, off offset:96
	v_mov_b32_e32 v25, s3
	v_add_co_u32_e32 v14, vcc, s2, v14
	v_mul_f16_e32 v24, s8, v19
	v_addc_co_u32_e32 v15, vcc, v15, v25, vcc
	global_store_short v[14:15], v24, off
	v_mul_f16_e32 v24, s8, v18
	global_store_short v[14:15], v24, off offset:32
	v_mul_f16_e32 v24, s8, v17
	global_store_short v[14:15], v24, off offset:64
	v_mul_f16_e32 v24, s8, v16
	global_store_short v[14:15], v24, off offset:96
	v_add_co_u32_e32 v14, vcc, s2, v14
	v_mul_f16_e32 v24, s8, v13
	v_addc_co_u32_e32 v15, vcc, v15, v25, vcc
	global_store_short v[14:15], v24, off
	v_mul_f16_e32 v24, s8, v12
	global_store_short v[14:15], v24, off offset:32
	v_mul_f16_e32 v24, s8, v11
	global_store_short v[14:15], v24, off offset:64
	v_mul_f16_e32 v24, s8, v10
	global_store_short v[14:15], v24, off offset:96
	;; [unrolled: 10-line block ×3, first 2 shown]
	s_cbranch_execnz .LBB154_7
.LBB154_6:
	s_lshl_b64 s[2:3], s[16:17], 1
	s_add_u32 s6, s12, s2
	s_addc_u32 s7, s13, s3
	v_mul_lo_u32 v7, v7, s14
	v_mul_lo_u32 v24, v4, s15
	v_mad_u64_u32 v[14:15], s[2:3], v4, s14, 0
	v_add3_u32 v15, v15, v24, v7
	v_lshlrev_b64 v[14:15], 1, v[14:15]
	v_mov_b32_e32 v7, s7
	v_add_co_u32_e32 v14, vcc, s6, v14
	v_addc_co_u32_e32 v7, vcc, v7, v15, vcc
	v_add_co_u32_e32 v14, vcc, v14, v2
	v_addc_co_u32_e32 v15, vcc, v7, v3, vcc
	global_load_ushort v7, v[14:15], off
	v_mad_u64_u32 v[24:25], s[2:3], v4, s0, 0
	v_add3_u32 v25, v25, v6, v5
	v_lshlrev_b64 v[4:5], 1, v[24:25]
	v_mov_b32_e32 v26, s5
	v_add_co_u32_e32 v4, vcc, s4, v4
	v_addc_co_u32_e32 v5, vcc, v26, v5, vcc
	v_add_co_u32_e32 v2, vcc, v4, v2
	v_addc_co_u32_e32 v3, vcc, v5, v3, vcc
	s_lshl_b64 s[2:3], s[14:15], 5
	s_lshl_b64 s[0:1], s[0:1], 5
	s_waitcnt vmcnt(0)
	v_mul_f16_e32 v4, s9, v7
	v_fma_f16 v4, v23, s8, v4
	global_store_short v[2:3], v4, off
	global_load_ushort v4, v[14:15], off offset:32
	v_mov_b32_e32 v7, s3
	s_waitcnt vmcnt(0)
	v_mul_f16_e32 v4, s9, v4
	v_fma_f16 v4, v22, s8, v4
	global_store_short v[2:3], v4, off offset:32
	global_load_ushort v4, v[14:15], off offset:64
	s_waitcnt vmcnt(0)
	v_mul_f16_e32 v4, s9, v4
	v_fma_f16 v4, v21, s8, v4
	global_store_short v[2:3], v4, off offset:64
	global_load_ushort v6, v[14:15], off offset:96
	v_add_co_u32_e32 v4, vcc, s2, v14
	v_addc_co_u32_e32 v5, vcc, v15, v7, vcc
	v_mov_b32_e32 v14, s1
	s_waitcnt vmcnt(0)
	v_mul_f16_e32 v6, s9, v6
	v_fma_f16 v6, v20, s8, v6
	global_store_short v[2:3], v6, off offset:96
	global_load_ushort v6, v[4:5], off
	v_add_co_u32_e32 v2, vcc, s0, v2
	v_addc_co_u32_e32 v3, vcc, v3, v14, vcc
	s_waitcnt vmcnt(0)
	v_mul_f16_e32 v6, s9, v6
	v_fma_f16 v6, v19, s8, v6
	global_store_short v[2:3], v6, off
	global_load_ushort v6, v[4:5], off offset:32
	s_waitcnt vmcnt(0)
	v_mul_f16_e32 v6, s9, v6
	v_fma_f16 v6, v18, s8, v6
	global_store_short v[2:3], v6, off offset:32
	global_load_ushort v6, v[4:5], off offset:64
	s_waitcnt vmcnt(0)
	v_mul_f16_e32 v6, s9, v6
	v_fma_f16 v6, v17, s8, v6
	global_store_short v[2:3], v6, off offset:64
	global_load_ushort v6, v[4:5], off offset:96
	v_add_co_u32_e32 v4, vcc, s2, v4
	v_addc_co_u32_e32 v5, vcc, v5, v7, vcc
	s_waitcnt vmcnt(0)
	v_mul_f16_e32 v6, s9, v6
	v_fma_f16 v6, v16, s8, v6
	global_store_short v[2:3], v6, off offset:96
	global_load_ushort v6, v[4:5], off
	v_add_co_u32_e32 v2, vcc, s0, v2
	v_addc_co_u32_e32 v3, vcc, v3, v14, vcc
	s_waitcnt vmcnt(0)
	v_mul_f16_e32 v6, s9, v6
	v_fma_f16 v6, v13, s8, v6
	global_store_short v[2:3], v6, off
	global_load_ushort v6, v[4:5], off offset:32
	s_waitcnt vmcnt(0)
	v_mul_f16_e32 v6, s9, v6
	v_fma_f16 v6, v12, s8, v6
	global_store_short v[2:3], v6, off offset:32
	global_load_ushort v6, v[4:5], off offset:64
	s_waitcnt vmcnt(0)
	v_mul_f16_e32 v6, s9, v6
	v_fma_f16 v6, v11, s8, v6
	global_store_short v[2:3], v6, off offset:64
	global_load_ushort v6, v[4:5], off offset:96
	v_add_co_u32_e32 v4, vcc, s2, v4
	v_addc_co_u32_e32 v5, vcc, v5, v7, vcc
	s_waitcnt vmcnt(0)
	v_mul_f16_e32 v6, s9, v6
	v_fma_f16 v6, v10, s8, v6
	global_store_short v[2:3], v6, off offset:96
	global_load_ushort v6, v[4:5], off
	v_add_co_u32_e32 v2, vcc, s0, v2
	v_addc_co_u32_e32 v3, vcc, v3, v14, vcc
	s_waitcnt vmcnt(0)
	v_mul_f16_e32 v6, s9, v6
	v_fma_f16 v6, v9, s8, v6
	global_store_short v[2:3], v6, off
	global_load_ushort v6, v[4:5], off offset:32
	s_waitcnt vmcnt(0)
	v_mul_f16_e32 v6, s9, v6
	v_fma_f16 v6, v8, s8, v6
	global_store_short v[2:3], v6, off offset:32
	global_load_ushort v6, v[4:5], off offset:64
	s_waitcnt vmcnt(0)
	v_mul_f16_e32 v6, s9, v6
	v_fma_f16 v0, v0, s8, v6
	global_store_short v[2:3], v0, off offset:64
	;; [unrolled: 5-line block ×3, first 2 shown]
.LBB154_7:
	s_endpgm
.LBB154_8:
	s_branch .LBB154_6
	.section	.rodata,"a",@progbits
	.p2align	6, 0x0
	.amdhsa_kernel _ZN12_GLOBAL__N_127rocblas_gemm_batched_kernelIDF16_Li16ELi16ELi64ELi64ELi4ELi64ELi4ELi4ELi64ELc78ELc67EKPKDF16_S3_KPDF16_EEvlllT_PT11_llS8_llS6_PT12_llPT13_lli
		.amdhsa_group_segment_fixed_size 1024
		.amdhsa_private_segment_fixed_size 0
		.amdhsa_kernarg_size 140
		.amdhsa_user_sgpr_count 6
		.amdhsa_user_sgpr_private_segment_buffer 1
		.amdhsa_user_sgpr_dispatch_ptr 0
		.amdhsa_user_sgpr_queue_ptr 0
		.amdhsa_user_sgpr_kernarg_segment_ptr 1
		.amdhsa_user_sgpr_dispatch_id 0
		.amdhsa_user_sgpr_flat_scratch_init 0
		.amdhsa_user_sgpr_kernarg_preload_length 0
		.amdhsa_user_sgpr_kernarg_preload_offset 0
		.amdhsa_user_sgpr_private_segment_size 0
		.amdhsa_uses_dynamic_stack 0
		.amdhsa_system_sgpr_private_segment_wavefront_offset 0
		.amdhsa_system_sgpr_workgroup_id_x 1
		.amdhsa_system_sgpr_workgroup_id_y 1
		.amdhsa_system_sgpr_workgroup_id_z 1
		.amdhsa_system_sgpr_workgroup_info 0
		.amdhsa_system_vgpr_workitem_id 1
		.amdhsa_next_free_vgpr 58
		.amdhsa_next_free_sgpr 36
		.amdhsa_accum_offset 60
		.amdhsa_reserve_vcc 1
		.amdhsa_reserve_flat_scratch 0
		.amdhsa_float_round_mode_32 0
		.amdhsa_float_round_mode_16_64 0
		.amdhsa_float_denorm_mode_32 3
		.amdhsa_float_denorm_mode_16_64 3
		.amdhsa_dx10_clamp 1
		.amdhsa_ieee_mode 1
		.amdhsa_fp16_overflow 0
		.amdhsa_tg_split 0
		.amdhsa_exception_fp_ieee_invalid_op 0
		.amdhsa_exception_fp_denorm_src 0
		.amdhsa_exception_fp_ieee_div_zero 0
		.amdhsa_exception_fp_ieee_overflow 0
		.amdhsa_exception_fp_ieee_underflow 0
		.amdhsa_exception_fp_ieee_inexact 0
		.amdhsa_exception_int_div_zero 0
	.end_amdhsa_kernel
	.section	.text._ZN12_GLOBAL__N_127rocblas_gemm_batched_kernelIDF16_Li16ELi16ELi64ELi64ELi4ELi64ELi4ELi4ELi64ELc78ELc67EKPKDF16_S3_KPDF16_EEvlllT_PT11_llS8_llS6_PT12_llPT13_lli,"axG",@progbits,_ZN12_GLOBAL__N_127rocblas_gemm_batched_kernelIDF16_Li16ELi16ELi64ELi64ELi4ELi64ELi4ELi4ELi64ELc78ELc67EKPKDF16_S3_KPDF16_EEvlllT_PT11_llS8_llS6_PT12_llPT13_lli,comdat
.Lfunc_end154:
	.size	_ZN12_GLOBAL__N_127rocblas_gemm_batched_kernelIDF16_Li16ELi16ELi64ELi64ELi4ELi64ELi4ELi4ELi64ELc78ELc67EKPKDF16_S3_KPDF16_EEvlllT_PT11_llS8_llS6_PT12_llPT13_lli, .Lfunc_end154-_ZN12_GLOBAL__N_127rocblas_gemm_batched_kernelIDF16_Li16ELi16ELi64ELi64ELi4ELi64ELi4ELi4ELi64ELc78ELc67EKPKDF16_S3_KPDF16_EEvlllT_PT11_llS8_llS6_PT12_llPT13_lli
                                        ; -- End function
	.section	.AMDGPU.csdata,"",@progbits
; Kernel info:
; codeLenInByte = 2460
; NumSgprs: 40
; NumVgprs: 58
; NumAgprs: 0
; TotalNumVgprs: 58
; ScratchSize: 0
; MemoryBound: 0
; FloatMode: 240
; IeeeMode: 1
; LDSByteSize: 1024 bytes/workgroup (compile time only)
; SGPRBlocks: 4
; VGPRBlocks: 7
; NumSGPRsForWavesPerEU: 40
; NumVGPRsForWavesPerEU: 58
; AccumOffset: 60
; Occupancy: 8
; WaveLimiterHint : 1
; COMPUTE_PGM_RSRC2:SCRATCH_EN: 0
; COMPUTE_PGM_RSRC2:USER_SGPR: 6
; COMPUTE_PGM_RSRC2:TRAP_HANDLER: 0
; COMPUTE_PGM_RSRC2:TGID_X_EN: 1
; COMPUTE_PGM_RSRC2:TGID_Y_EN: 1
; COMPUTE_PGM_RSRC2:TGID_Z_EN: 1
; COMPUTE_PGM_RSRC2:TIDIG_COMP_CNT: 1
; COMPUTE_PGM_RSRC3_GFX90A:ACCUM_OFFSET: 14
; COMPUTE_PGM_RSRC3_GFX90A:TG_SPLIT: 0
	.section	.text._ZN12_GLOBAL__N_127rocblas_gemm_batched_kernelIDF16_Li16ELi16ELi64ELi64ELi4ELi64ELi4ELi4ELi64ELc84ELc67EKPKDF16_S3_KPDF16_EEvlllT_PT11_llS8_llS6_PT12_llPT13_lli,"axG",@progbits,_ZN12_GLOBAL__N_127rocblas_gemm_batched_kernelIDF16_Li16ELi16ELi64ELi64ELi4ELi64ELi4ELi4ELi64ELc84ELc67EKPKDF16_S3_KPDF16_EEvlllT_PT11_llS8_llS6_PT12_llPT13_lli,comdat
	.globl	_ZN12_GLOBAL__N_127rocblas_gemm_batched_kernelIDF16_Li16ELi16ELi64ELi64ELi4ELi64ELi4ELi4ELi64ELc84ELc67EKPKDF16_S3_KPDF16_EEvlllT_PT11_llS8_llS6_PT12_llPT13_lli ; -- Begin function _ZN12_GLOBAL__N_127rocblas_gemm_batched_kernelIDF16_Li16ELi16ELi64ELi64ELi4ELi64ELi4ELi4ELi64ELc84ELc67EKPKDF16_S3_KPDF16_EEvlllT_PT11_llS8_llS6_PT12_llPT13_lli
	.p2align	8
	.type	_ZN12_GLOBAL__N_127rocblas_gemm_batched_kernelIDF16_Li16ELi16ELi64ELi64ELi4ELi64ELi4ELi4ELi64ELc84ELc67EKPKDF16_S3_KPDF16_EEvlllT_PT11_llS8_llS6_PT12_llPT13_lli,@function
_ZN12_GLOBAL__N_127rocblas_gemm_batched_kernelIDF16_Li16ELi16ELi64ELi64ELi4ELi64ELi4ELi4ELi64ELc84ELc67EKPKDF16_S3_KPDF16_EEvlllT_PT11_llS8_llS6_PT12_llPT13_lli: ; @_ZN12_GLOBAL__N_127rocblas_gemm_batched_kernelIDF16_Li16ELi16ELi64ELi64ELi4ELi64ELi4ELi4ELi64ELc84ELc67EKPKDF16_S3_KPDF16_EEvlllT_PT11_llS8_llS6_PT12_llPT13_lli
; %bb.0:
	s_load_dwordx2 s[30:31], s[4:5], 0x10
	s_load_dwordx4 s[0:3], s[4:5], 0x78
	s_load_dwordx8 s[12:19], s[4:5], 0x58
	s_mov_b32 s9, 0
	s_lshl_b64 s[34:35], s[8:9], 3
	s_mov_b32 s10, s7
	v_bfe_u32 v15, v0, 10, 10
	s_waitcnt lgkmcnt(0)
	s_add_u32 s8, s12, s34
	s_addc_u32 s9, s13, s35
	s_load_dwordx2 s[12:13], s[8:9], 0x0
	s_add_u32 s8, s18, s34
	s_addc_u32 s9, s19, s35
	s_load_dwordx2 s[18:19], s[8:9], 0x0
	s_ashr_i32 s7, s6, 31
	s_ashr_i32 s11, s10, 31
	v_cmp_lt_i64_e64 s[8:9], s[30:31], 1
	v_and_b32_e32 v14, 0x3ff, v0
	s_lshl_b64 s[6:7], s[6:7], 6
	s_lshl_b64 s[28:29], s[10:11], 6
	s_and_b64 vcc, exec, s[8:9]
	s_cbranch_vccnz .LBB155_3
; %bb.1:
	s_load_dwordx8 s[20:27], s[4:5], 0x20
	s_load_dwordx4 s[8:11], s[4:5], 0x40
	v_lshl_add_u32 v2, v15, 4, v14
	v_and_b32_e32 v6, 63, v2
	v_lshrrev_b32_e32 v0, 2, v2
	s_waitcnt lgkmcnt(0)
	s_add_u32 s20, s20, s34
	s_addc_u32 s21, s21, s35
	v_and_b32_e32 v4, 3, v14
	v_lshrrev_b32_e32 v7, 6, v2
	v_lshlrev_b32_e32 v2, 1, v6
	s_add_u32 s26, s26, s34
	v_lshl_or_b32 v24, v7, 7, v2
	v_lshlrev_b32_e32 v2, 1, v4
	s_addc_u32 s27, s27, s35
	v_lshl_or_b32 v2, v0, 3, v2
	s_load_dwordx2 s[26:27], s[26:27], 0x0
	v_mov_b32_e32 v1, 0
	v_add_u32_e32 v25, 0x200, v2
	v_mov_b32_e32 v2, 0x200
	v_lshl_add_u32 v27, v15, 3, v2
	v_mad_u64_u32 v[2:3], s[34:35], v4, s8, v[0:1]
	v_mov_b32_e32 v0, v3
	v_mad_u64_u32 v[4:5], s[34:35], v4, s9, v[0:1]
	s_lshl_b64 s[10:11], s[10:11], 1
	v_mov_b32_e32 v3, v4
	v_mov_b32_e32 v0, s29
	v_add_co_u32_e32 v2, vcc, s28, v2
	v_addc_co_u32_e32 v3, vcc, v3, v0, vcc
	s_waitcnt lgkmcnt(0)
	s_add_u32 s10, s26, s10
	v_lshlrev_b64 v[2:3], 1, v[2:3]
	s_addc_u32 s11, s27, s11
	v_mov_b32_e32 v0, s11
	v_add_co_u32_e32 v2, vcc, s10, v2
	v_addc_co_u32_e32 v3, vcc, v0, v3, vcc
	v_mov_b32_e32 v0, s7
	v_add_co_u32_e32 v4, vcc, s6, v6
	v_addc_co_u32_e32 v0, vcc, 0, v0, vcc
	v_mul_lo_u32 v6, s23, v4
	v_mul_lo_u32 v0, s22, v0
	v_mad_u64_u32 v[4:5], s[10:11], s22, v4, 0
	v_add3_u32 v5, v5, v0, v6
	s_load_dwordx2 s[20:21], s[20:21], 0x0
	v_lshlrev_b64 v[4:5], 1, v[4:5]
	s_lshl_b64 s[10:11], s[24:25], 1
	v_mov_b32_e32 v0, s11
	v_add_co_u32_e32 v4, vcc, s10, v4
	v_addc_co_u32_e32 v0, vcc, v5, v0, vcc
	v_lshlrev_b32_e32 v5, 1, v7
	v_add_co_u32_e32 v4, vcc, v4, v5
	v_addc_co_u32_e32 v0, vcc, 0, v0, vcc
	s_lshl_b64 s[8:9], s[8:9], 3
	s_waitcnt lgkmcnt(0)
	v_mov_b32_e32 v5, s21
	v_add_co_u32_e32 v4, vcc, s20, v4
	v_lshlrev_b32_e32 v26, 1, v14
	v_addc_co_u32_e32 v5, vcc, v5, v0, vcc
	s_mov_b64 s[10:11], 0
	v_mov_b32_e32 v28, s9
	v_pk_mov_b32 v[6:7], s[30:31], s[30:31] op_sel:[0,1]
	v_mov_b32_e32 v0, v1
	v_mov_b32_e32 v8, v1
	;; [unrolled: 1-line block ×15, first 2 shown]
.LBB155_2:                              ; =>This Inner Loop Header: Depth=1
	global_load_ushort v29, v[4:5], off
	global_load_ushort v30, v[2:3], off
	v_add_co_u32_e32 v2, vcc, s8, v2
	v_addc_co_u32_e32 v3, vcc, v3, v28, vcc
	s_add_u32 s10, s10, 4
	v_add_co_u32_e32 v4, vcc, 8, v4
	v_addc_co_u32_e32 v5, vcc, 0, v5, vcc
	s_addc_u32 s11, s11, 0
	v_cmp_lt_i64_e32 vcc, s[10:11], v[6:7]
	s_and_b64 vcc, exec, vcc
	s_waitcnt vmcnt(1)
	ds_write_b16 v24, v29
	s_waitcnt vmcnt(0)
	ds_write_b16 v25, v30
	s_waitcnt lgkmcnt(0)
	s_barrier
	ds_read2_b64 v[30:33], v27 offset1:16
	ds_read2_b64 v[34:37], v27 offset0:32 offset1:48
	ds_read_u16 v29, v26
	ds_read_u16 v38, v26 offset:32
	ds_read_u16 v39, v26 offset:64
	;; [unrolled: 1-line block ×15, first 2 shown]
	s_waitcnt lgkmcnt(14)
	v_lshrrev_b32_e32 v53, 16, v30
	v_fma_f16 v23, v29, v30, v23
	v_fma_f16 v22, v38, v30, v22
	s_waitcnt lgkmcnt(13)
	v_fma_f16 v21, v39, v30, v21
	s_waitcnt lgkmcnt(12)
	v_fma_f16 v20, v40, v30, v20
	v_lshrrev_b32_e32 v30, 16, v32
	v_fma_f16 v19, v29, v32, v19
	v_fma_f16 v18, v38, v32, v18
	v_fma_f16 v17, v39, v32, v17
	v_fma_f16 v16, v40, v32, v16
	v_lshrrev_b32_e32 v32, 16, v34
	v_fma_f16 v13, v29, v34, v13
	v_fma_f16 v12, v38, v34, v12
	v_fma_f16 v11, v39, v34, v11
	;; [unrolled: 5-line block ×3, first 2 shown]
	v_fma_f16 v1, v40, v36, v1
	s_waitcnt lgkmcnt(11)
	v_fma_f16 v23, v41, v53, v23
	s_waitcnt lgkmcnt(10)
	;; [unrolled: 2-line block ×4, first 2 shown]
	v_fma_f16 v20, v44, v53, v20
	v_fma_f16 v19, v41, v30, v19
	v_fma_f16 v18, v42, v30, v18
	v_fma_f16 v17, v43, v30, v17
	v_fma_f16 v16, v44, v30, v16
	v_fma_f16 v13, v41, v32, v13
	v_fma_f16 v12, v42, v32, v12
	v_fma_f16 v11, v43, v32, v11
	v_fma_f16 v10, v44, v32, v10
	v_fma_f16 v9, v41, v34, v9
	v_fma_f16 v8, v42, v34, v8
	v_fma_f16 v0, v43, v34, v0
	v_fma_f16 v1, v44, v34, v1
	v_lshrrev_b32_e32 v54, 16, v31
	v_lshrrev_b32_e32 v55, 16, v33
	;; [unrolled: 1-line block ×4, first 2 shown]
	s_waitcnt lgkmcnt(7)
	v_fma_f16 v23, v45, v31, v23
	s_waitcnt lgkmcnt(6)
	v_fma_f16 v22, v46, v31, v22
	;; [unrolled: 2-line block ×4, first 2 shown]
	v_fma_f16 v19, v45, v33, v19
	v_fma_f16 v18, v46, v33, v18
	;; [unrolled: 1-line block ×12, first 2 shown]
	s_waitcnt lgkmcnt(3)
	v_fma_f16 v23, v49, v54, v23
	s_waitcnt lgkmcnt(2)
	v_fma_f16 v22, v50, v54, v22
	;; [unrolled: 2-line block ×4, first 2 shown]
	v_fma_f16 v19, v49, v55, v19
	v_fma_f16 v18, v50, v55, v18
	;; [unrolled: 1-line block ×12, first 2 shown]
	s_barrier
	s_cbranch_vccnz .LBB155_2
	s_branch .LBB155_4
.LBB155_3:
	v_mov_b32_e32 v23, 0
	v_mov_b32_e32 v22, 0
	;; [unrolled: 1-line block ×16, first 2 shown]
.LBB155_4:
	s_load_dword s8, s[4:5], 0x18
	s_load_dword s9, s[4:5], 0x50
	v_mov_b32_e32 v2, s29
	v_add_co_u32_e32 v4, vcc, s28, v15
	s_lshl_b64 s[2:3], s[2:3], 1
	v_addc_co_u32_e32 v7, vcc, 0, v2, vcc
	s_waitcnt lgkmcnt(0)
	s_add_u32 s4, s18, s2
	v_mov_b32_e32 v3, s7
	v_add_co_u32_e32 v2, vcc, s6, v14
	s_addc_u32 s5, s19, s3
	v_cmp_neq_f16_e64 s[2:3], s9, 0
	v_addc_co_u32_e32 v3, vcc, 0, v3, vcc
	s_and_b64 vcc, exec, s[2:3]
	v_mul_lo_u32 v5, v7, s0
	v_mul_lo_u32 v6, v4, s1
	v_lshlrev_b64 v[2:3], 1, v[2:3]
	s_cbranch_vccnz .LBB155_8
; %bb.5:
	v_mad_u64_u32 v[14:15], s[2:3], v4, s0, 0
	v_add3_u32 v15, v15, v6, v5
	v_lshlrev_b64 v[14:15], 1, v[14:15]
	v_mov_b32_e32 v24, s5
	v_add_co_u32_e32 v14, vcc, s4, v14
	v_addc_co_u32_e32 v15, vcc, v24, v15, vcc
	v_add_co_u32_e32 v14, vcc, v14, v2
	v_mul_f16_e32 v24, s8, v23
	v_addc_co_u32_e32 v15, vcc, v15, v3, vcc
	global_store_short v[14:15], v24, off
	v_mul_f16_e32 v24, s8, v22
	global_store_short v[14:15], v24, off offset:32
	v_mul_f16_e32 v24, s8, v21
	global_store_short v[14:15], v24, off offset:64
	v_mul_f16_e32 v24, s8, v20
	s_lshl_b64 s[2:3], s[0:1], 5
	global_store_short v[14:15], v24, off offset:96
	v_mov_b32_e32 v25, s3
	v_add_co_u32_e32 v14, vcc, s2, v14
	v_mul_f16_e32 v24, s8, v19
	v_addc_co_u32_e32 v15, vcc, v15, v25, vcc
	global_store_short v[14:15], v24, off
	v_mul_f16_e32 v24, s8, v18
	global_store_short v[14:15], v24, off offset:32
	v_mul_f16_e32 v24, s8, v17
	global_store_short v[14:15], v24, off offset:64
	v_mul_f16_e32 v24, s8, v16
	global_store_short v[14:15], v24, off offset:96
	v_add_co_u32_e32 v14, vcc, s2, v14
	v_mul_f16_e32 v24, s8, v13
	v_addc_co_u32_e32 v15, vcc, v15, v25, vcc
	global_store_short v[14:15], v24, off
	v_mul_f16_e32 v24, s8, v12
	global_store_short v[14:15], v24, off offset:32
	v_mul_f16_e32 v24, s8, v11
	global_store_short v[14:15], v24, off offset:64
	v_mul_f16_e32 v24, s8, v10
	global_store_short v[14:15], v24, off offset:96
	;; [unrolled: 10-line block ×3, first 2 shown]
	s_cbranch_execnz .LBB155_7
.LBB155_6:
	s_lshl_b64 s[2:3], s[16:17], 1
	s_add_u32 s6, s12, s2
	s_addc_u32 s7, s13, s3
	v_mul_lo_u32 v7, v7, s14
	v_mul_lo_u32 v24, v4, s15
	v_mad_u64_u32 v[14:15], s[2:3], v4, s14, 0
	v_add3_u32 v15, v15, v24, v7
	v_lshlrev_b64 v[14:15], 1, v[14:15]
	v_mov_b32_e32 v7, s7
	v_add_co_u32_e32 v14, vcc, s6, v14
	v_addc_co_u32_e32 v7, vcc, v7, v15, vcc
	v_add_co_u32_e32 v14, vcc, v14, v2
	v_addc_co_u32_e32 v15, vcc, v7, v3, vcc
	global_load_ushort v7, v[14:15], off
	v_mad_u64_u32 v[24:25], s[2:3], v4, s0, 0
	v_add3_u32 v25, v25, v6, v5
	v_lshlrev_b64 v[4:5], 1, v[24:25]
	v_mov_b32_e32 v26, s5
	v_add_co_u32_e32 v4, vcc, s4, v4
	v_addc_co_u32_e32 v5, vcc, v26, v5, vcc
	v_add_co_u32_e32 v2, vcc, v4, v2
	v_addc_co_u32_e32 v3, vcc, v5, v3, vcc
	s_lshl_b64 s[2:3], s[14:15], 5
	s_lshl_b64 s[0:1], s[0:1], 5
	s_waitcnt vmcnt(0)
	v_mul_f16_e32 v4, s9, v7
	v_fma_f16 v4, v23, s8, v4
	global_store_short v[2:3], v4, off
	global_load_ushort v4, v[14:15], off offset:32
	v_mov_b32_e32 v7, s3
	s_waitcnt vmcnt(0)
	v_mul_f16_e32 v4, s9, v4
	v_fma_f16 v4, v22, s8, v4
	global_store_short v[2:3], v4, off offset:32
	global_load_ushort v4, v[14:15], off offset:64
	s_waitcnt vmcnt(0)
	v_mul_f16_e32 v4, s9, v4
	v_fma_f16 v4, v21, s8, v4
	global_store_short v[2:3], v4, off offset:64
	global_load_ushort v6, v[14:15], off offset:96
	v_add_co_u32_e32 v4, vcc, s2, v14
	v_addc_co_u32_e32 v5, vcc, v15, v7, vcc
	v_mov_b32_e32 v14, s1
	s_waitcnt vmcnt(0)
	v_mul_f16_e32 v6, s9, v6
	v_fma_f16 v6, v20, s8, v6
	global_store_short v[2:3], v6, off offset:96
	global_load_ushort v6, v[4:5], off
	v_add_co_u32_e32 v2, vcc, s0, v2
	v_addc_co_u32_e32 v3, vcc, v3, v14, vcc
	s_waitcnt vmcnt(0)
	v_mul_f16_e32 v6, s9, v6
	v_fma_f16 v6, v19, s8, v6
	global_store_short v[2:3], v6, off
	global_load_ushort v6, v[4:5], off offset:32
	s_waitcnt vmcnt(0)
	v_mul_f16_e32 v6, s9, v6
	v_fma_f16 v6, v18, s8, v6
	global_store_short v[2:3], v6, off offset:32
	global_load_ushort v6, v[4:5], off offset:64
	s_waitcnt vmcnt(0)
	v_mul_f16_e32 v6, s9, v6
	v_fma_f16 v6, v17, s8, v6
	global_store_short v[2:3], v6, off offset:64
	global_load_ushort v6, v[4:5], off offset:96
	v_add_co_u32_e32 v4, vcc, s2, v4
	v_addc_co_u32_e32 v5, vcc, v5, v7, vcc
	s_waitcnt vmcnt(0)
	v_mul_f16_e32 v6, s9, v6
	v_fma_f16 v6, v16, s8, v6
	global_store_short v[2:3], v6, off offset:96
	global_load_ushort v6, v[4:5], off
	v_add_co_u32_e32 v2, vcc, s0, v2
	v_addc_co_u32_e32 v3, vcc, v3, v14, vcc
	s_waitcnt vmcnt(0)
	v_mul_f16_e32 v6, s9, v6
	v_fma_f16 v6, v13, s8, v6
	global_store_short v[2:3], v6, off
	global_load_ushort v6, v[4:5], off offset:32
	s_waitcnt vmcnt(0)
	v_mul_f16_e32 v6, s9, v6
	v_fma_f16 v6, v12, s8, v6
	global_store_short v[2:3], v6, off offset:32
	global_load_ushort v6, v[4:5], off offset:64
	s_waitcnt vmcnt(0)
	v_mul_f16_e32 v6, s9, v6
	v_fma_f16 v6, v11, s8, v6
	global_store_short v[2:3], v6, off offset:64
	global_load_ushort v6, v[4:5], off offset:96
	v_add_co_u32_e32 v4, vcc, s2, v4
	v_addc_co_u32_e32 v5, vcc, v5, v7, vcc
	s_waitcnt vmcnt(0)
	v_mul_f16_e32 v6, s9, v6
	v_fma_f16 v6, v10, s8, v6
	global_store_short v[2:3], v6, off offset:96
	global_load_ushort v6, v[4:5], off
	v_add_co_u32_e32 v2, vcc, s0, v2
	v_addc_co_u32_e32 v3, vcc, v3, v14, vcc
	s_waitcnt vmcnt(0)
	v_mul_f16_e32 v6, s9, v6
	v_fma_f16 v6, v9, s8, v6
	global_store_short v[2:3], v6, off
	global_load_ushort v6, v[4:5], off offset:32
	s_waitcnt vmcnt(0)
	v_mul_f16_e32 v6, s9, v6
	v_fma_f16 v6, v8, s8, v6
	global_store_short v[2:3], v6, off offset:32
	global_load_ushort v6, v[4:5], off offset:64
	s_waitcnt vmcnt(0)
	v_mul_f16_e32 v6, s9, v6
	v_fma_f16 v0, v0, s8, v6
	global_store_short v[2:3], v0, off offset:64
	global_load_ushort v0, v[4:5], off offset:96
	s_waitcnt vmcnt(0)
	v_mul_f16_e32 v0, s9, v0
	v_fma_f16 v0, v1, s8, v0
	global_store_short v[2:3], v0, off offset:96
.LBB155_7:
	s_endpgm
.LBB155_8:
	s_branch .LBB155_6
	.section	.rodata,"a",@progbits
	.p2align	6, 0x0
	.amdhsa_kernel _ZN12_GLOBAL__N_127rocblas_gemm_batched_kernelIDF16_Li16ELi16ELi64ELi64ELi4ELi64ELi4ELi4ELi64ELc84ELc67EKPKDF16_S3_KPDF16_EEvlllT_PT11_llS8_llS6_PT12_llPT13_lli
		.amdhsa_group_segment_fixed_size 1024
		.amdhsa_private_segment_fixed_size 0
		.amdhsa_kernarg_size 140
		.amdhsa_user_sgpr_count 6
		.amdhsa_user_sgpr_private_segment_buffer 1
		.amdhsa_user_sgpr_dispatch_ptr 0
		.amdhsa_user_sgpr_queue_ptr 0
		.amdhsa_user_sgpr_kernarg_segment_ptr 1
		.amdhsa_user_sgpr_dispatch_id 0
		.amdhsa_user_sgpr_flat_scratch_init 0
		.amdhsa_user_sgpr_kernarg_preload_length 0
		.amdhsa_user_sgpr_kernarg_preload_offset 0
		.amdhsa_user_sgpr_private_segment_size 0
		.amdhsa_uses_dynamic_stack 0
		.amdhsa_system_sgpr_private_segment_wavefront_offset 0
		.amdhsa_system_sgpr_workgroup_id_x 1
		.amdhsa_system_sgpr_workgroup_id_y 1
		.amdhsa_system_sgpr_workgroup_id_z 1
		.amdhsa_system_sgpr_workgroup_info 0
		.amdhsa_system_vgpr_workitem_id 1
		.amdhsa_next_free_vgpr 58
		.amdhsa_next_free_sgpr 36
		.amdhsa_accum_offset 60
		.amdhsa_reserve_vcc 1
		.amdhsa_reserve_flat_scratch 0
		.amdhsa_float_round_mode_32 0
		.amdhsa_float_round_mode_16_64 0
		.amdhsa_float_denorm_mode_32 3
		.amdhsa_float_denorm_mode_16_64 3
		.amdhsa_dx10_clamp 1
		.amdhsa_ieee_mode 1
		.amdhsa_fp16_overflow 0
		.amdhsa_tg_split 0
		.amdhsa_exception_fp_ieee_invalid_op 0
		.amdhsa_exception_fp_denorm_src 0
		.amdhsa_exception_fp_ieee_div_zero 0
		.amdhsa_exception_fp_ieee_overflow 0
		.amdhsa_exception_fp_ieee_underflow 0
		.amdhsa_exception_fp_ieee_inexact 0
		.amdhsa_exception_int_div_zero 0
	.end_amdhsa_kernel
	.section	.text._ZN12_GLOBAL__N_127rocblas_gemm_batched_kernelIDF16_Li16ELi16ELi64ELi64ELi4ELi64ELi4ELi4ELi64ELc84ELc67EKPKDF16_S3_KPDF16_EEvlllT_PT11_llS8_llS6_PT12_llPT13_lli,"axG",@progbits,_ZN12_GLOBAL__N_127rocblas_gemm_batched_kernelIDF16_Li16ELi16ELi64ELi64ELi4ELi64ELi4ELi4ELi64ELc84ELc67EKPKDF16_S3_KPDF16_EEvlllT_PT11_llS8_llS6_PT12_llPT13_lli,comdat
.Lfunc_end155:
	.size	_ZN12_GLOBAL__N_127rocblas_gemm_batched_kernelIDF16_Li16ELi16ELi64ELi64ELi4ELi64ELi4ELi4ELi64ELc84ELc67EKPKDF16_S3_KPDF16_EEvlllT_PT11_llS8_llS6_PT12_llPT13_lli, .Lfunc_end155-_ZN12_GLOBAL__N_127rocblas_gemm_batched_kernelIDF16_Li16ELi16ELi64ELi64ELi4ELi64ELi4ELi4ELi64ELc84ELc67EKPKDF16_S3_KPDF16_EEvlllT_PT11_llS8_llS6_PT12_llPT13_lli
                                        ; -- End function
	.section	.AMDGPU.csdata,"",@progbits
; Kernel info:
; codeLenInByte = 2472
; NumSgprs: 40
; NumVgprs: 58
; NumAgprs: 0
; TotalNumVgprs: 58
; ScratchSize: 0
; MemoryBound: 0
; FloatMode: 240
; IeeeMode: 1
; LDSByteSize: 1024 bytes/workgroup (compile time only)
; SGPRBlocks: 4
; VGPRBlocks: 7
; NumSGPRsForWavesPerEU: 40
; NumVGPRsForWavesPerEU: 58
; AccumOffset: 60
; Occupancy: 8
; WaveLimiterHint : 1
; COMPUTE_PGM_RSRC2:SCRATCH_EN: 0
; COMPUTE_PGM_RSRC2:USER_SGPR: 6
; COMPUTE_PGM_RSRC2:TRAP_HANDLER: 0
; COMPUTE_PGM_RSRC2:TGID_X_EN: 1
; COMPUTE_PGM_RSRC2:TGID_Y_EN: 1
; COMPUTE_PGM_RSRC2:TGID_Z_EN: 1
; COMPUTE_PGM_RSRC2:TIDIG_COMP_CNT: 1
; COMPUTE_PGM_RSRC3_GFX90A:ACCUM_OFFSET: 14
; COMPUTE_PGM_RSRC3_GFX90A:TG_SPLIT: 0
	.section	.text._ZN12_GLOBAL__N_127rocblas_gemm_batched_kernelIDF16_Li16ELi16ELi32ELi32ELi8ELi32ELi8ELi8ELi32ELc78ELc78EKPKDF16_S3_KPDF16_EEvlllT_PT11_llS8_llS6_PT12_llPT13_lli,"axG",@progbits,_ZN12_GLOBAL__N_127rocblas_gemm_batched_kernelIDF16_Li16ELi16ELi32ELi32ELi8ELi32ELi8ELi8ELi32ELc78ELc78EKPKDF16_S3_KPDF16_EEvlllT_PT11_llS8_llS6_PT12_llPT13_lli,comdat
	.globl	_ZN12_GLOBAL__N_127rocblas_gemm_batched_kernelIDF16_Li16ELi16ELi32ELi32ELi8ELi32ELi8ELi8ELi32ELc78ELc78EKPKDF16_S3_KPDF16_EEvlllT_PT11_llS8_llS6_PT12_llPT13_lli ; -- Begin function _ZN12_GLOBAL__N_127rocblas_gemm_batched_kernelIDF16_Li16ELi16ELi32ELi32ELi8ELi32ELi8ELi8ELi32ELc78ELc78EKPKDF16_S3_KPDF16_EEvlllT_PT11_llS8_llS6_PT12_llPT13_lli
	.p2align	8
	.type	_ZN12_GLOBAL__N_127rocblas_gemm_batched_kernelIDF16_Li16ELi16ELi32ELi32ELi8ELi32ELi8ELi8ELi32ELc78ELc78EKPKDF16_S3_KPDF16_EEvlllT_PT11_llS8_llS6_PT12_llPT13_lli,@function
_ZN12_GLOBAL__N_127rocblas_gemm_batched_kernelIDF16_Li16ELi16ELi32ELi32ELi8ELi32ELi8ELi8ELi32ELc78ELc78EKPKDF16_S3_KPDF16_EEvlllT_PT11_llS8_llS6_PT12_llPT13_lli: ; @_ZN12_GLOBAL__N_127rocblas_gemm_batched_kernelIDF16_Li16ELi16ELi32ELi32ELi8ELi32ELi8ELi8ELi32ELc78ELc78EKPKDF16_S3_KPDF16_EEvlllT_PT11_llS8_llS6_PT12_llPT13_lli
; %bb.0:
	s_load_dwordx2 s[30:31], s[4:5], 0x10
	s_load_dwordx4 s[0:3], s[4:5], 0x78
	s_load_dwordx8 s[12:19], s[4:5], 0x58
	s_mov_b32 s9, 0
	s_lshl_b64 s[34:35], s[8:9], 3
	s_mov_b32 s10, s7
	v_bfe_u32 v7, v0, 10, 10
	s_waitcnt lgkmcnt(0)
	s_add_u32 s8, s12, s34
	s_addc_u32 s9, s13, s35
	s_load_dwordx2 s[12:13], s[8:9], 0x0
	s_add_u32 s8, s18, s34
	s_addc_u32 s9, s19, s35
	s_load_dwordx2 s[18:19], s[8:9], 0x0
	s_ashr_i32 s7, s6, 31
	s_ashr_i32 s11, s10, 31
	v_cmp_lt_i64_e64 s[8:9], s[30:31], 1
	v_and_b32_e32 v6, 0x3ff, v0
	s_lshl_b64 s[6:7], s[6:7], 5
	s_lshl_b64 s[28:29], s[10:11], 5
	s_and_b64 vcc, exec, s[8:9]
	s_cbranch_vccnz .LBB156_3
; %bb.1:
	s_load_dwordx8 s[20:27], s[4:5], 0x20
	s_load_dwordx4 s[8:11], s[4:5], 0x40
	v_lshlrev_b32_e32 v0, 4, v7
	v_add_u32_e32 v1, v0, v6
	v_lshrrev_b32_e32 v2, 3, v1
	v_and_b32_e32 v5, 7, v6
	v_and_b32_e32 v8, 31, v1
	s_waitcnt lgkmcnt(0)
	s_add_u32 s20, s20, s34
	v_mov_b32_e32 v3, s29
	v_add_co_u32_e32 v4, vcc, s28, v2
	v_lshrrev_b32_e32 v9, 5, v1
	v_lshlrev_b32_e32 v1, 1, v8
	v_lshlrev_b32_e32 v5, 1, v5
	s_addc_u32 s21, s21, s35
	v_addc_co_u32_e32 v3, vcc, 0, v3, vcc
	v_lshl_or_b32 v12, v9, 6, v1
	v_lshl_or_b32 v1, v2, 4, v5
	s_add_u32 s26, s26, s34
	v_add_u32_e32 v13, 0x200, v1
	v_add_u32_e32 v15, 0x200, v0
	v_mul_lo_u32 v2, s9, v4
	v_mul_lo_u32 v3, s8, v3
	v_mad_u64_u32 v[0:1], s[8:9], s8, v4, 0
	s_addc_u32 s27, s27, s35
	v_add3_u32 v1, v1, v3, v2
	s_load_dwordx2 s[26:27], s[26:27], 0x0
	v_lshlrev_b64 v[0:1], 1, v[0:1]
	s_lshl_b64 s[8:9], s[10:11], 1
	v_mov_b32_e32 v2, s9
	v_add_co_u32_e32 v0, vcc, s8, v0
	v_addc_co_u32_e32 v1, vcc, v1, v2, vcc
	v_add_co_u32_e32 v0, vcc, v0, v5
	v_addc_co_u32_e32 v1, vcc, 0, v1, vcc
	s_waitcnt lgkmcnt(0)
	v_mov_b32_e32 v2, s27
	v_add_co_u32_e32 v0, vcc, s26, v0
	s_load_dwordx2 s[20:21], s[20:21], 0x0
	v_addc_co_u32_e32 v1, vcc, v2, v1, vcc
	v_pk_mov_b32 v[2:3], s[6:7], s[6:7] op_sel:[0,1]
	v_mad_u64_u32 v[2:3], s[10:11], v9, s22, v[2:3]
	v_mov_b32_e32 v4, v3
	v_mad_u64_u32 v[4:5], s[10:11], v9, s23, v[4:5]
	s_lshl_b64 s[8:9], s[24:25], 1
	v_mov_b32_e32 v3, v4
	v_add_co_u32_e32 v2, vcc, v2, v8
	v_addc_co_u32_e32 v3, vcc, 0, v3, vcc
	s_waitcnt lgkmcnt(0)
	s_add_u32 s8, s20, s8
	v_lshlrev_b64 v[2:3], 1, v[2:3]
	s_addc_u32 s9, s21, s9
	v_mov_b32_e32 v4, s9
	v_add_co_u32_e32 v2, vcc, s8, v2
	s_lshl_b64 s[8:9], s[22:23], 4
	v_lshlrev_b32_e32 v14, 1, v6
	v_addc_co_u32_e32 v3, vcc, v4, v3, vcc
	s_mov_b64 s[10:11], 0
	v_mov_b32_e32 v8, 0
	v_mov_b32_e32 v16, s9
	v_pk_mov_b32 v[4:5], s[30:31], s[30:31] op_sel:[0,1]
	v_mov_b32_e32 v9, 0
	v_mov_b32_e32 v10, 0
	;; [unrolled: 1-line block ×3, first 2 shown]
.LBB156_2:                              ; =>This Inner Loop Header: Depth=1
	global_load_ushort v17, v[2:3], off
	global_load_ushort v18, v[0:1], off
	v_add_co_u32_e32 v0, vcc, 16, v0
	v_addc_co_u32_e32 v1, vcc, 0, v1, vcc
	s_add_u32 s10, s10, 8
	v_add_co_u32_e32 v2, vcc, s8, v2
	v_addc_co_u32_e32 v3, vcc, v3, v16, vcc
	s_addc_u32 s11, s11, 0
	v_cmp_lt_i64_e32 vcc, s[10:11], v[4:5]
	s_and_b64 vcc, exec, vcc
	s_waitcnt vmcnt(1)
	ds_write_b16 v12, v17
	s_waitcnt vmcnt(0)
	ds_write_b16 v13, v18
	s_waitcnt lgkmcnt(0)
	s_barrier
	ds_read_b128 v[18:21], v15
	ds_read_b128 v[22:25], v15 offset:256
	ds_read_u16 v17, v14
	ds_read_u16 v26, v14 offset:32
	ds_read_u16 v27, v14 offset:64
	ds_read_u16 v28, v14 offset:96
	ds_read_u16 v29, v14 offset:128
	ds_read_u16 v30, v14 offset:160
	ds_read_u16 v31, v14 offset:192
	ds_read_u16 v32, v14 offset:224
	ds_read_u16 v33, v14 offset:256
	ds_read_u16 v34, v14 offset:288
	ds_read_u16 v35, v14 offset:320
	ds_read_u16 v36, v14 offset:352
	ds_read_u16 v37, v14 offset:384
	ds_read_u16 v38, v14 offset:416
	ds_read_u16 v39, v14 offset:448
	ds_read_u16 v40, v14 offset:480
	s_waitcnt lgkmcnt(14)
	v_lshrrev_b32_e32 v41, 16, v18
	v_fma_f16 v11, v17, v18, v11
	v_fma_f16 v10, v26, v18, v10
	v_lshrrev_b32_e32 v18, 16, v22
	v_fma_f16 v9, v17, v22, v9
	v_fma_f16 v8, v26, v22, v8
	s_waitcnt lgkmcnt(13)
	v_fma_f16 v11, v27, v41, v11
	s_waitcnt lgkmcnt(12)
	v_fma_f16 v10, v28, v41, v10
	v_fma_f16 v9, v27, v18, v9
	v_fma_f16 v8, v28, v18, v8
	v_lshrrev_b32_e32 v42, 16, v19
	v_lshrrev_b32_e32 v45, 16, v23
	s_waitcnt lgkmcnt(11)
	v_fma_f16 v11, v29, v19, v11
	s_waitcnt lgkmcnt(10)
	v_fma_f16 v10, v30, v19, v10
	v_fma_f16 v9, v29, v23, v9
	v_fma_f16 v8, v30, v23, v8
	s_waitcnt lgkmcnt(9)
	v_fma_f16 v11, v31, v42, v11
	s_waitcnt lgkmcnt(8)
	v_fma_f16 v10, v32, v42, v10
	v_fma_f16 v9, v31, v45, v9
	v_fma_f16 v8, v32, v45, v8
	v_lshrrev_b32_e32 v43, 16, v20
	v_lshrrev_b32_e32 v46, 16, v24
	s_waitcnt lgkmcnt(7)
	v_fma_f16 v11, v33, v20, v11
	s_waitcnt lgkmcnt(6)
	v_fma_f16 v10, v34, v20, v10
	;; [unrolled: 14-line block ×3, first 2 shown]
	v_fma_f16 v9, v37, v25, v9
	v_fma_f16 v8, v38, v25, v8
	s_waitcnt lgkmcnt(1)
	v_fma_f16 v11, v39, v44, v11
	s_waitcnt lgkmcnt(0)
	v_fma_f16 v10, v40, v44, v10
	v_fma_f16 v9, v39, v47, v9
	;; [unrolled: 1-line block ×3, first 2 shown]
	s_barrier
	s_cbranch_vccnz .LBB156_2
	s_branch .LBB156_4
.LBB156_3:
	v_mov_b32_e32 v11, 0
	v_mov_b32_e32 v10, 0
	v_mov_b32_e32 v9, 0
	v_mov_b32_e32 v8, 0
.LBB156_4:
	s_load_dword s8, s[4:5], 0x18
	s_load_dword s9, s[4:5], 0x50
	v_mov_b32_e32 v0, s29
	v_add_co_u32_e32 v2, vcc, s28, v7
	s_lshl_b64 s[2:3], s[2:3], 1
	v_addc_co_u32_e32 v5, vcc, 0, v0, vcc
	s_waitcnt lgkmcnt(0)
	s_add_u32 s4, s18, s2
	v_mov_b32_e32 v1, s7
	v_add_co_u32_e32 v0, vcc, s6, v6
	s_addc_u32 s5, s19, s3
	v_cmp_neq_f16_e64 s[2:3], s9, 0
	v_addc_co_u32_e32 v1, vcc, 0, v1, vcc
	s_and_b64 vcc, exec, s[2:3]
	v_mul_lo_u32 v3, v5, s0
	v_mul_lo_u32 v4, v2, s1
	v_lshlrev_b64 v[0:1], 1, v[0:1]
	s_cbranch_vccnz .LBB156_8
; %bb.5:
	v_mad_u64_u32 v[6:7], s[2:3], v2, s0, 0
	v_add3_u32 v7, v7, v4, v3
	v_lshlrev_b64 v[6:7], 1, v[6:7]
	v_mov_b32_e32 v12, s5
	v_add_co_u32_e32 v6, vcc, s4, v6
	v_addc_co_u32_e32 v7, vcc, v12, v7, vcc
	v_add_co_u32_e32 v6, vcc, v6, v0
	v_mul_f16_e32 v12, s8, v11
	v_addc_co_u32_e32 v7, vcc, v7, v1, vcc
	global_store_short v[6:7], v12, off
	v_mul_f16_e32 v12, s8, v10
	s_lshl_b64 s[2:3], s[0:1], 5
	global_store_short v[6:7], v12, off offset:32
	v_mov_b32_e32 v13, s3
	v_add_co_u32_e32 v6, vcc, s2, v6
	v_mul_f16_e32 v12, s8, v9
	v_addc_co_u32_e32 v7, vcc, v7, v13, vcc
	global_store_short v[6:7], v12, off
	v_mul_f16_e32 v12, s8, v8
	global_store_short v[6:7], v12, off offset:32
	s_cbranch_execnz .LBB156_7
.LBB156_6:
	s_lshl_b64 s[2:3], s[16:17], 1
	s_add_u32 s6, s12, s2
	s_addc_u32 s7, s13, s3
	v_mul_lo_u32 v5, v5, s14
	v_mul_lo_u32 v12, v2, s15
	v_mad_u64_u32 v[6:7], s[2:3], v2, s14, 0
	v_add3_u32 v7, v7, v12, v5
	v_lshlrev_b64 v[6:7], 1, v[6:7]
	v_mov_b32_e32 v5, s7
	v_add_co_u32_e32 v6, vcc, s6, v6
	v_addc_co_u32_e32 v5, vcc, v5, v7, vcc
	v_add_co_u32_e32 v6, vcc, v6, v0
	v_addc_co_u32_e32 v7, vcc, v5, v1, vcc
	global_load_ushort v5, v[6:7], off
	v_mad_u64_u32 v[12:13], s[2:3], v2, s0, 0
	v_add3_u32 v13, v13, v4, v3
	v_lshlrev_b64 v[2:3], 1, v[12:13]
	v_mov_b32_e32 v14, s5
	v_add_co_u32_e32 v2, vcc, s4, v2
	v_addc_co_u32_e32 v3, vcc, v14, v3, vcc
	v_add_co_u32_e32 v0, vcc, v2, v0
	v_addc_co_u32_e32 v1, vcc, v3, v1, vcc
	s_lshl_b64 s[2:3], s[14:15], 5
	v_mov_b32_e32 v3, s3
	s_lshl_b64 s[0:1], s[0:1], 5
	s_waitcnt vmcnt(0)
	v_mul_f16_e32 v2, s9, v5
	v_fma_f16 v2, v11, s8, v2
	global_store_short v[0:1], v2, off
	global_load_ushort v4, v[6:7], off offset:32
	v_add_co_u32_e32 v2, vcc, s2, v6
	v_addc_co_u32_e32 v3, vcc, v7, v3, vcc
	v_mov_b32_e32 v5, s1
	s_waitcnt vmcnt(0)
	v_mul_f16_e32 v4, s9, v4
	v_fma_f16 v4, v10, s8, v4
	global_store_short v[0:1], v4, off offset:32
	global_load_ushort v4, v[2:3], off
	v_add_co_u32_e32 v0, vcc, s0, v0
	v_addc_co_u32_e32 v1, vcc, v1, v5, vcc
	s_waitcnt vmcnt(0)
	v_mul_f16_e32 v4, s9, v4
	v_fma_f16 v4, v9, s8, v4
	global_store_short v[0:1], v4, off
	global_load_ushort v2, v[2:3], off offset:32
	s_waitcnt vmcnt(0)
	v_mul_f16_e32 v2, s9, v2
	v_fma_f16 v2, v8, s8, v2
	global_store_short v[0:1], v2, off offset:32
.LBB156_7:
	s_endpgm
.LBB156_8:
	s_branch .LBB156_6
	.section	.rodata,"a",@progbits
	.p2align	6, 0x0
	.amdhsa_kernel _ZN12_GLOBAL__N_127rocblas_gemm_batched_kernelIDF16_Li16ELi16ELi32ELi32ELi8ELi32ELi8ELi8ELi32ELc78ELc78EKPKDF16_S3_KPDF16_EEvlllT_PT11_llS8_llS6_PT12_llPT13_lli
		.amdhsa_group_segment_fixed_size 1024
		.amdhsa_private_segment_fixed_size 0
		.amdhsa_kernarg_size 140
		.amdhsa_user_sgpr_count 6
		.amdhsa_user_sgpr_private_segment_buffer 1
		.amdhsa_user_sgpr_dispatch_ptr 0
		.amdhsa_user_sgpr_queue_ptr 0
		.amdhsa_user_sgpr_kernarg_segment_ptr 1
		.amdhsa_user_sgpr_dispatch_id 0
		.amdhsa_user_sgpr_flat_scratch_init 0
		.amdhsa_user_sgpr_kernarg_preload_length 0
		.amdhsa_user_sgpr_kernarg_preload_offset 0
		.amdhsa_user_sgpr_private_segment_size 0
		.amdhsa_uses_dynamic_stack 0
		.amdhsa_system_sgpr_private_segment_wavefront_offset 0
		.amdhsa_system_sgpr_workgroup_id_x 1
		.amdhsa_system_sgpr_workgroup_id_y 1
		.amdhsa_system_sgpr_workgroup_id_z 1
		.amdhsa_system_sgpr_workgroup_info 0
		.amdhsa_system_vgpr_workitem_id 1
		.amdhsa_next_free_vgpr 48
		.amdhsa_next_free_sgpr 36
		.amdhsa_accum_offset 48
		.amdhsa_reserve_vcc 1
		.amdhsa_reserve_flat_scratch 0
		.amdhsa_float_round_mode_32 0
		.amdhsa_float_round_mode_16_64 0
		.amdhsa_float_denorm_mode_32 3
		.amdhsa_float_denorm_mode_16_64 3
		.amdhsa_dx10_clamp 1
		.amdhsa_ieee_mode 1
		.amdhsa_fp16_overflow 0
		.amdhsa_tg_split 0
		.amdhsa_exception_fp_ieee_invalid_op 0
		.amdhsa_exception_fp_denorm_src 0
		.amdhsa_exception_fp_ieee_div_zero 0
		.amdhsa_exception_fp_ieee_overflow 0
		.amdhsa_exception_fp_ieee_underflow 0
		.amdhsa_exception_fp_ieee_inexact 0
		.amdhsa_exception_int_div_zero 0
	.end_amdhsa_kernel
	.section	.text._ZN12_GLOBAL__N_127rocblas_gemm_batched_kernelIDF16_Li16ELi16ELi32ELi32ELi8ELi32ELi8ELi8ELi32ELc78ELc78EKPKDF16_S3_KPDF16_EEvlllT_PT11_llS8_llS6_PT12_llPT13_lli,"axG",@progbits,_ZN12_GLOBAL__N_127rocblas_gemm_batched_kernelIDF16_Li16ELi16ELi32ELi32ELi8ELi32ELi8ELi8ELi32ELc78ELc78EKPKDF16_S3_KPDF16_EEvlllT_PT11_llS8_llS6_PT12_llPT13_lli,comdat
.Lfunc_end156:
	.size	_ZN12_GLOBAL__N_127rocblas_gemm_batched_kernelIDF16_Li16ELi16ELi32ELi32ELi8ELi32ELi8ELi8ELi32ELc78ELc78EKPKDF16_S3_KPDF16_EEvlllT_PT11_llS8_llS6_PT12_llPT13_lli, .Lfunc_end156-_ZN12_GLOBAL__N_127rocblas_gemm_batched_kernelIDF16_Li16ELi16ELi32ELi32ELi8ELi32ELi8ELi8ELi32ELc78ELc78EKPKDF16_S3_KPDF16_EEvlllT_PT11_llS8_llS6_PT12_llPT13_lli
                                        ; -- End function
	.section	.AMDGPU.csdata,"",@progbits
; Kernel info:
; codeLenInByte = 1536
; NumSgprs: 40
; NumVgprs: 48
; NumAgprs: 0
; TotalNumVgprs: 48
; ScratchSize: 0
; MemoryBound: 0
; FloatMode: 240
; IeeeMode: 1
; LDSByteSize: 1024 bytes/workgroup (compile time only)
; SGPRBlocks: 4
; VGPRBlocks: 5
; NumSGPRsForWavesPerEU: 40
; NumVGPRsForWavesPerEU: 48
; AccumOffset: 48
; Occupancy: 8
; WaveLimiterHint : 1
; COMPUTE_PGM_RSRC2:SCRATCH_EN: 0
; COMPUTE_PGM_RSRC2:USER_SGPR: 6
; COMPUTE_PGM_RSRC2:TRAP_HANDLER: 0
; COMPUTE_PGM_RSRC2:TGID_X_EN: 1
; COMPUTE_PGM_RSRC2:TGID_Y_EN: 1
; COMPUTE_PGM_RSRC2:TGID_Z_EN: 1
; COMPUTE_PGM_RSRC2:TIDIG_COMP_CNT: 1
; COMPUTE_PGM_RSRC3_GFX90A:ACCUM_OFFSET: 11
; COMPUTE_PGM_RSRC3_GFX90A:TG_SPLIT: 0
	.section	.text._ZN12_GLOBAL__N_127rocblas_gemm_batched_kernelIDF16_Li16ELi16ELi32ELi32ELi8ELi32ELi8ELi8ELi32ELc84ELc78EKPKDF16_S3_KPDF16_EEvlllT_PT11_llS8_llS6_PT12_llPT13_lli,"axG",@progbits,_ZN12_GLOBAL__N_127rocblas_gemm_batched_kernelIDF16_Li16ELi16ELi32ELi32ELi8ELi32ELi8ELi8ELi32ELc84ELc78EKPKDF16_S3_KPDF16_EEvlllT_PT11_llS8_llS6_PT12_llPT13_lli,comdat
	.globl	_ZN12_GLOBAL__N_127rocblas_gemm_batched_kernelIDF16_Li16ELi16ELi32ELi32ELi8ELi32ELi8ELi8ELi32ELc84ELc78EKPKDF16_S3_KPDF16_EEvlllT_PT11_llS8_llS6_PT12_llPT13_lli ; -- Begin function _ZN12_GLOBAL__N_127rocblas_gemm_batched_kernelIDF16_Li16ELi16ELi32ELi32ELi8ELi32ELi8ELi8ELi32ELc84ELc78EKPKDF16_S3_KPDF16_EEvlllT_PT11_llS8_llS6_PT12_llPT13_lli
	.p2align	8
	.type	_ZN12_GLOBAL__N_127rocblas_gemm_batched_kernelIDF16_Li16ELi16ELi32ELi32ELi8ELi32ELi8ELi8ELi32ELc84ELc78EKPKDF16_S3_KPDF16_EEvlllT_PT11_llS8_llS6_PT12_llPT13_lli,@function
_ZN12_GLOBAL__N_127rocblas_gemm_batched_kernelIDF16_Li16ELi16ELi32ELi32ELi8ELi32ELi8ELi8ELi32ELc84ELc78EKPKDF16_S3_KPDF16_EEvlllT_PT11_llS8_llS6_PT12_llPT13_lli: ; @_ZN12_GLOBAL__N_127rocblas_gemm_batched_kernelIDF16_Li16ELi16ELi32ELi32ELi8ELi32ELi8ELi8ELi32ELc84ELc78EKPKDF16_S3_KPDF16_EEvlllT_PT11_llS8_llS6_PT12_llPT13_lli
; %bb.0:
	s_load_dwordx2 s[30:31], s[4:5], 0x10
	s_load_dwordx4 s[0:3], s[4:5], 0x78
	s_load_dwordx8 s[12:19], s[4:5], 0x58
	s_mov_b32 s9, 0
	s_lshl_b64 s[34:35], s[8:9], 3
	s_mov_b32 s10, s7
	v_bfe_u32 v7, v0, 10, 10
	s_waitcnt lgkmcnt(0)
	s_add_u32 s8, s12, s34
	s_addc_u32 s9, s13, s35
	s_load_dwordx2 s[12:13], s[8:9], 0x0
	s_add_u32 s8, s18, s34
	s_addc_u32 s9, s19, s35
	s_load_dwordx2 s[18:19], s[8:9], 0x0
	s_ashr_i32 s7, s6, 31
	s_ashr_i32 s11, s10, 31
	v_cmp_lt_i64_e64 s[8:9], s[30:31], 1
	v_and_b32_e32 v6, 0x3ff, v0
	s_lshl_b64 s[6:7], s[6:7], 5
	s_lshl_b64 s[28:29], s[10:11], 5
	s_and_b64 vcc, exec, s[8:9]
	s_cbranch_vccnz .LBB157_3
; %bb.1:
	s_load_dwordx8 s[20:27], s[4:5], 0x20
	s_load_dwordx4 s[8:11], s[4:5], 0x40
	v_lshlrev_b32_e32 v0, 4, v7
	v_add_u32_e32 v1, v0, v6
	v_lshrrev_b32_e32 v2, 3, v1
	v_and_b32_e32 v5, 7, v6
	v_and_b32_e32 v8, 31, v1
	s_waitcnt lgkmcnt(0)
	s_add_u32 s20, s20, s34
	v_mov_b32_e32 v3, s29
	v_add_co_u32_e32 v4, vcc, s28, v2
	v_lshrrev_b32_e32 v9, 5, v1
	v_lshlrev_b32_e32 v1, 1, v8
	v_lshlrev_b32_e32 v5, 1, v5
	s_addc_u32 s21, s21, s35
	v_addc_co_u32_e32 v3, vcc, 0, v3, vcc
	v_lshl_or_b32 v12, v9, 6, v1
	v_lshl_or_b32 v1, v2, 4, v5
	s_add_u32 s26, s26, s34
	v_add_u32_e32 v13, 0x200, v1
	v_add_u32_e32 v15, 0x200, v0
	v_mul_lo_u32 v2, s9, v4
	v_mul_lo_u32 v3, s8, v3
	v_mad_u64_u32 v[0:1], s[8:9], s8, v4, 0
	s_addc_u32 s27, s27, s35
	v_add3_u32 v1, v1, v3, v2
	s_load_dwordx2 s[26:27], s[26:27], 0x0
	v_lshlrev_b64 v[0:1], 1, v[0:1]
	s_lshl_b64 s[8:9], s[10:11], 1
	v_mov_b32_e32 v2, s9
	v_add_co_u32_e32 v0, vcc, s8, v0
	v_addc_co_u32_e32 v1, vcc, v1, v2, vcc
	v_add_co_u32_e32 v0, vcc, v0, v5
	v_addc_co_u32_e32 v1, vcc, 0, v1, vcc
	s_waitcnt lgkmcnt(0)
	v_mov_b32_e32 v2, s27
	v_add_co_u32_e32 v0, vcc, s26, v0
	v_addc_co_u32_e32 v1, vcc, v2, v1, vcc
	v_mov_b32_e32 v2, s7
	v_add_co_u32_e32 v3, vcc, s6, v8
	v_addc_co_u32_e32 v2, vcc, 0, v2, vcc
	v_mul_lo_u32 v4, s23, v3
	v_mul_lo_u32 v5, s22, v2
	v_mad_u64_u32 v[2:3], s[8:9], s22, v3, 0
	v_add3_u32 v3, v3, v5, v4
	s_load_dwordx2 s[20:21], s[20:21], 0x0
	v_lshlrev_b64 v[2:3], 1, v[2:3]
	s_lshl_b64 s[8:9], s[24:25], 1
	v_mov_b32_e32 v4, s9
	v_add_co_u32_e32 v2, vcc, s8, v2
	v_addc_co_u32_e32 v3, vcc, v3, v4, vcc
	v_lshlrev_b32_e32 v4, 1, v9
	v_add_co_u32_e32 v2, vcc, v2, v4
	v_addc_co_u32_e32 v3, vcc, 0, v3, vcc
	s_waitcnt lgkmcnt(0)
	v_mov_b32_e32 v4, s21
	v_add_co_u32_e32 v2, vcc, s20, v2
	v_lshlrev_b32_e32 v14, 1, v6
	v_addc_co_u32_e32 v3, vcc, v4, v3, vcc
	s_mov_b64 s[8:9], 0
	v_mov_b32_e32 v8, 0
	v_pk_mov_b32 v[4:5], s[30:31], s[30:31] op_sel:[0,1]
	v_mov_b32_e32 v9, 0
	v_mov_b32_e32 v10, 0
	;; [unrolled: 1-line block ×3, first 2 shown]
.LBB157_2:                              ; =>This Inner Loop Header: Depth=1
	global_load_ushort v16, v[2:3], off
	global_load_ushort v17, v[0:1], off
	v_add_co_u32_e32 v0, vcc, 16, v0
	v_addc_co_u32_e32 v1, vcc, 0, v1, vcc
	s_add_u32 s8, s8, 8
	v_add_co_u32_e32 v2, vcc, 16, v2
	v_addc_co_u32_e32 v3, vcc, 0, v3, vcc
	s_addc_u32 s9, s9, 0
	v_cmp_lt_i64_e32 vcc, s[8:9], v[4:5]
	s_and_b64 vcc, exec, vcc
	s_waitcnt vmcnt(1)
	ds_write_b16 v12, v16
	s_waitcnt vmcnt(0)
	ds_write_b16 v13, v17
	s_waitcnt lgkmcnt(0)
	s_barrier
	ds_read_b128 v[16:19], v15
	ds_read_b128 v[20:23], v15 offset:256
	ds_read_u16 v24, v14
	ds_read_u16 v25, v14 offset:32
	ds_read_u16 v26, v14 offset:64
	;; [unrolled: 1-line block ×15, first 2 shown]
	s_waitcnt lgkmcnt(14)
	v_lshrrev_b32_e32 v40, 16, v16
	v_fma_f16 v11, v24, v16, v11
	v_fma_f16 v10, v25, v16, v10
	v_lshrrev_b32_e32 v16, 16, v20
	v_fma_f16 v9, v24, v20, v9
	v_fma_f16 v8, v25, v20, v8
	s_waitcnt lgkmcnt(13)
	v_fma_f16 v11, v26, v40, v11
	s_waitcnt lgkmcnt(12)
	v_fma_f16 v10, v27, v40, v10
	v_fma_f16 v9, v26, v16, v9
	v_fma_f16 v8, v27, v16, v8
	v_lshrrev_b32_e32 v41, 16, v17
	v_lshrrev_b32_e32 v44, 16, v21
	s_waitcnt lgkmcnt(11)
	v_fma_f16 v11, v28, v17, v11
	s_waitcnt lgkmcnt(10)
	v_fma_f16 v10, v29, v17, v10
	v_fma_f16 v9, v28, v21, v9
	v_fma_f16 v8, v29, v21, v8
	s_waitcnt lgkmcnt(9)
	v_fma_f16 v11, v30, v41, v11
	s_waitcnt lgkmcnt(8)
	v_fma_f16 v10, v31, v41, v10
	v_fma_f16 v9, v30, v44, v9
	v_fma_f16 v8, v31, v44, v8
	v_lshrrev_b32_e32 v42, 16, v18
	v_lshrrev_b32_e32 v45, 16, v22
	s_waitcnt lgkmcnt(7)
	v_fma_f16 v11, v32, v18, v11
	s_waitcnt lgkmcnt(6)
	v_fma_f16 v10, v33, v18, v10
	;; [unrolled: 14-line block ×3, first 2 shown]
	v_fma_f16 v9, v36, v23, v9
	v_fma_f16 v8, v37, v23, v8
	s_waitcnt lgkmcnt(1)
	v_fma_f16 v11, v38, v43, v11
	s_waitcnt lgkmcnt(0)
	v_fma_f16 v10, v39, v43, v10
	v_fma_f16 v9, v38, v46, v9
	v_fma_f16 v8, v39, v46, v8
	s_barrier
	s_cbranch_vccnz .LBB157_2
	s_branch .LBB157_4
.LBB157_3:
	v_mov_b32_e32 v11, 0
	v_mov_b32_e32 v10, 0
	;; [unrolled: 1-line block ×4, first 2 shown]
.LBB157_4:
	s_load_dword s8, s[4:5], 0x18
	s_load_dword s9, s[4:5], 0x50
	v_mov_b32_e32 v0, s29
	v_add_co_u32_e32 v2, vcc, s28, v7
	s_lshl_b64 s[2:3], s[2:3], 1
	v_addc_co_u32_e32 v5, vcc, 0, v0, vcc
	s_waitcnt lgkmcnt(0)
	s_add_u32 s4, s18, s2
	v_mov_b32_e32 v1, s7
	v_add_co_u32_e32 v0, vcc, s6, v6
	s_addc_u32 s5, s19, s3
	v_cmp_neq_f16_e64 s[2:3], s9, 0
	v_addc_co_u32_e32 v1, vcc, 0, v1, vcc
	s_and_b64 vcc, exec, s[2:3]
	v_mul_lo_u32 v3, v5, s0
	v_mul_lo_u32 v4, v2, s1
	v_lshlrev_b64 v[0:1], 1, v[0:1]
	s_cbranch_vccnz .LBB157_8
; %bb.5:
	v_mad_u64_u32 v[6:7], s[2:3], v2, s0, 0
	v_add3_u32 v7, v7, v4, v3
	v_lshlrev_b64 v[6:7], 1, v[6:7]
	v_mov_b32_e32 v12, s5
	v_add_co_u32_e32 v6, vcc, s4, v6
	v_addc_co_u32_e32 v7, vcc, v12, v7, vcc
	v_add_co_u32_e32 v6, vcc, v6, v0
	v_mul_f16_e32 v12, s8, v11
	v_addc_co_u32_e32 v7, vcc, v7, v1, vcc
	global_store_short v[6:7], v12, off
	v_mul_f16_e32 v12, s8, v10
	s_lshl_b64 s[2:3], s[0:1], 5
	global_store_short v[6:7], v12, off offset:32
	v_mov_b32_e32 v13, s3
	v_add_co_u32_e32 v6, vcc, s2, v6
	v_mul_f16_e32 v12, s8, v9
	v_addc_co_u32_e32 v7, vcc, v7, v13, vcc
	global_store_short v[6:7], v12, off
	v_mul_f16_e32 v12, s8, v8
	global_store_short v[6:7], v12, off offset:32
	s_cbranch_execnz .LBB157_7
.LBB157_6:
	s_lshl_b64 s[2:3], s[16:17], 1
	s_add_u32 s6, s12, s2
	s_addc_u32 s7, s13, s3
	v_mul_lo_u32 v5, v5, s14
	v_mul_lo_u32 v12, v2, s15
	v_mad_u64_u32 v[6:7], s[2:3], v2, s14, 0
	v_add3_u32 v7, v7, v12, v5
	v_lshlrev_b64 v[6:7], 1, v[6:7]
	v_mov_b32_e32 v5, s7
	v_add_co_u32_e32 v6, vcc, s6, v6
	v_addc_co_u32_e32 v5, vcc, v5, v7, vcc
	v_add_co_u32_e32 v6, vcc, v6, v0
	v_addc_co_u32_e32 v7, vcc, v5, v1, vcc
	global_load_ushort v5, v[6:7], off
	v_mad_u64_u32 v[12:13], s[2:3], v2, s0, 0
	v_add3_u32 v13, v13, v4, v3
	v_lshlrev_b64 v[2:3], 1, v[12:13]
	v_mov_b32_e32 v14, s5
	v_add_co_u32_e32 v2, vcc, s4, v2
	v_addc_co_u32_e32 v3, vcc, v14, v3, vcc
	v_add_co_u32_e32 v0, vcc, v2, v0
	v_addc_co_u32_e32 v1, vcc, v3, v1, vcc
	s_lshl_b64 s[2:3], s[14:15], 5
	v_mov_b32_e32 v3, s3
	s_lshl_b64 s[0:1], s[0:1], 5
	s_waitcnt vmcnt(0)
	v_mul_f16_e32 v2, s9, v5
	v_fma_f16 v2, v11, s8, v2
	global_store_short v[0:1], v2, off
	global_load_ushort v4, v[6:7], off offset:32
	v_add_co_u32_e32 v2, vcc, s2, v6
	v_addc_co_u32_e32 v3, vcc, v7, v3, vcc
	v_mov_b32_e32 v5, s1
	s_waitcnt vmcnt(0)
	v_mul_f16_e32 v4, s9, v4
	v_fma_f16 v4, v10, s8, v4
	global_store_short v[0:1], v4, off offset:32
	global_load_ushort v4, v[2:3], off
	v_add_co_u32_e32 v0, vcc, s0, v0
	v_addc_co_u32_e32 v1, vcc, v1, v5, vcc
	s_waitcnt vmcnt(0)
	v_mul_f16_e32 v4, s9, v4
	v_fma_f16 v4, v9, s8, v4
	global_store_short v[0:1], v4, off
	global_load_ushort v2, v[2:3], off offset:32
	s_waitcnt vmcnt(0)
	v_mul_f16_e32 v2, s9, v2
	v_fma_f16 v2, v8, s8, v2
	global_store_short v[0:1], v2, off offset:32
.LBB157_7:
	s_endpgm
.LBB157_8:
	s_branch .LBB157_6
	.section	.rodata,"a",@progbits
	.p2align	6, 0x0
	.amdhsa_kernel _ZN12_GLOBAL__N_127rocblas_gemm_batched_kernelIDF16_Li16ELi16ELi32ELi32ELi8ELi32ELi8ELi8ELi32ELc84ELc78EKPKDF16_S3_KPDF16_EEvlllT_PT11_llS8_llS6_PT12_llPT13_lli
		.amdhsa_group_segment_fixed_size 1024
		.amdhsa_private_segment_fixed_size 0
		.amdhsa_kernarg_size 140
		.amdhsa_user_sgpr_count 6
		.amdhsa_user_sgpr_private_segment_buffer 1
		.amdhsa_user_sgpr_dispatch_ptr 0
		.amdhsa_user_sgpr_queue_ptr 0
		.amdhsa_user_sgpr_kernarg_segment_ptr 1
		.amdhsa_user_sgpr_dispatch_id 0
		.amdhsa_user_sgpr_flat_scratch_init 0
		.amdhsa_user_sgpr_kernarg_preload_length 0
		.amdhsa_user_sgpr_kernarg_preload_offset 0
		.amdhsa_user_sgpr_private_segment_size 0
		.amdhsa_uses_dynamic_stack 0
		.amdhsa_system_sgpr_private_segment_wavefront_offset 0
		.amdhsa_system_sgpr_workgroup_id_x 1
		.amdhsa_system_sgpr_workgroup_id_y 1
		.amdhsa_system_sgpr_workgroup_id_z 1
		.amdhsa_system_sgpr_workgroup_info 0
		.amdhsa_system_vgpr_workitem_id 1
		.amdhsa_next_free_vgpr 47
		.amdhsa_next_free_sgpr 36
		.amdhsa_accum_offset 48
		.amdhsa_reserve_vcc 1
		.amdhsa_reserve_flat_scratch 0
		.amdhsa_float_round_mode_32 0
		.amdhsa_float_round_mode_16_64 0
		.amdhsa_float_denorm_mode_32 3
		.amdhsa_float_denorm_mode_16_64 3
		.amdhsa_dx10_clamp 1
		.amdhsa_ieee_mode 1
		.amdhsa_fp16_overflow 0
		.amdhsa_tg_split 0
		.amdhsa_exception_fp_ieee_invalid_op 0
		.amdhsa_exception_fp_denorm_src 0
		.amdhsa_exception_fp_ieee_div_zero 0
		.amdhsa_exception_fp_ieee_overflow 0
		.amdhsa_exception_fp_ieee_underflow 0
		.amdhsa_exception_fp_ieee_inexact 0
		.amdhsa_exception_int_div_zero 0
	.end_amdhsa_kernel
	.section	.text._ZN12_GLOBAL__N_127rocblas_gemm_batched_kernelIDF16_Li16ELi16ELi32ELi32ELi8ELi32ELi8ELi8ELi32ELc84ELc78EKPKDF16_S3_KPDF16_EEvlllT_PT11_llS8_llS6_PT12_llPT13_lli,"axG",@progbits,_ZN12_GLOBAL__N_127rocblas_gemm_batched_kernelIDF16_Li16ELi16ELi32ELi32ELi8ELi32ELi8ELi8ELi32ELc84ELc78EKPKDF16_S3_KPDF16_EEvlllT_PT11_llS8_llS6_PT12_llPT13_lli,comdat
.Lfunc_end157:
	.size	_ZN12_GLOBAL__N_127rocblas_gemm_batched_kernelIDF16_Li16ELi16ELi32ELi32ELi8ELi32ELi8ELi8ELi32ELc84ELc78EKPKDF16_S3_KPDF16_EEvlllT_PT11_llS8_llS6_PT12_llPT13_lli, .Lfunc_end157-_ZN12_GLOBAL__N_127rocblas_gemm_batched_kernelIDF16_Li16ELi16ELi32ELi32ELi8ELi32ELi8ELi8ELi32ELc84ELc78EKPKDF16_S3_KPDF16_EEvlllT_PT11_llS8_llS6_PT12_llPT13_lli
                                        ; -- End function
	.section	.AMDGPU.csdata,"",@progbits
; Kernel info:
; codeLenInByte = 1548
; NumSgprs: 40
; NumVgprs: 47
; NumAgprs: 0
; TotalNumVgprs: 47
; ScratchSize: 0
; MemoryBound: 0
; FloatMode: 240
; IeeeMode: 1
; LDSByteSize: 1024 bytes/workgroup (compile time only)
; SGPRBlocks: 4
; VGPRBlocks: 5
; NumSGPRsForWavesPerEU: 40
; NumVGPRsForWavesPerEU: 47
; AccumOffset: 48
; Occupancy: 8
; WaveLimiterHint : 1
; COMPUTE_PGM_RSRC2:SCRATCH_EN: 0
; COMPUTE_PGM_RSRC2:USER_SGPR: 6
; COMPUTE_PGM_RSRC2:TRAP_HANDLER: 0
; COMPUTE_PGM_RSRC2:TGID_X_EN: 1
; COMPUTE_PGM_RSRC2:TGID_Y_EN: 1
; COMPUTE_PGM_RSRC2:TGID_Z_EN: 1
; COMPUTE_PGM_RSRC2:TIDIG_COMP_CNT: 1
; COMPUTE_PGM_RSRC3_GFX90A:ACCUM_OFFSET: 11
; COMPUTE_PGM_RSRC3_GFX90A:TG_SPLIT: 0
	.section	.text._ZN12_GLOBAL__N_127rocblas_gemm_batched_kernelIDF16_Li16ELi16ELi32ELi32ELi8ELi32ELi8ELi8ELi32ELc78ELc84EKPKDF16_S3_KPDF16_EEvlllT_PT11_llS8_llS6_PT12_llPT13_lli,"axG",@progbits,_ZN12_GLOBAL__N_127rocblas_gemm_batched_kernelIDF16_Li16ELi16ELi32ELi32ELi8ELi32ELi8ELi8ELi32ELc78ELc84EKPKDF16_S3_KPDF16_EEvlllT_PT11_llS8_llS6_PT12_llPT13_lli,comdat
	.globl	_ZN12_GLOBAL__N_127rocblas_gemm_batched_kernelIDF16_Li16ELi16ELi32ELi32ELi8ELi32ELi8ELi8ELi32ELc78ELc84EKPKDF16_S3_KPDF16_EEvlllT_PT11_llS8_llS6_PT12_llPT13_lli ; -- Begin function _ZN12_GLOBAL__N_127rocblas_gemm_batched_kernelIDF16_Li16ELi16ELi32ELi32ELi8ELi32ELi8ELi8ELi32ELc78ELc84EKPKDF16_S3_KPDF16_EEvlllT_PT11_llS8_llS6_PT12_llPT13_lli
	.p2align	8
	.type	_ZN12_GLOBAL__N_127rocblas_gemm_batched_kernelIDF16_Li16ELi16ELi32ELi32ELi8ELi32ELi8ELi8ELi32ELc78ELc84EKPKDF16_S3_KPDF16_EEvlllT_PT11_llS8_llS6_PT12_llPT13_lli,@function
_ZN12_GLOBAL__N_127rocblas_gemm_batched_kernelIDF16_Li16ELi16ELi32ELi32ELi8ELi32ELi8ELi8ELi32ELc78ELc84EKPKDF16_S3_KPDF16_EEvlllT_PT11_llS8_llS6_PT12_llPT13_lli: ; @_ZN12_GLOBAL__N_127rocblas_gemm_batched_kernelIDF16_Li16ELi16ELi32ELi32ELi8ELi32ELi8ELi8ELi32ELc78ELc84EKPKDF16_S3_KPDF16_EEvlllT_PT11_llS8_llS6_PT12_llPT13_lli
; %bb.0:
	s_load_dwordx2 s[30:31], s[4:5], 0x10
	s_load_dwordx4 s[0:3], s[4:5], 0x78
	s_load_dwordx8 s[12:19], s[4:5], 0x58
	s_mov_b32 s9, 0
	s_lshl_b64 s[34:35], s[8:9], 3
	s_mov_b32 s10, s7
	v_bfe_u32 v9, v0, 10, 10
	s_waitcnt lgkmcnt(0)
	s_add_u32 s8, s12, s34
	s_addc_u32 s9, s13, s35
	s_load_dwordx2 s[12:13], s[8:9], 0x0
	s_add_u32 s8, s18, s34
	s_addc_u32 s9, s19, s35
	s_load_dwordx2 s[18:19], s[8:9], 0x0
	s_ashr_i32 s7, s6, 31
	s_ashr_i32 s11, s10, 31
	v_cmp_lt_i64_e64 s[8:9], s[30:31], 1
	v_and_b32_e32 v8, 0x3ff, v0
	s_lshl_b64 s[6:7], s[6:7], 5
	s_lshl_b64 s[28:29], s[10:11], 5
	s_and_b64 vcc, exec, s[8:9]
	s_cbranch_vccnz .LBB158_3
; %bb.1:
	s_load_dwordx8 s[20:27], s[4:5], 0x20
	s_load_dwordx4 s[8:11], s[4:5], 0x40
	v_lshlrev_b32_e32 v2, 4, v9
	v_add_u32_e32 v3, v2, v8
	v_and_b32_e32 v10, 31, v3
	s_waitcnt lgkmcnt(0)
	s_add_u32 s20, s20, s34
	s_addc_u32 s21, s21, s35
	s_add_u32 s26, s26, s34
	v_lshrrev_b32_e32 v0, 3, v3
	v_and_b32_e32 v4, 7, v8
	v_lshrrev_b32_e32 v6, 5, v3
	v_lshlrev_b32_e32 v3, 1, v10
	s_addc_u32 s27, s27, s35
	v_lshl_or_b32 v12, v6, 6, v3
	v_lshlrev_b32_e32 v3, 1, v4
	s_load_dwordx2 s[26:27], s[26:27], 0x0
	v_mov_b32_e32 v1, 0
	v_lshl_or_b32 v3, v0, 4, v3
	v_add_u32_e32 v13, 0x200, v3
	v_add_u32_e32 v15, 0x200, v2
	v_mad_u64_u32 v[2:3], s[34:35], v4, s8, v[0:1]
	v_mov_b32_e32 v0, v3
	v_mad_u64_u32 v[4:5], s[34:35], v4, s9, v[0:1]
	s_lshl_b64 s[10:11], s[10:11], 1
	v_mov_b32_e32 v3, v4
	v_mov_b32_e32 v0, s29
	v_add_co_u32_e32 v2, vcc, s28, v2
	v_addc_co_u32_e32 v3, vcc, v3, v0, vcc
	s_waitcnt lgkmcnt(0)
	s_add_u32 s10, s26, s10
	s_load_dwordx2 s[20:21], s[20:21], 0x0
	v_lshlrev_b64 v[2:3], 1, v[2:3]
	s_addc_u32 s11, s27, s11
	v_pk_mov_b32 v[4:5], s[6:7], s[6:7] op_sel:[0,1]
	v_mov_b32_e32 v0, s11
	v_add_co_u32_e32 v2, vcc, s10, v2
	s_lshl_b64 s[10:11], s[24:25], 1
	v_mad_u64_u32 v[4:5], s[24:25], v6, s22, v[4:5]
	v_addc_co_u32_e32 v3, vcc, v0, v3, vcc
	v_mov_b32_e32 v0, v5
	v_mad_u64_u32 v[6:7], s[24:25], v6, s23, v[0:1]
	s_lshl_b64 s[8:9], s[8:9], 4
	v_mov_b32_e32 v5, v6
	v_add_co_u32_e32 v4, vcc, v4, v10
	v_addc_co_u32_e32 v5, vcc, 0, v5, vcc
	s_waitcnt lgkmcnt(0)
	s_add_u32 s10, s20, s10
	v_lshlrev_b64 v[4:5], 1, v[4:5]
	s_addc_u32 s11, s21, s11
	v_mov_b32_e32 v0, s11
	v_add_co_u32_e32 v4, vcc, s10, v4
	s_lshl_b64 s[10:11], s[22:23], 4
	v_lshlrev_b32_e32 v14, 1, v8
	v_addc_co_u32_e32 v5, vcc, v0, v5, vcc
	s_mov_b64 s[20:21], 0
	v_mov_b32_e32 v16, s9
	v_mov_b32_e32 v17, s11
	v_pk_mov_b32 v[6:7], s[30:31], s[30:31] op_sel:[0,1]
	v_mov_b32_e32 v0, v1
	v_mov_b32_e32 v10, v1
	v_mov_b32_e32 v11, v1
.LBB158_2:                              ; =>This Inner Loop Header: Depth=1
	global_load_ushort v18, v[4:5], off
	global_load_ushort v19, v[2:3], off
	v_add_co_u32_e32 v2, vcc, s8, v2
	v_addc_co_u32_e32 v3, vcc, v3, v16, vcc
	s_add_u32 s20, s20, 8
	v_add_co_u32_e32 v4, vcc, s10, v4
	v_addc_co_u32_e32 v5, vcc, v5, v17, vcc
	s_addc_u32 s21, s21, 0
	v_cmp_lt_i64_e32 vcc, s[20:21], v[6:7]
	s_and_b64 vcc, exec, vcc
	s_waitcnt vmcnt(1)
	ds_write_b16 v12, v18
	s_waitcnt vmcnt(0)
	ds_write_b16 v13, v19
	s_waitcnt lgkmcnt(0)
	s_barrier
	ds_read_b128 v[18:21], v15
	ds_read_b128 v[22:25], v15 offset:256
	ds_read_u16 v26, v14
	ds_read_u16 v27, v14 offset:32
	ds_read_u16 v28, v14 offset:64
	;; [unrolled: 1-line block ×15, first 2 shown]
	s_waitcnt lgkmcnt(14)
	v_lshrrev_b32_e32 v42, 16, v18
	v_fma_f16 v11, v26, v18, v11
	v_fma_f16 v10, v27, v18, v10
	v_lshrrev_b32_e32 v18, 16, v22
	v_fma_f16 v0, v26, v22, v0
	v_fma_f16 v1, v27, v22, v1
	s_waitcnt lgkmcnt(13)
	v_fma_f16 v11, v28, v42, v11
	s_waitcnt lgkmcnt(12)
	v_fma_f16 v10, v29, v42, v10
	v_fma_f16 v0, v28, v18, v0
	v_fma_f16 v1, v29, v18, v1
	v_lshrrev_b32_e32 v43, 16, v19
	v_lshrrev_b32_e32 v46, 16, v23
	s_waitcnt lgkmcnt(11)
	v_fma_f16 v11, v30, v19, v11
	s_waitcnt lgkmcnt(10)
	v_fma_f16 v10, v31, v19, v10
	v_fma_f16 v0, v30, v23, v0
	v_fma_f16 v1, v31, v23, v1
	s_waitcnt lgkmcnt(9)
	v_fma_f16 v11, v32, v43, v11
	s_waitcnt lgkmcnt(8)
	v_fma_f16 v10, v33, v43, v10
	v_fma_f16 v0, v32, v46, v0
	v_fma_f16 v1, v33, v46, v1
	v_lshrrev_b32_e32 v44, 16, v20
	v_lshrrev_b32_e32 v47, 16, v24
	s_waitcnt lgkmcnt(7)
	v_fma_f16 v11, v34, v20, v11
	s_waitcnt lgkmcnt(6)
	v_fma_f16 v10, v35, v20, v10
	;; [unrolled: 14-line block ×3, first 2 shown]
	v_fma_f16 v0, v38, v25, v0
	v_fma_f16 v1, v39, v25, v1
	s_waitcnt lgkmcnt(1)
	v_fma_f16 v11, v40, v45, v11
	s_waitcnt lgkmcnt(0)
	v_fma_f16 v10, v41, v45, v10
	v_fma_f16 v0, v40, v48, v0
	;; [unrolled: 1-line block ×3, first 2 shown]
	s_barrier
	s_cbranch_vccnz .LBB158_2
	s_branch .LBB158_4
.LBB158_3:
	v_mov_b32_e32 v11, 0
	v_mov_b32_e32 v10, 0
	;; [unrolled: 1-line block ×4, first 2 shown]
.LBB158_4:
	s_load_dword s8, s[4:5], 0x18
	s_load_dword s9, s[4:5], 0x50
	v_mov_b32_e32 v2, s29
	v_add_co_u32_e32 v4, vcc, s28, v9
	s_lshl_b64 s[2:3], s[2:3], 1
	v_addc_co_u32_e32 v7, vcc, 0, v2, vcc
	s_waitcnt lgkmcnt(0)
	s_add_u32 s4, s18, s2
	v_mov_b32_e32 v3, s7
	v_add_co_u32_e32 v2, vcc, s6, v8
	s_addc_u32 s5, s19, s3
	v_cmp_neq_f16_e64 s[2:3], s9, 0
	v_addc_co_u32_e32 v3, vcc, 0, v3, vcc
	s_and_b64 vcc, exec, s[2:3]
	v_mul_lo_u32 v5, v7, s0
	v_mul_lo_u32 v6, v4, s1
	v_lshlrev_b64 v[2:3], 1, v[2:3]
	s_cbranch_vccnz .LBB158_8
; %bb.5:
	v_mad_u64_u32 v[8:9], s[2:3], v4, s0, 0
	v_add3_u32 v9, v9, v6, v5
	v_lshlrev_b64 v[8:9], 1, v[8:9]
	v_mov_b32_e32 v12, s5
	v_add_co_u32_e32 v8, vcc, s4, v8
	v_addc_co_u32_e32 v9, vcc, v12, v9, vcc
	v_add_co_u32_e32 v8, vcc, v8, v2
	v_mul_f16_e32 v12, s8, v11
	v_addc_co_u32_e32 v9, vcc, v9, v3, vcc
	global_store_short v[8:9], v12, off
	v_mul_f16_e32 v12, s8, v10
	s_lshl_b64 s[2:3], s[0:1], 5
	global_store_short v[8:9], v12, off offset:32
	v_mov_b32_e32 v13, s3
	v_add_co_u32_e32 v8, vcc, s2, v8
	v_mul_f16_e32 v12, s8, v0
	v_addc_co_u32_e32 v9, vcc, v9, v13, vcc
	global_store_short v[8:9], v12, off
	v_mul_f16_e32 v12, s8, v1
	global_store_short v[8:9], v12, off offset:32
	s_cbranch_execnz .LBB158_7
.LBB158_6:
	s_lshl_b64 s[2:3], s[16:17], 1
	s_add_u32 s6, s12, s2
	s_addc_u32 s7, s13, s3
	v_mul_lo_u32 v7, v7, s14
	v_mul_lo_u32 v12, v4, s15
	v_mad_u64_u32 v[8:9], s[2:3], v4, s14, 0
	v_add3_u32 v9, v9, v12, v7
	v_lshlrev_b64 v[8:9], 1, v[8:9]
	v_mov_b32_e32 v7, s7
	v_add_co_u32_e32 v8, vcc, s6, v8
	v_addc_co_u32_e32 v7, vcc, v7, v9, vcc
	v_add_co_u32_e32 v8, vcc, v8, v2
	v_addc_co_u32_e32 v9, vcc, v7, v3, vcc
	global_load_ushort v7, v[8:9], off
	v_mad_u64_u32 v[12:13], s[2:3], v4, s0, 0
	v_add3_u32 v13, v13, v6, v5
	v_lshlrev_b64 v[4:5], 1, v[12:13]
	v_mov_b32_e32 v14, s5
	v_add_co_u32_e32 v4, vcc, s4, v4
	v_addc_co_u32_e32 v5, vcc, v14, v5, vcc
	v_add_co_u32_e32 v2, vcc, v4, v2
	v_addc_co_u32_e32 v3, vcc, v5, v3, vcc
	s_lshl_b64 s[2:3], s[14:15], 5
	v_mov_b32_e32 v5, s3
	s_lshl_b64 s[0:1], s[0:1], 5
	s_waitcnt vmcnt(0)
	v_mul_f16_e32 v4, s9, v7
	v_fma_f16 v4, v11, s8, v4
	global_store_short v[2:3], v4, off
	global_load_ushort v6, v[8:9], off offset:32
	v_add_co_u32_e32 v4, vcc, s2, v8
	v_addc_co_u32_e32 v5, vcc, v9, v5, vcc
	v_mov_b32_e32 v7, s1
	s_waitcnt vmcnt(0)
	v_mul_f16_e32 v6, s9, v6
	v_fma_f16 v6, v10, s8, v6
	global_store_short v[2:3], v6, off offset:32
	global_load_ushort v6, v[4:5], off
	v_add_co_u32_e32 v2, vcc, s0, v2
	v_addc_co_u32_e32 v3, vcc, v3, v7, vcc
	s_waitcnt vmcnt(0)
	v_mul_f16_e32 v6, s9, v6
	v_fma_f16 v0, v0, s8, v6
	global_store_short v[2:3], v0, off
	global_load_ushort v0, v[4:5], off offset:32
	s_waitcnt vmcnt(0)
	v_mul_f16_e32 v0, s9, v0
	v_fma_f16 v0, v1, s8, v0
	global_store_short v[2:3], v0, off offset:32
.LBB158_7:
	s_endpgm
.LBB158_8:
	s_branch .LBB158_6
	.section	.rodata,"a",@progbits
	.p2align	6, 0x0
	.amdhsa_kernel _ZN12_GLOBAL__N_127rocblas_gemm_batched_kernelIDF16_Li16ELi16ELi32ELi32ELi8ELi32ELi8ELi8ELi32ELc78ELc84EKPKDF16_S3_KPDF16_EEvlllT_PT11_llS8_llS6_PT12_llPT13_lli
		.amdhsa_group_segment_fixed_size 1024
		.amdhsa_private_segment_fixed_size 0
		.amdhsa_kernarg_size 140
		.amdhsa_user_sgpr_count 6
		.amdhsa_user_sgpr_private_segment_buffer 1
		.amdhsa_user_sgpr_dispatch_ptr 0
		.amdhsa_user_sgpr_queue_ptr 0
		.amdhsa_user_sgpr_kernarg_segment_ptr 1
		.amdhsa_user_sgpr_dispatch_id 0
		.amdhsa_user_sgpr_flat_scratch_init 0
		.amdhsa_user_sgpr_kernarg_preload_length 0
		.amdhsa_user_sgpr_kernarg_preload_offset 0
		.amdhsa_user_sgpr_private_segment_size 0
		.amdhsa_uses_dynamic_stack 0
		.amdhsa_system_sgpr_private_segment_wavefront_offset 0
		.amdhsa_system_sgpr_workgroup_id_x 1
		.amdhsa_system_sgpr_workgroup_id_y 1
		.amdhsa_system_sgpr_workgroup_id_z 1
		.amdhsa_system_sgpr_workgroup_info 0
		.amdhsa_system_vgpr_workitem_id 1
		.amdhsa_next_free_vgpr 49
		.amdhsa_next_free_sgpr 36
		.amdhsa_accum_offset 52
		.amdhsa_reserve_vcc 1
		.amdhsa_reserve_flat_scratch 0
		.amdhsa_float_round_mode_32 0
		.amdhsa_float_round_mode_16_64 0
		.amdhsa_float_denorm_mode_32 3
		.amdhsa_float_denorm_mode_16_64 3
		.amdhsa_dx10_clamp 1
		.amdhsa_ieee_mode 1
		.amdhsa_fp16_overflow 0
		.amdhsa_tg_split 0
		.amdhsa_exception_fp_ieee_invalid_op 0
		.amdhsa_exception_fp_denorm_src 0
		.amdhsa_exception_fp_ieee_div_zero 0
		.amdhsa_exception_fp_ieee_overflow 0
		.amdhsa_exception_fp_ieee_underflow 0
		.amdhsa_exception_fp_ieee_inexact 0
		.amdhsa_exception_int_div_zero 0
	.end_amdhsa_kernel
	.section	.text._ZN12_GLOBAL__N_127rocblas_gemm_batched_kernelIDF16_Li16ELi16ELi32ELi32ELi8ELi32ELi8ELi8ELi32ELc78ELc84EKPKDF16_S3_KPDF16_EEvlllT_PT11_llS8_llS6_PT12_llPT13_lli,"axG",@progbits,_ZN12_GLOBAL__N_127rocblas_gemm_batched_kernelIDF16_Li16ELi16ELi32ELi32ELi8ELi32ELi8ELi8ELi32ELc78ELc84EKPKDF16_S3_KPDF16_EEvlllT_PT11_llS8_llS6_PT12_llPT13_lli,comdat
.Lfunc_end158:
	.size	_ZN12_GLOBAL__N_127rocblas_gemm_batched_kernelIDF16_Li16ELi16ELi32ELi32ELi8ELi32ELi8ELi8ELi32ELc78ELc84EKPKDF16_S3_KPDF16_EEvlllT_PT11_llS8_llS6_PT12_llPT13_lli, .Lfunc_end158-_ZN12_GLOBAL__N_127rocblas_gemm_batched_kernelIDF16_Li16ELi16ELi32ELi32ELi8ELi32ELi8ELi8ELi32ELc78ELc84EKPKDF16_S3_KPDF16_EEvlllT_PT11_llS8_llS6_PT12_llPT13_lli
                                        ; -- End function
	.section	.AMDGPU.csdata,"",@progbits
; Kernel info:
; codeLenInByte = 1524
; NumSgprs: 40
; NumVgprs: 49
; NumAgprs: 0
; TotalNumVgprs: 49
; ScratchSize: 0
; MemoryBound: 0
; FloatMode: 240
; IeeeMode: 1
; LDSByteSize: 1024 bytes/workgroup (compile time only)
; SGPRBlocks: 4
; VGPRBlocks: 6
; NumSGPRsForWavesPerEU: 40
; NumVGPRsForWavesPerEU: 49
; AccumOffset: 52
; Occupancy: 8
; WaveLimiterHint : 1
; COMPUTE_PGM_RSRC2:SCRATCH_EN: 0
; COMPUTE_PGM_RSRC2:USER_SGPR: 6
; COMPUTE_PGM_RSRC2:TRAP_HANDLER: 0
; COMPUTE_PGM_RSRC2:TGID_X_EN: 1
; COMPUTE_PGM_RSRC2:TGID_Y_EN: 1
; COMPUTE_PGM_RSRC2:TGID_Z_EN: 1
; COMPUTE_PGM_RSRC2:TIDIG_COMP_CNT: 1
; COMPUTE_PGM_RSRC3_GFX90A:ACCUM_OFFSET: 12
; COMPUTE_PGM_RSRC3_GFX90A:TG_SPLIT: 0
	.section	.text._ZN12_GLOBAL__N_127rocblas_gemm_batched_kernelIDF16_Li16ELi16ELi32ELi32ELi8ELi32ELi8ELi8ELi32ELc84ELc84EKPKDF16_S3_KPDF16_EEvlllT_PT11_llS8_llS6_PT12_llPT13_lli,"axG",@progbits,_ZN12_GLOBAL__N_127rocblas_gemm_batched_kernelIDF16_Li16ELi16ELi32ELi32ELi8ELi32ELi8ELi8ELi32ELc84ELc84EKPKDF16_S3_KPDF16_EEvlllT_PT11_llS8_llS6_PT12_llPT13_lli,comdat
	.globl	_ZN12_GLOBAL__N_127rocblas_gemm_batched_kernelIDF16_Li16ELi16ELi32ELi32ELi8ELi32ELi8ELi8ELi32ELc84ELc84EKPKDF16_S3_KPDF16_EEvlllT_PT11_llS8_llS6_PT12_llPT13_lli ; -- Begin function _ZN12_GLOBAL__N_127rocblas_gemm_batched_kernelIDF16_Li16ELi16ELi32ELi32ELi8ELi32ELi8ELi8ELi32ELc84ELc84EKPKDF16_S3_KPDF16_EEvlllT_PT11_llS8_llS6_PT12_llPT13_lli
	.p2align	8
	.type	_ZN12_GLOBAL__N_127rocblas_gemm_batched_kernelIDF16_Li16ELi16ELi32ELi32ELi8ELi32ELi8ELi8ELi32ELc84ELc84EKPKDF16_S3_KPDF16_EEvlllT_PT11_llS8_llS6_PT12_llPT13_lli,@function
_ZN12_GLOBAL__N_127rocblas_gemm_batched_kernelIDF16_Li16ELi16ELi32ELi32ELi8ELi32ELi8ELi8ELi32ELc84ELc84EKPKDF16_S3_KPDF16_EEvlllT_PT11_llS8_llS6_PT12_llPT13_lli: ; @_ZN12_GLOBAL__N_127rocblas_gemm_batched_kernelIDF16_Li16ELi16ELi32ELi32ELi8ELi32ELi8ELi8ELi32ELc84ELc84EKPKDF16_S3_KPDF16_EEvlllT_PT11_llS8_llS6_PT12_llPT13_lli
; %bb.0:
	s_load_dwordx2 s[30:31], s[4:5], 0x10
	s_load_dwordx4 s[0:3], s[4:5], 0x78
	s_load_dwordx8 s[12:19], s[4:5], 0x58
	s_mov_b32 s9, 0
	s_lshl_b64 s[34:35], s[8:9], 3
	s_mov_b32 s10, s7
	v_bfe_u32 v9, v0, 10, 10
	s_waitcnt lgkmcnt(0)
	s_add_u32 s8, s12, s34
	s_addc_u32 s9, s13, s35
	s_load_dwordx2 s[12:13], s[8:9], 0x0
	s_add_u32 s8, s18, s34
	s_addc_u32 s9, s19, s35
	s_load_dwordx2 s[18:19], s[8:9], 0x0
	s_ashr_i32 s7, s6, 31
	s_ashr_i32 s11, s10, 31
	v_cmp_lt_i64_e64 s[8:9], s[30:31], 1
	v_and_b32_e32 v8, 0x3ff, v0
	s_lshl_b64 s[6:7], s[6:7], 5
	s_lshl_b64 s[28:29], s[10:11], 5
	s_and_b64 vcc, exec, s[8:9]
	s_cbranch_vccnz .LBB159_3
; %bb.1:
	s_load_dwordx8 s[20:27], s[4:5], 0x20
	s_load_dwordx4 s[8:11], s[4:5], 0x40
	v_lshlrev_b32_e32 v2, 4, v9
	v_add_u32_e32 v3, v2, v8
	v_and_b32_e32 v6, 31, v3
	s_waitcnt lgkmcnt(0)
	s_add_u32 s20, s20, s34
	s_addc_u32 s21, s21, s35
	s_add_u32 s26, s26, s34
	v_lshrrev_b32_e32 v0, 3, v3
	v_and_b32_e32 v4, 7, v8
	v_lshrrev_b32_e32 v7, 5, v3
	v_lshlrev_b32_e32 v3, 1, v6
	s_addc_u32 s27, s27, s35
	v_lshl_or_b32 v12, v7, 6, v3
	v_lshlrev_b32_e32 v3, 1, v4
	s_load_dwordx2 s[26:27], s[26:27], 0x0
	v_mov_b32_e32 v1, 0
	v_lshl_or_b32 v3, v0, 4, v3
	v_add_u32_e32 v13, 0x200, v3
	v_add_u32_e32 v15, 0x200, v2
	v_mad_u64_u32 v[2:3], s[34:35], v4, s8, v[0:1]
	v_mov_b32_e32 v0, v3
	v_mad_u64_u32 v[4:5], s[34:35], v4, s9, v[0:1]
	s_lshl_b64 s[10:11], s[10:11], 1
	v_mov_b32_e32 v3, v4
	v_mov_b32_e32 v0, s29
	v_add_co_u32_e32 v2, vcc, s28, v2
	v_addc_co_u32_e32 v3, vcc, v3, v0, vcc
	s_waitcnt lgkmcnt(0)
	s_add_u32 s10, s26, s10
	v_lshlrev_b64 v[2:3], 1, v[2:3]
	s_addc_u32 s11, s27, s11
	v_mov_b32_e32 v0, s11
	v_add_co_u32_e32 v2, vcc, s10, v2
	v_addc_co_u32_e32 v3, vcc, v0, v3, vcc
	v_mov_b32_e32 v0, s7
	v_add_co_u32_e32 v4, vcc, s6, v6
	v_addc_co_u32_e32 v0, vcc, 0, v0, vcc
	v_mul_lo_u32 v6, s23, v4
	v_mul_lo_u32 v0, s22, v0
	v_mad_u64_u32 v[4:5], s[10:11], s22, v4, 0
	v_add3_u32 v5, v5, v0, v6
	s_load_dwordx2 s[20:21], s[20:21], 0x0
	v_lshlrev_b64 v[4:5], 1, v[4:5]
	s_lshl_b64 s[10:11], s[24:25], 1
	v_mov_b32_e32 v0, s11
	v_add_co_u32_e32 v4, vcc, s10, v4
	v_addc_co_u32_e32 v0, vcc, v5, v0, vcc
	v_lshlrev_b32_e32 v5, 1, v7
	v_add_co_u32_e32 v4, vcc, v4, v5
	v_addc_co_u32_e32 v0, vcc, 0, v0, vcc
	s_lshl_b64 s[8:9], s[8:9], 4
	s_waitcnt lgkmcnt(0)
	v_mov_b32_e32 v5, s21
	v_add_co_u32_e32 v4, vcc, s20, v4
	v_lshlrev_b32_e32 v14, 1, v8
	v_addc_co_u32_e32 v5, vcc, v5, v0, vcc
	s_mov_b64 s[10:11], 0
	v_mov_b32_e32 v16, s9
	v_pk_mov_b32 v[6:7], s[30:31], s[30:31] op_sel:[0,1]
	v_mov_b32_e32 v0, v1
	v_mov_b32_e32 v10, v1
	;; [unrolled: 1-line block ×3, first 2 shown]
.LBB159_2:                              ; =>This Inner Loop Header: Depth=1
	global_load_ushort v17, v[4:5], off
	global_load_ushort v18, v[2:3], off
	v_add_co_u32_e32 v2, vcc, s8, v2
	v_addc_co_u32_e32 v3, vcc, v3, v16, vcc
	s_add_u32 s10, s10, 8
	v_add_co_u32_e32 v4, vcc, 16, v4
	v_addc_co_u32_e32 v5, vcc, 0, v5, vcc
	s_addc_u32 s11, s11, 0
	v_cmp_lt_i64_e32 vcc, s[10:11], v[6:7]
	s_and_b64 vcc, exec, vcc
	s_waitcnt vmcnt(1)
	ds_write_b16 v12, v17
	s_waitcnt vmcnt(0)
	ds_write_b16 v13, v18
	s_waitcnt lgkmcnt(0)
	s_barrier
	ds_read_b128 v[18:21], v15
	ds_read_b128 v[22:25], v15 offset:256
	ds_read_u16 v17, v14
	ds_read_u16 v26, v14 offset:32
	ds_read_u16 v27, v14 offset:64
	;; [unrolled: 1-line block ×15, first 2 shown]
	s_waitcnt lgkmcnt(14)
	v_lshrrev_b32_e32 v41, 16, v18
	v_fma_f16 v11, v17, v18, v11
	v_fma_f16 v10, v26, v18, v10
	v_lshrrev_b32_e32 v18, 16, v22
	v_fma_f16 v0, v17, v22, v0
	v_fma_f16 v1, v26, v22, v1
	s_waitcnt lgkmcnt(13)
	v_fma_f16 v11, v27, v41, v11
	s_waitcnt lgkmcnt(12)
	v_fma_f16 v10, v28, v41, v10
	v_fma_f16 v0, v27, v18, v0
	v_fma_f16 v1, v28, v18, v1
	v_lshrrev_b32_e32 v42, 16, v19
	v_lshrrev_b32_e32 v45, 16, v23
	s_waitcnt lgkmcnt(11)
	v_fma_f16 v11, v29, v19, v11
	s_waitcnt lgkmcnt(10)
	v_fma_f16 v10, v30, v19, v10
	v_fma_f16 v0, v29, v23, v0
	v_fma_f16 v1, v30, v23, v1
	s_waitcnt lgkmcnt(9)
	v_fma_f16 v11, v31, v42, v11
	s_waitcnt lgkmcnt(8)
	v_fma_f16 v10, v32, v42, v10
	v_fma_f16 v0, v31, v45, v0
	v_fma_f16 v1, v32, v45, v1
	v_lshrrev_b32_e32 v43, 16, v20
	v_lshrrev_b32_e32 v46, 16, v24
	s_waitcnt lgkmcnt(7)
	v_fma_f16 v11, v33, v20, v11
	s_waitcnt lgkmcnt(6)
	v_fma_f16 v10, v34, v20, v10
	;; [unrolled: 14-line block ×3, first 2 shown]
	v_fma_f16 v0, v37, v25, v0
	v_fma_f16 v1, v38, v25, v1
	s_waitcnt lgkmcnt(1)
	v_fma_f16 v11, v39, v44, v11
	s_waitcnt lgkmcnt(0)
	v_fma_f16 v10, v40, v44, v10
	v_fma_f16 v0, v39, v47, v0
	;; [unrolled: 1-line block ×3, first 2 shown]
	s_barrier
	s_cbranch_vccnz .LBB159_2
	s_branch .LBB159_4
.LBB159_3:
	v_mov_b32_e32 v11, 0
	v_mov_b32_e32 v10, 0
	;; [unrolled: 1-line block ×4, first 2 shown]
.LBB159_4:
	s_load_dword s8, s[4:5], 0x18
	s_load_dword s9, s[4:5], 0x50
	v_mov_b32_e32 v2, s29
	v_add_co_u32_e32 v4, vcc, s28, v9
	s_lshl_b64 s[2:3], s[2:3], 1
	v_addc_co_u32_e32 v7, vcc, 0, v2, vcc
	s_waitcnt lgkmcnt(0)
	s_add_u32 s4, s18, s2
	v_mov_b32_e32 v3, s7
	v_add_co_u32_e32 v2, vcc, s6, v8
	s_addc_u32 s5, s19, s3
	v_cmp_neq_f16_e64 s[2:3], s9, 0
	v_addc_co_u32_e32 v3, vcc, 0, v3, vcc
	s_and_b64 vcc, exec, s[2:3]
	v_mul_lo_u32 v5, v7, s0
	v_mul_lo_u32 v6, v4, s1
	v_lshlrev_b64 v[2:3], 1, v[2:3]
	s_cbranch_vccnz .LBB159_8
; %bb.5:
	v_mad_u64_u32 v[8:9], s[2:3], v4, s0, 0
	v_add3_u32 v9, v9, v6, v5
	v_lshlrev_b64 v[8:9], 1, v[8:9]
	v_mov_b32_e32 v12, s5
	v_add_co_u32_e32 v8, vcc, s4, v8
	v_addc_co_u32_e32 v9, vcc, v12, v9, vcc
	v_add_co_u32_e32 v8, vcc, v8, v2
	v_mul_f16_e32 v12, s8, v11
	v_addc_co_u32_e32 v9, vcc, v9, v3, vcc
	global_store_short v[8:9], v12, off
	v_mul_f16_e32 v12, s8, v10
	s_lshl_b64 s[2:3], s[0:1], 5
	global_store_short v[8:9], v12, off offset:32
	v_mov_b32_e32 v13, s3
	v_add_co_u32_e32 v8, vcc, s2, v8
	v_mul_f16_e32 v12, s8, v0
	v_addc_co_u32_e32 v9, vcc, v9, v13, vcc
	global_store_short v[8:9], v12, off
	v_mul_f16_e32 v12, s8, v1
	global_store_short v[8:9], v12, off offset:32
	s_cbranch_execnz .LBB159_7
.LBB159_6:
	s_lshl_b64 s[2:3], s[16:17], 1
	s_add_u32 s6, s12, s2
	s_addc_u32 s7, s13, s3
	v_mul_lo_u32 v7, v7, s14
	v_mul_lo_u32 v12, v4, s15
	v_mad_u64_u32 v[8:9], s[2:3], v4, s14, 0
	v_add3_u32 v9, v9, v12, v7
	v_lshlrev_b64 v[8:9], 1, v[8:9]
	v_mov_b32_e32 v7, s7
	v_add_co_u32_e32 v8, vcc, s6, v8
	v_addc_co_u32_e32 v7, vcc, v7, v9, vcc
	v_add_co_u32_e32 v8, vcc, v8, v2
	v_addc_co_u32_e32 v9, vcc, v7, v3, vcc
	global_load_ushort v7, v[8:9], off
	v_mad_u64_u32 v[12:13], s[2:3], v4, s0, 0
	v_add3_u32 v13, v13, v6, v5
	v_lshlrev_b64 v[4:5], 1, v[12:13]
	v_mov_b32_e32 v14, s5
	v_add_co_u32_e32 v4, vcc, s4, v4
	v_addc_co_u32_e32 v5, vcc, v14, v5, vcc
	v_add_co_u32_e32 v2, vcc, v4, v2
	v_addc_co_u32_e32 v3, vcc, v5, v3, vcc
	s_lshl_b64 s[2:3], s[14:15], 5
	v_mov_b32_e32 v5, s3
	s_lshl_b64 s[0:1], s[0:1], 5
	s_waitcnt vmcnt(0)
	v_mul_f16_e32 v4, s9, v7
	v_fma_f16 v4, v11, s8, v4
	global_store_short v[2:3], v4, off
	global_load_ushort v6, v[8:9], off offset:32
	v_add_co_u32_e32 v4, vcc, s2, v8
	v_addc_co_u32_e32 v5, vcc, v9, v5, vcc
	v_mov_b32_e32 v7, s1
	s_waitcnt vmcnt(0)
	v_mul_f16_e32 v6, s9, v6
	v_fma_f16 v6, v10, s8, v6
	global_store_short v[2:3], v6, off offset:32
	global_load_ushort v6, v[4:5], off
	v_add_co_u32_e32 v2, vcc, s0, v2
	v_addc_co_u32_e32 v3, vcc, v3, v7, vcc
	s_waitcnt vmcnt(0)
	v_mul_f16_e32 v6, s9, v6
	v_fma_f16 v0, v0, s8, v6
	global_store_short v[2:3], v0, off
	global_load_ushort v0, v[4:5], off offset:32
	s_waitcnt vmcnt(0)
	v_mul_f16_e32 v0, s9, v0
	v_fma_f16 v0, v1, s8, v0
	global_store_short v[2:3], v0, off offset:32
.LBB159_7:
	s_endpgm
.LBB159_8:
	s_branch .LBB159_6
	.section	.rodata,"a",@progbits
	.p2align	6, 0x0
	.amdhsa_kernel _ZN12_GLOBAL__N_127rocblas_gemm_batched_kernelIDF16_Li16ELi16ELi32ELi32ELi8ELi32ELi8ELi8ELi32ELc84ELc84EKPKDF16_S3_KPDF16_EEvlllT_PT11_llS8_llS6_PT12_llPT13_lli
		.amdhsa_group_segment_fixed_size 1024
		.amdhsa_private_segment_fixed_size 0
		.amdhsa_kernarg_size 140
		.amdhsa_user_sgpr_count 6
		.amdhsa_user_sgpr_private_segment_buffer 1
		.amdhsa_user_sgpr_dispatch_ptr 0
		.amdhsa_user_sgpr_queue_ptr 0
		.amdhsa_user_sgpr_kernarg_segment_ptr 1
		.amdhsa_user_sgpr_dispatch_id 0
		.amdhsa_user_sgpr_flat_scratch_init 0
		.amdhsa_user_sgpr_kernarg_preload_length 0
		.amdhsa_user_sgpr_kernarg_preload_offset 0
		.amdhsa_user_sgpr_private_segment_size 0
		.amdhsa_uses_dynamic_stack 0
		.amdhsa_system_sgpr_private_segment_wavefront_offset 0
		.amdhsa_system_sgpr_workgroup_id_x 1
		.amdhsa_system_sgpr_workgroup_id_y 1
		.amdhsa_system_sgpr_workgroup_id_z 1
		.amdhsa_system_sgpr_workgroup_info 0
		.amdhsa_system_vgpr_workitem_id 1
		.amdhsa_next_free_vgpr 48
		.amdhsa_next_free_sgpr 36
		.amdhsa_accum_offset 48
		.amdhsa_reserve_vcc 1
		.amdhsa_reserve_flat_scratch 0
		.amdhsa_float_round_mode_32 0
		.amdhsa_float_round_mode_16_64 0
		.amdhsa_float_denorm_mode_32 3
		.amdhsa_float_denorm_mode_16_64 3
		.amdhsa_dx10_clamp 1
		.amdhsa_ieee_mode 1
		.amdhsa_fp16_overflow 0
		.amdhsa_tg_split 0
		.amdhsa_exception_fp_ieee_invalid_op 0
		.amdhsa_exception_fp_denorm_src 0
		.amdhsa_exception_fp_ieee_div_zero 0
		.amdhsa_exception_fp_ieee_overflow 0
		.amdhsa_exception_fp_ieee_underflow 0
		.amdhsa_exception_fp_ieee_inexact 0
		.amdhsa_exception_int_div_zero 0
	.end_amdhsa_kernel
	.section	.text._ZN12_GLOBAL__N_127rocblas_gemm_batched_kernelIDF16_Li16ELi16ELi32ELi32ELi8ELi32ELi8ELi8ELi32ELc84ELc84EKPKDF16_S3_KPDF16_EEvlllT_PT11_llS8_llS6_PT12_llPT13_lli,"axG",@progbits,_ZN12_GLOBAL__N_127rocblas_gemm_batched_kernelIDF16_Li16ELi16ELi32ELi32ELi8ELi32ELi8ELi8ELi32ELc84ELc84EKPKDF16_S3_KPDF16_EEvlllT_PT11_llS8_llS6_PT12_llPT13_lli,comdat
.Lfunc_end159:
	.size	_ZN12_GLOBAL__N_127rocblas_gemm_batched_kernelIDF16_Li16ELi16ELi32ELi32ELi8ELi32ELi8ELi8ELi32ELc84ELc84EKPKDF16_S3_KPDF16_EEvlllT_PT11_llS8_llS6_PT12_llPT13_lli, .Lfunc_end159-_ZN12_GLOBAL__N_127rocblas_gemm_batched_kernelIDF16_Li16ELi16ELi32ELi32ELi8ELi32ELi8ELi8ELi32ELc84ELc84EKPKDF16_S3_KPDF16_EEvlllT_PT11_llS8_llS6_PT12_llPT13_lli
                                        ; -- End function
	.section	.AMDGPU.csdata,"",@progbits
; Kernel info:
; codeLenInByte = 1536
; NumSgprs: 40
; NumVgprs: 48
; NumAgprs: 0
; TotalNumVgprs: 48
; ScratchSize: 0
; MemoryBound: 0
; FloatMode: 240
; IeeeMode: 1
; LDSByteSize: 1024 bytes/workgroup (compile time only)
; SGPRBlocks: 4
; VGPRBlocks: 5
; NumSGPRsForWavesPerEU: 40
; NumVGPRsForWavesPerEU: 48
; AccumOffset: 48
; Occupancy: 8
; WaveLimiterHint : 1
; COMPUTE_PGM_RSRC2:SCRATCH_EN: 0
; COMPUTE_PGM_RSRC2:USER_SGPR: 6
; COMPUTE_PGM_RSRC2:TRAP_HANDLER: 0
; COMPUTE_PGM_RSRC2:TGID_X_EN: 1
; COMPUTE_PGM_RSRC2:TGID_Y_EN: 1
; COMPUTE_PGM_RSRC2:TGID_Z_EN: 1
; COMPUTE_PGM_RSRC2:TIDIG_COMP_CNT: 1
; COMPUTE_PGM_RSRC3_GFX90A:ACCUM_OFFSET: 11
; COMPUTE_PGM_RSRC3_GFX90A:TG_SPLIT: 0
	.section	.text._ZN12_GLOBAL__N_127rocblas_gemm_batched_kernelIDF16_Li16ELi16ELi32ELi32ELi8ELi32ELi8ELi8ELi32ELc67ELc67EKPKDF16_S3_KPDF16_EEvlllT_PT11_llS8_llS6_PT12_llPT13_lli,"axG",@progbits,_ZN12_GLOBAL__N_127rocblas_gemm_batched_kernelIDF16_Li16ELi16ELi32ELi32ELi8ELi32ELi8ELi8ELi32ELc67ELc67EKPKDF16_S3_KPDF16_EEvlllT_PT11_llS8_llS6_PT12_llPT13_lli,comdat
	.globl	_ZN12_GLOBAL__N_127rocblas_gemm_batched_kernelIDF16_Li16ELi16ELi32ELi32ELi8ELi32ELi8ELi8ELi32ELc67ELc67EKPKDF16_S3_KPDF16_EEvlllT_PT11_llS8_llS6_PT12_llPT13_lli ; -- Begin function _ZN12_GLOBAL__N_127rocblas_gemm_batched_kernelIDF16_Li16ELi16ELi32ELi32ELi8ELi32ELi8ELi8ELi32ELc67ELc67EKPKDF16_S3_KPDF16_EEvlllT_PT11_llS8_llS6_PT12_llPT13_lli
	.p2align	8
	.type	_ZN12_GLOBAL__N_127rocblas_gemm_batched_kernelIDF16_Li16ELi16ELi32ELi32ELi8ELi32ELi8ELi8ELi32ELc67ELc67EKPKDF16_S3_KPDF16_EEvlllT_PT11_llS8_llS6_PT12_llPT13_lli,@function
_ZN12_GLOBAL__N_127rocblas_gemm_batched_kernelIDF16_Li16ELi16ELi32ELi32ELi8ELi32ELi8ELi8ELi32ELc67ELc67EKPKDF16_S3_KPDF16_EEvlllT_PT11_llS8_llS6_PT12_llPT13_lli: ; @_ZN12_GLOBAL__N_127rocblas_gemm_batched_kernelIDF16_Li16ELi16ELi32ELi32ELi8ELi32ELi8ELi8ELi32ELc67ELc67EKPKDF16_S3_KPDF16_EEvlllT_PT11_llS8_llS6_PT12_llPT13_lli
; %bb.0:
	s_load_dwordx2 s[30:31], s[4:5], 0x10
	s_load_dwordx4 s[0:3], s[4:5], 0x78
	s_load_dwordx8 s[12:19], s[4:5], 0x58
	s_mov_b32 s9, 0
	s_lshl_b64 s[34:35], s[8:9], 3
	s_mov_b32 s10, s7
	v_bfe_u32 v9, v0, 10, 10
	s_waitcnt lgkmcnt(0)
	s_add_u32 s8, s12, s34
	s_addc_u32 s9, s13, s35
	s_load_dwordx2 s[12:13], s[8:9], 0x0
	s_add_u32 s8, s18, s34
	s_addc_u32 s9, s19, s35
	s_load_dwordx2 s[18:19], s[8:9], 0x0
	s_ashr_i32 s7, s6, 31
	s_ashr_i32 s11, s10, 31
	v_cmp_lt_i64_e64 s[8:9], s[30:31], 1
	v_and_b32_e32 v8, 0x3ff, v0
	s_lshl_b64 s[6:7], s[6:7], 5
	s_lshl_b64 s[28:29], s[10:11], 5
	s_and_b64 vcc, exec, s[8:9]
	s_cbranch_vccnz .LBB160_3
; %bb.1:
	s_load_dwordx8 s[20:27], s[4:5], 0x20
	s_load_dwordx4 s[8:11], s[4:5], 0x40
	v_lshlrev_b32_e32 v2, 4, v9
	v_add_u32_e32 v3, v2, v8
	v_and_b32_e32 v6, 31, v3
	s_waitcnt lgkmcnt(0)
	s_add_u32 s20, s20, s34
	s_addc_u32 s21, s21, s35
	s_add_u32 s26, s26, s34
	v_lshrrev_b32_e32 v0, 3, v3
	v_and_b32_e32 v4, 7, v8
	v_lshrrev_b32_e32 v7, 5, v3
	v_lshlrev_b32_e32 v3, 1, v6
	s_addc_u32 s27, s27, s35
	v_lshl_or_b32 v12, v7, 6, v3
	v_lshlrev_b32_e32 v3, 1, v4
	s_load_dwordx2 s[26:27], s[26:27], 0x0
	v_mov_b32_e32 v1, 0
	v_lshl_or_b32 v3, v0, 4, v3
	v_add_u32_e32 v13, 0x200, v3
	v_add_u32_e32 v15, 0x200, v2
	v_mad_u64_u32 v[2:3], s[34:35], v4, s8, v[0:1]
	v_mov_b32_e32 v0, v3
	v_mad_u64_u32 v[4:5], s[34:35], v4, s9, v[0:1]
	s_lshl_b64 s[10:11], s[10:11], 1
	v_mov_b32_e32 v3, v4
	v_mov_b32_e32 v0, s29
	v_add_co_u32_e32 v2, vcc, s28, v2
	v_addc_co_u32_e32 v3, vcc, v3, v0, vcc
	s_waitcnt lgkmcnt(0)
	s_add_u32 s10, s26, s10
	v_lshlrev_b64 v[2:3], 1, v[2:3]
	s_addc_u32 s11, s27, s11
	v_mov_b32_e32 v0, s11
	v_add_co_u32_e32 v2, vcc, s10, v2
	v_addc_co_u32_e32 v3, vcc, v0, v3, vcc
	v_mov_b32_e32 v0, s7
	v_add_co_u32_e32 v4, vcc, s6, v6
	v_addc_co_u32_e32 v0, vcc, 0, v0, vcc
	v_mul_lo_u32 v6, s23, v4
	v_mul_lo_u32 v0, s22, v0
	v_mad_u64_u32 v[4:5], s[10:11], s22, v4, 0
	v_add3_u32 v5, v5, v0, v6
	s_load_dwordx2 s[20:21], s[20:21], 0x0
	v_lshlrev_b64 v[4:5], 1, v[4:5]
	s_lshl_b64 s[10:11], s[24:25], 1
	v_mov_b32_e32 v0, s11
	v_add_co_u32_e32 v4, vcc, s10, v4
	v_addc_co_u32_e32 v0, vcc, v5, v0, vcc
	v_lshlrev_b32_e32 v5, 1, v7
	v_add_co_u32_e32 v4, vcc, v4, v5
	v_addc_co_u32_e32 v0, vcc, 0, v0, vcc
	s_lshl_b64 s[8:9], s[8:9], 4
	s_waitcnt lgkmcnt(0)
	v_mov_b32_e32 v5, s21
	v_add_co_u32_e32 v4, vcc, s20, v4
	v_lshlrev_b32_e32 v14, 1, v8
	v_addc_co_u32_e32 v5, vcc, v5, v0, vcc
	s_mov_b64 s[10:11], 0
	v_mov_b32_e32 v16, s9
	v_pk_mov_b32 v[6:7], s[30:31], s[30:31] op_sel:[0,1]
	v_mov_b32_e32 v0, v1
	v_mov_b32_e32 v10, v1
	;; [unrolled: 1-line block ×3, first 2 shown]
.LBB160_2:                              ; =>This Inner Loop Header: Depth=1
	global_load_ushort v17, v[4:5], off
	global_load_ushort v18, v[2:3], off
	v_add_co_u32_e32 v2, vcc, s8, v2
	v_addc_co_u32_e32 v3, vcc, v3, v16, vcc
	s_add_u32 s10, s10, 8
	v_add_co_u32_e32 v4, vcc, 16, v4
	v_addc_co_u32_e32 v5, vcc, 0, v5, vcc
	s_addc_u32 s11, s11, 0
	v_cmp_lt_i64_e32 vcc, s[10:11], v[6:7]
	s_and_b64 vcc, exec, vcc
	s_waitcnt vmcnt(1)
	ds_write_b16 v12, v17
	s_waitcnt vmcnt(0)
	ds_write_b16 v13, v18
	s_waitcnt lgkmcnt(0)
	s_barrier
	ds_read_b128 v[18:21], v15
	ds_read_b128 v[22:25], v15 offset:256
	ds_read_u16 v17, v14
	ds_read_u16 v26, v14 offset:32
	ds_read_u16 v27, v14 offset:64
	;; [unrolled: 1-line block ×15, first 2 shown]
	s_waitcnt lgkmcnt(14)
	v_lshrrev_b32_e32 v41, 16, v18
	v_fma_f16 v11, v17, v18, v11
	v_fma_f16 v10, v26, v18, v10
	v_lshrrev_b32_e32 v18, 16, v22
	v_fma_f16 v0, v17, v22, v0
	v_fma_f16 v1, v26, v22, v1
	s_waitcnt lgkmcnt(13)
	v_fma_f16 v11, v27, v41, v11
	s_waitcnt lgkmcnt(12)
	v_fma_f16 v10, v28, v41, v10
	v_fma_f16 v0, v27, v18, v0
	v_fma_f16 v1, v28, v18, v1
	v_lshrrev_b32_e32 v42, 16, v19
	v_lshrrev_b32_e32 v45, 16, v23
	s_waitcnt lgkmcnt(11)
	v_fma_f16 v11, v29, v19, v11
	s_waitcnt lgkmcnt(10)
	v_fma_f16 v10, v30, v19, v10
	v_fma_f16 v0, v29, v23, v0
	v_fma_f16 v1, v30, v23, v1
	s_waitcnt lgkmcnt(9)
	v_fma_f16 v11, v31, v42, v11
	s_waitcnt lgkmcnt(8)
	v_fma_f16 v10, v32, v42, v10
	v_fma_f16 v0, v31, v45, v0
	v_fma_f16 v1, v32, v45, v1
	v_lshrrev_b32_e32 v43, 16, v20
	v_lshrrev_b32_e32 v46, 16, v24
	s_waitcnt lgkmcnt(7)
	v_fma_f16 v11, v33, v20, v11
	s_waitcnt lgkmcnt(6)
	v_fma_f16 v10, v34, v20, v10
	;; [unrolled: 14-line block ×3, first 2 shown]
	v_fma_f16 v0, v37, v25, v0
	v_fma_f16 v1, v38, v25, v1
	s_waitcnt lgkmcnt(1)
	v_fma_f16 v11, v39, v44, v11
	s_waitcnt lgkmcnt(0)
	v_fma_f16 v10, v40, v44, v10
	v_fma_f16 v0, v39, v47, v0
	;; [unrolled: 1-line block ×3, first 2 shown]
	s_barrier
	s_cbranch_vccnz .LBB160_2
	s_branch .LBB160_4
.LBB160_3:
	v_mov_b32_e32 v11, 0
	v_mov_b32_e32 v10, 0
	;; [unrolled: 1-line block ×4, first 2 shown]
.LBB160_4:
	s_load_dword s8, s[4:5], 0x18
	s_load_dword s9, s[4:5], 0x50
	v_mov_b32_e32 v2, s29
	v_add_co_u32_e32 v4, vcc, s28, v9
	s_lshl_b64 s[2:3], s[2:3], 1
	v_addc_co_u32_e32 v7, vcc, 0, v2, vcc
	s_waitcnt lgkmcnt(0)
	s_add_u32 s4, s18, s2
	v_mov_b32_e32 v3, s7
	v_add_co_u32_e32 v2, vcc, s6, v8
	s_addc_u32 s5, s19, s3
	v_cmp_neq_f16_e64 s[2:3], s9, 0
	v_addc_co_u32_e32 v3, vcc, 0, v3, vcc
	s_and_b64 vcc, exec, s[2:3]
	v_mul_lo_u32 v5, v7, s0
	v_mul_lo_u32 v6, v4, s1
	v_lshlrev_b64 v[2:3], 1, v[2:3]
	s_cbranch_vccnz .LBB160_8
; %bb.5:
	v_mad_u64_u32 v[8:9], s[2:3], v4, s0, 0
	v_add3_u32 v9, v9, v6, v5
	v_lshlrev_b64 v[8:9], 1, v[8:9]
	v_mov_b32_e32 v12, s5
	v_add_co_u32_e32 v8, vcc, s4, v8
	v_addc_co_u32_e32 v9, vcc, v12, v9, vcc
	v_add_co_u32_e32 v8, vcc, v8, v2
	v_mul_f16_e32 v12, s8, v11
	v_addc_co_u32_e32 v9, vcc, v9, v3, vcc
	global_store_short v[8:9], v12, off
	v_mul_f16_e32 v12, s8, v10
	s_lshl_b64 s[2:3], s[0:1], 5
	global_store_short v[8:9], v12, off offset:32
	v_mov_b32_e32 v13, s3
	v_add_co_u32_e32 v8, vcc, s2, v8
	v_mul_f16_e32 v12, s8, v0
	v_addc_co_u32_e32 v9, vcc, v9, v13, vcc
	global_store_short v[8:9], v12, off
	v_mul_f16_e32 v12, s8, v1
	global_store_short v[8:9], v12, off offset:32
	s_cbranch_execnz .LBB160_7
.LBB160_6:
	s_lshl_b64 s[2:3], s[16:17], 1
	s_add_u32 s6, s12, s2
	s_addc_u32 s7, s13, s3
	v_mul_lo_u32 v7, v7, s14
	v_mul_lo_u32 v12, v4, s15
	v_mad_u64_u32 v[8:9], s[2:3], v4, s14, 0
	v_add3_u32 v9, v9, v12, v7
	v_lshlrev_b64 v[8:9], 1, v[8:9]
	v_mov_b32_e32 v7, s7
	v_add_co_u32_e32 v8, vcc, s6, v8
	v_addc_co_u32_e32 v7, vcc, v7, v9, vcc
	v_add_co_u32_e32 v8, vcc, v8, v2
	v_addc_co_u32_e32 v9, vcc, v7, v3, vcc
	global_load_ushort v7, v[8:9], off
	v_mad_u64_u32 v[12:13], s[2:3], v4, s0, 0
	v_add3_u32 v13, v13, v6, v5
	v_lshlrev_b64 v[4:5], 1, v[12:13]
	v_mov_b32_e32 v14, s5
	v_add_co_u32_e32 v4, vcc, s4, v4
	v_addc_co_u32_e32 v5, vcc, v14, v5, vcc
	v_add_co_u32_e32 v2, vcc, v4, v2
	v_addc_co_u32_e32 v3, vcc, v5, v3, vcc
	s_lshl_b64 s[2:3], s[14:15], 5
	v_mov_b32_e32 v5, s3
	s_lshl_b64 s[0:1], s[0:1], 5
	s_waitcnt vmcnt(0)
	v_mul_f16_e32 v4, s9, v7
	v_fma_f16 v4, v11, s8, v4
	global_store_short v[2:3], v4, off
	global_load_ushort v6, v[8:9], off offset:32
	v_add_co_u32_e32 v4, vcc, s2, v8
	v_addc_co_u32_e32 v5, vcc, v9, v5, vcc
	v_mov_b32_e32 v7, s1
	s_waitcnt vmcnt(0)
	v_mul_f16_e32 v6, s9, v6
	v_fma_f16 v6, v10, s8, v6
	global_store_short v[2:3], v6, off offset:32
	global_load_ushort v6, v[4:5], off
	v_add_co_u32_e32 v2, vcc, s0, v2
	v_addc_co_u32_e32 v3, vcc, v3, v7, vcc
	s_waitcnt vmcnt(0)
	v_mul_f16_e32 v6, s9, v6
	v_fma_f16 v0, v0, s8, v6
	global_store_short v[2:3], v0, off
	global_load_ushort v0, v[4:5], off offset:32
	s_waitcnt vmcnt(0)
	v_mul_f16_e32 v0, s9, v0
	v_fma_f16 v0, v1, s8, v0
	global_store_short v[2:3], v0, off offset:32
.LBB160_7:
	s_endpgm
.LBB160_8:
	s_branch .LBB160_6
	.section	.rodata,"a",@progbits
	.p2align	6, 0x0
	.amdhsa_kernel _ZN12_GLOBAL__N_127rocblas_gemm_batched_kernelIDF16_Li16ELi16ELi32ELi32ELi8ELi32ELi8ELi8ELi32ELc67ELc67EKPKDF16_S3_KPDF16_EEvlllT_PT11_llS8_llS6_PT12_llPT13_lli
		.amdhsa_group_segment_fixed_size 1024
		.amdhsa_private_segment_fixed_size 0
		.amdhsa_kernarg_size 140
		.amdhsa_user_sgpr_count 6
		.amdhsa_user_sgpr_private_segment_buffer 1
		.amdhsa_user_sgpr_dispatch_ptr 0
		.amdhsa_user_sgpr_queue_ptr 0
		.amdhsa_user_sgpr_kernarg_segment_ptr 1
		.amdhsa_user_sgpr_dispatch_id 0
		.amdhsa_user_sgpr_flat_scratch_init 0
		.amdhsa_user_sgpr_kernarg_preload_length 0
		.amdhsa_user_sgpr_kernarg_preload_offset 0
		.amdhsa_user_sgpr_private_segment_size 0
		.amdhsa_uses_dynamic_stack 0
		.amdhsa_system_sgpr_private_segment_wavefront_offset 0
		.amdhsa_system_sgpr_workgroup_id_x 1
		.amdhsa_system_sgpr_workgroup_id_y 1
		.amdhsa_system_sgpr_workgroup_id_z 1
		.amdhsa_system_sgpr_workgroup_info 0
		.amdhsa_system_vgpr_workitem_id 1
		.amdhsa_next_free_vgpr 48
		.amdhsa_next_free_sgpr 36
		.amdhsa_accum_offset 48
		.amdhsa_reserve_vcc 1
		.amdhsa_reserve_flat_scratch 0
		.amdhsa_float_round_mode_32 0
		.amdhsa_float_round_mode_16_64 0
		.amdhsa_float_denorm_mode_32 3
		.amdhsa_float_denorm_mode_16_64 3
		.amdhsa_dx10_clamp 1
		.amdhsa_ieee_mode 1
		.amdhsa_fp16_overflow 0
		.amdhsa_tg_split 0
		.amdhsa_exception_fp_ieee_invalid_op 0
		.amdhsa_exception_fp_denorm_src 0
		.amdhsa_exception_fp_ieee_div_zero 0
		.amdhsa_exception_fp_ieee_overflow 0
		.amdhsa_exception_fp_ieee_underflow 0
		.amdhsa_exception_fp_ieee_inexact 0
		.amdhsa_exception_int_div_zero 0
	.end_amdhsa_kernel
	.section	.text._ZN12_GLOBAL__N_127rocblas_gemm_batched_kernelIDF16_Li16ELi16ELi32ELi32ELi8ELi32ELi8ELi8ELi32ELc67ELc67EKPKDF16_S3_KPDF16_EEvlllT_PT11_llS8_llS6_PT12_llPT13_lli,"axG",@progbits,_ZN12_GLOBAL__N_127rocblas_gemm_batched_kernelIDF16_Li16ELi16ELi32ELi32ELi8ELi32ELi8ELi8ELi32ELc67ELc67EKPKDF16_S3_KPDF16_EEvlllT_PT11_llS8_llS6_PT12_llPT13_lli,comdat
.Lfunc_end160:
	.size	_ZN12_GLOBAL__N_127rocblas_gemm_batched_kernelIDF16_Li16ELi16ELi32ELi32ELi8ELi32ELi8ELi8ELi32ELc67ELc67EKPKDF16_S3_KPDF16_EEvlllT_PT11_llS8_llS6_PT12_llPT13_lli, .Lfunc_end160-_ZN12_GLOBAL__N_127rocblas_gemm_batched_kernelIDF16_Li16ELi16ELi32ELi32ELi8ELi32ELi8ELi8ELi32ELc67ELc67EKPKDF16_S3_KPDF16_EEvlllT_PT11_llS8_llS6_PT12_llPT13_lli
                                        ; -- End function
	.section	.AMDGPU.csdata,"",@progbits
; Kernel info:
; codeLenInByte = 1536
; NumSgprs: 40
; NumVgprs: 48
; NumAgprs: 0
; TotalNumVgprs: 48
; ScratchSize: 0
; MemoryBound: 0
; FloatMode: 240
; IeeeMode: 1
; LDSByteSize: 1024 bytes/workgroup (compile time only)
; SGPRBlocks: 4
; VGPRBlocks: 5
; NumSGPRsForWavesPerEU: 40
; NumVGPRsForWavesPerEU: 48
; AccumOffset: 48
; Occupancy: 8
; WaveLimiterHint : 1
; COMPUTE_PGM_RSRC2:SCRATCH_EN: 0
; COMPUTE_PGM_RSRC2:USER_SGPR: 6
; COMPUTE_PGM_RSRC2:TRAP_HANDLER: 0
; COMPUTE_PGM_RSRC2:TGID_X_EN: 1
; COMPUTE_PGM_RSRC2:TGID_Y_EN: 1
; COMPUTE_PGM_RSRC2:TGID_Z_EN: 1
; COMPUTE_PGM_RSRC2:TIDIG_COMP_CNT: 1
; COMPUTE_PGM_RSRC3_GFX90A:ACCUM_OFFSET: 11
; COMPUTE_PGM_RSRC3_GFX90A:TG_SPLIT: 0
	.section	.text._ZN12_GLOBAL__N_127rocblas_gemm_batched_kernelIDF16_Li16ELi16ELi32ELi32ELi8ELi32ELi8ELi8ELi32ELc67ELc78EKPKDF16_S3_KPDF16_EEvlllT_PT11_llS8_llS6_PT12_llPT13_lli,"axG",@progbits,_ZN12_GLOBAL__N_127rocblas_gemm_batched_kernelIDF16_Li16ELi16ELi32ELi32ELi8ELi32ELi8ELi8ELi32ELc67ELc78EKPKDF16_S3_KPDF16_EEvlllT_PT11_llS8_llS6_PT12_llPT13_lli,comdat
	.globl	_ZN12_GLOBAL__N_127rocblas_gemm_batched_kernelIDF16_Li16ELi16ELi32ELi32ELi8ELi32ELi8ELi8ELi32ELc67ELc78EKPKDF16_S3_KPDF16_EEvlllT_PT11_llS8_llS6_PT12_llPT13_lli ; -- Begin function _ZN12_GLOBAL__N_127rocblas_gemm_batched_kernelIDF16_Li16ELi16ELi32ELi32ELi8ELi32ELi8ELi8ELi32ELc67ELc78EKPKDF16_S3_KPDF16_EEvlllT_PT11_llS8_llS6_PT12_llPT13_lli
	.p2align	8
	.type	_ZN12_GLOBAL__N_127rocblas_gemm_batched_kernelIDF16_Li16ELi16ELi32ELi32ELi8ELi32ELi8ELi8ELi32ELc67ELc78EKPKDF16_S3_KPDF16_EEvlllT_PT11_llS8_llS6_PT12_llPT13_lli,@function
_ZN12_GLOBAL__N_127rocblas_gemm_batched_kernelIDF16_Li16ELi16ELi32ELi32ELi8ELi32ELi8ELi8ELi32ELc67ELc78EKPKDF16_S3_KPDF16_EEvlllT_PT11_llS8_llS6_PT12_llPT13_lli: ; @_ZN12_GLOBAL__N_127rocblas_gemm_batched_kernelIDF16_Li16ELi16ELi32ELi32ELi8ELi32ELi8ELi8ELi32ELc67ELc78EKPKDF16_S3_KPDF16_EEvlllT_PT11_llS8_llS6_PT12_llPT13_lli
; %bb.0:
	s_load_dwordx2 s[30:31], s[4:5], 0x10
	s_load_dwordx4 s[0:3], s[4:5], 0x78
	s_load_dwordx8 s[12:19], s[4:5], 0x58
	s_mov_b32 s9, 0
	s_lshl_b64 s[34:35], s[8:9], 3
	s_mov_b32 s10, s7
	v_bfe_u32 v7, v0, 10, 10
	s_waitcnt lgkmcnt(0)
	s_add_u32 s8, s12, s34
	s_addc_u32 s9, s13, s35
	s_load_dwordx2 s[12:13], s[8:9], 0x0
	s_add_u32 s8, s18, s34
	s_addc_u32 s9, s19, s35
	s_load_dwordx2 s[18:19], s[8:9], 0x0
	s_ashr_i32 s7, s6, 31
	s_ashr_i32 s11, s10, 31
	v_cmp_lt_i64_e64 s[8:9], s[30:31], 1
	v_and_b32_e32 v6, 0x3ff, v0
	s_lshl_b64 s[6:7], s[6:7], 5
	s_lshl_b64 s[28:29], s[10:11], 5
	s_and_b64 vcc, exec, s[8:9]
	s_cbranch_vccnz .LBB161_3
; %bb.1:
	s_load_dwordx8 s[20:27], s[4:5], 0x20
	s_load_dwordx4 s[8:11], s[4:5], 0x40
	v_lshlrev_b32_e32 v0, 4, v7
	v_add_u32_e32 v1, v0, v6
	v_lshrrev_b32_e32 v2, 3, v1
	v_and_b32_e32 v5, 7, v6
	v_and_b32_e32 v8, 31, v1
	s_waitcnt lgkmcnt(0)
	s_add_u32 s20, s20, s34
	v_mov_b32_e32 v3, s29
	v_add_co_u32_e32 v4, vcc, s28, v2
	v_lshrrev_b32_e32 v9, 5, v1
	v_lshlrev_b32_e32 v1, 1, v8
	v_lshlrev_b32_e32 v5, 1, v5
	s_addc_u32 s21, s21, s35
	v_addc_co_u32_e32 v3, vcc, 0, v3, vcc
	v_lshl_or_b32 v12, v9, 6, v1
	v_lshl_or_b32 v1, v2, 4, v5
	s_add_u32 s26, s26, s34
	v_add_u32_e32 v13, 0x200, v1
	v_add_u32_e32 v15, 0x200, v0
	v_mul_lo_u32 v2, s9, v4
	v_mul_lo_u32 v3, s8, v3
	v_mad_u64_u32 v[0:1], s[8:9], s8, v4, 0
	s_addc_u32 s27, s27, s35
	v_add3_u32 v1, v1, v3, v2
	s_load_dwordx2 s[26:27], s[26:27], 0x0
	v_lshlrev_b64 v[0:1], 1, v[0:1]
	s_lshl_b64 s[8:9], s[10:11], 1
	v_mov_b32_e32 v2, s9
	v_add_co_u32_e32 v0, vcc, s8, v0
	v_addc_co_u32_e32 v1, vcc, v1, v2, vcc
	v_add_co_u32_e32 v0, vcc, v0, v5
	v_addc_co_u32_e32 v1, vcc, 0, v1, vcc
	s_waitcnt lgkmcnt(0)
	v_mov_b32_e32 v2, s27
	v_add_co_u32_e32 v0, vcc, s26, v0
	v_addc_co_u32_e32 v1, vcc, v2, v1, vcc
	v_mov_b32_e32 v2, s7
	v_add_co_u32_e32 v3, vcc, s6, v8
	v_addc_co_u32_e32 v2, vcc, 0, v2, vcc
	v_mul_lo_u32 v4, s23, v3
	v_mul_lo_u32 v5, s22, v2
	v_mad_u64_u32 v[2:3], s[8:9], s22, v3, 0
	v_add3_u32 v3, v3, v5, v4
	s_load_dwordx2 s[20:21], s[20:21], 0x0
	v_lshlrev_b64 v[2:3], 1, v[2:3]
	s_lshl_b64 s[8:9], s[24:25], 1
	v_mov_b32_e32 v4, s9
	v_add_co_u32_e32 v2, vcc, s8, v2
	v_addc_co_u32_e32 v3, vcc, v3, v4, vcc
	v_lshlrev_b32_e32 v4, 1, v9
	v_add_co_u32_e32 v2, vcc, v2, v4
	v_addc_co_u32_e32 v3, vcc, 0, v3, vcc
	s_waitcnt lgkmcnt(0)
	v_mov_b32_e32 v4, s21
	v_add_co_u32_e32 v2, vcc, s20, v2
	v_lshlrev_b32_e32 v14, 1, v6
	v_addc_co_u32_e32 v3, vcc, v4, v3, vcc
	s_mov_b64 s[8:9], 0
	v_mov_b32_e32 v8, 0
	v_pk_mov_b32 v[4:5], s[30:31], s[30:31] op_sel:[0,1]
	v_mov_b32_e32 v9, 0
	v_mov_b32_e32 v10, 0
	;; [unrolled: 1-line block ×3, first 2 shown]
.LBB161_2:                              ; =>This Inner Loop Header: Depth=1
	global_load_ushort v16, v[2:3], off
	global_load_ushort v17, v[0:1], off
	v_add_co_u32_e32 v0, vcc, 16, v0
	v_addc_co_u32_e32 v1, vcc, 0, v1, vcc
	s_add_u32 s8, s8, 8
	v_add_co_u32_e32 v2, vcc, 16, v2
	v_addc_co_u32_e32 v3, vcc, 0, v3, vcc
	s_addc_u32 s9, s9, 0
	v_cmp_lt_i64_e32 vcc, s[8:9], v[4:5]
	s_and_b64 vcc, exec, vcc
	s_waitcnt vmcnt(1)
	ds_write_b16 v12, v16
	s_waitcnt vmcnt(0)
	ds_write_b16 v13, v17
	s_waitcnt lgkmcnt(0)
	s_barrier
	ds_read_b128 v[16:19], v15
	ds_read_b128 v[20:23], v15 offset:256
	ds_read_u16 v24, v14
	ds_read_u16 v25, v14 offset:32
	ds_read_u16 v26, v14 offset:64
	ds_read_u16 v27, v14 offset:96
	ds_read_u16 v28, v14 offset:128
	ds_read_u16 v29, v14 offset:160
	ds_read_u16 v30, v14 offset:192
	ds_read_u16 v31, v14 offset:224
	ds_read_u16 v32, v14 offset:256
	ds_read_u16 v33, v14 offset:288
	ds_read_u16 v34, v14 offset:320
	ds_read_u16 v35, v14 offset:352
	ds_read_u16 v36, v14 offset:384
	ds_read_u16 v37, v14 offset:416
	ds_read_u16 v38, v14 offset:448
	ds_read_u16 v39, v14 offset:480
	s_waitcnt lgkmcnt(14)
	v_lshrrev_b32_e32 v40, 16, v16
	v_fma_f16 v11, v24, v16, v11
	v_fma_f16 v10, v25, v16, v10
	v_lshrrev_b32_e32 v16, 16, v20
	v_fma_f16 v9, v24, v20, v9
	v_fma_f16 v8, v25, v20, v8
	s_waitcnt lgkmcnt(13)
	v_fma_f16 v11, v26, v40, v11
	s_waitcnt lgkmcnt(12)
	v_fma_f16 v10, v27, v40, v10
	v_fma_f16 v9, v26, v16, v9
	v_fma_f16 v8, v27, v16, v8
	v_lshrrev_b32_e32 v41, 16, v17
	v_lshrrev_b32_e32 v44, 16, v21
	s_waitcnt lgkmcnt(11)
	v_fma_f16 v11, v28, v17, v11
	s_waitcnt lgkmcnt(10)
	v_fma_f16 v10, v29, v17, v10
	v_fma_f16 v9, v28, v21, v9
	v_fma_f16 v8, v29, v21, v8
	s_waitcnt lgkmcnt(9)
	v_fma_f16 v11, v30, v41, v11
	s_waitcnt lgkmcnt(8)
	v_fma_f16 v10, v31, v41, v10
	v_fma_f16 v9, v30, v44, v9
	v_fma_f16 v8, v31, v44, v8
	v_lshrrev_b32_e32 v42, 16, v18
	v_lshrrev_b32_e32 v45, 16, v22
	s_waitcnt lgkmcnt(7)
	v_fma_f16 v11, v32, v18, v11
	s_waitcnt lgkmcnt(6)
	v_fma_f16 v10, v33, v18, v10
	;; [unrolled: 14-line block ×3, first 2 shown]
	v_fma_f16 v9, v36, v23, v9
	v_fma_f16 v8, v37, v23, v8
	s_waitcnt lgkmcnt(1)
	v_fma_f16 v11, v38, v43, v11
	s_waitcnt lgkmcnt(0)
	v_fma_f16 v10, v39, v43, v10
	v_fma_f16 v9, v38, v46, v9
	;; [unrolled: 1-line block ×3, first 2 shown]
	s_barrier
	s_cbranch_vccnz .LBB161_2
	s_branch .LBB161_4
.LBB161_3:
	v_mov_b32_e32 v11, 0
	v_mov_b32_e32 v10, 0
	;; [unrolled: 1-line block ×4, first 2 shown]
.LBB161_4:
	s_load_dword s8, s[4:5], 0x18
	s_load_dword s9, s[4:5], 0x50
	v_mov_b32_e32 v0, s29
	v_add_co_u32_e32 v2, vcc, s28, v7
	s_lshl_b64 s[2:3], s[2:3], 1
	v_addc_co_u32_e32 v5, vcc, 0, v0, vcc
	s_waitcnt lgkmcnt(0)
	s_add_u32 s4, s18, s2
	v_mov_b32_e32 v1, s7
	v_add_co_u32_e32 v0, vcc, s6, v6
	s_addc_u32 s5, s19, s3
	v_cmp_neq_f16_e64 s[2:3], s9, 0
	v_addc_co_u32_e32 v1, vcc, 0, v1, vcc
	s_and_b64 vcc, exec, s[2:3]
	v_mul_lo_u32 v3, v5, s0
	v_mul_lo_u32 v4, v2, s1
	v_lshlrev_b64 v[0:1], 1, v[0:1]
	s_cbranch_vccnz .LBB161_8
; %bb.5:
	v_mad_u64_u32 v[6:7], s[2:3], v2, s0, 0
	v_add3_u32 v7, v7, v4, v3
	v_lshlrev_b64 v[6:7], 1, v[6:7]
	v_mov_b32_e32 v12, s5
	v_add_co_u32_e32 v6, vcc, s4, v6
	v_addc_co_u32_e32 v7, vcc, v12, v7, vcc
	v_add_co_u32_e32 v6, vcc, v6, v0
	v_mul_f16_e32 v12, s8, v11
	v_addc_co_u32_e32 v7, vcc, v7, v1, vcc
	global_store_short v[6:7], v12, off
	v_mul_f16_e32 v12, s8, v10
	s_lshl_b64 s[2:3], s[0:1], 5
	global_store_short v[6:7], v12, off offset:32
	v_mov_b32_e32 v13, s3
	v_add_co_u32_e32 v6, vcc, s2, v6
	v_mul_f16_e32 v12, s8, v9
	v_addc_co_u32_e32 v7, vcc, v7, v13, vcc
	global_store_short v[6:7], v12, off
	v_mul_f16_e32 v12, s8, v8
	global_store_short v[6:7], v12, off offset:32
	s_cbranch_execnz .LBB161_7
.LBB161_6:
	s_lshl_b64 s[2:3], s[16:17], 1
	s_add_u32 s6, s12, s2
	s_addc_u32 s7, s13, s3
	v_mul_lo_u32 v5, v5, s14
	v_mul_lo_u32 v12, v2, s15
	v_mad_u64_u32 v[6:7], s[2:3], v2, s14, 0
	v_add3_u32 v7, v7, v12, v5
	v_lshlrev_b64 v[6:7], 1, v[6:7]
	v_mov_b32_e32 v5, s7
	v_add_co_u32_e32 v6, vcc, s6, v6
	v_addc_co_u32_e32 v5, vcc, v5, v7, vcc
	v_add_co_u32_e32 v6, vcc, v6, v0
	v_addc_co_u32_e32 v7, vcc, v5, v1, vcc
	global_load_ushort v5, v[6:7], off
	v_mad_u64_u32 v[12:13], s[2:3], v2, s0, 0
	v_add3_u32 v13, v13, v4, v3
	v_lshlrev_b64 v[2:3], 1, v[12:13]
	v_mov_b32_e32 v14, s5
	v_add_co_u32_e32 v2, vcc, s4, v2
	v_addc_co_u32_e32 v3, vcc, v14, v3, vcc
	v_add_co_u32_e32 v0, vcc, v2, v0
	v_addc_co_u32_e32 v1, vcc, v3, v1, vcc
	s_lshl_b64 s[2:3], s[14:15], 5
	v_mov_b32_e32 v3, s3
	s_lshl_b64 s[0:1], s[0:1], 5
	s_waitcnt vmcnt(0)
	v_mul_f16_e32 v2, s9, v5
	v_fma_f16 v2, v11, s8, v2
	global_store_short v[0:1], v2, off
	global_load_ushort v4, v[6:7], off offset:32
	v_add_co_u32_e32 v2, vcc, s2, v6
	v_addc_co_u32_e32 v3, vcc, v7, v3, vcc
	v_mov_b32_e32 v5, s1
	s_waitcnt vmcnt(0)
	v_mul_f16_e32 v4, s9, v4
	v_fma_f16 v4, v10, s8, v4
	global_store_short v[0:1], v4, off offset:32
	global_load_ushort v4, v[2:3], off
	v_add_co_u32_e32 v0, vcc, s0, v0
	v_addc_co_u32_e32 v1, vcc, v1, v5, vcc
	s_waitcnt vmcnt(0)
	v_mul_f16_e32 v4, s9, v4
	v_fma_f16 v4, v9, s8, v4
	global_store_short v[0:1], v4, off
	global_load_ushort v2, v[2:3], off offset:32
	s_waitcnt vmcnt(0)
	v_mul_f16_e32 v2, s9, v2
	v_fma_f16 v2, v8, s8, v2
	global_store_short v[0:1], v2, off offset:32
.LBB161_7:
	s_endpgm
.LBB161_8:
	s_branch .LBB161_6
	.section	.rodata,"a",@progbits
	.p2align	6, 0x0
	.amdhsa_kernel _ZN12_GLOBAL__N_127rocblas_gemm_batched_kernelIDF16_Li16ELi16ELi32ELi32ELi8ELi32ELi8ELi8ELi32ELc67ELc78EKPKDF16_S3_KPDF16_EEvlllT_PT11_llS8_llS6_PT12_llPT13_lli
		.amdhsa_group_segment_fixed_size 1024
		.amdhsa_private_segment_fixed_size 0
		.amdhsa_kernarg_size 140
		.amdhsa_user_sgpr_count 6
		.amdhsa_user_sgpr_private_segment_buffer 1
		.amdhsa_user_sgpr_dispatch_ptr 0
		.amdhsa_user_sgpr_queue_ptr 0
		.amdhsa_user_sgpr_kernarg_segment_ptr 1
		.amdhsa_user_sgpr_dispatch_id 0
		.amdhsa_user_sgpr_flat_scratch_init 0
		.amdhsa_user_sgpr_kernarg_preload_length 0
		.amdhsa_user_sgpr_kernarg_preload_offset 0
		.amdhsa_user_sgpr_private_segment_size 0
		.amdhsa_uses_dynamic_stack 0
		.amdhsa_system_sgpr_private_segment_wavefront_offset 0
		.amdhsa_system_sgpr_workgroup_id_x 1
		.amdhsa_system_sgpr_workgroup_id_y 1
		.amdhsa_system_sgpr_workgroup_id_z 1
		.amdhsa_system_sgpr_workgroup_info 0
		.amdhsa_system_vgpr_workitem_id 1
		.amdhsa_next_free_vgpr 47
		.amdhsa_next_free_sgpr 36
		.amdhsa_accum_offset 48
		.amdhsa_reserve_vcc 1
		.amdhsa_reserve_flat_scratch 0
		.amdhsa_float_round_mode_32 0
		.amdhsa_float_round_mode_16_64 0
		.amdhsa_float_denorm_mode_32 3
		.amdhsa_float_denorm_mode_16_64 3
		.amdhsa_dx10_clamp 1
		.amdhsa_ieee_mode 1
		.amdhsa_fp16_overflow 0
		.amdhsa_tg_split 0
		.amdhsa_exception_fp_ieee_invalid_op 0
		.amdhsa_exception_fp_denorm_src 0
		.amdhsa_exception_fp_ieee_div_zero 0
		.amdhsa_exception_fp_ieee_overflow 0
		.amdhsa_exception_fp_ieee_underflow 0
		.amdhsa_exception_fp_ieee_inexact 0
		.amdhsa_exception_int_div_zero 0
	.end_amdhsa_kernel
	.section	.text._ZN12_GLOBAL__N_127rocblas_gemm_batched_kernelIDF16_Li16ELi16ELi32ELi32ELi8ELi32ELi8ELi8ELi32ELc67ELc78EKPKDF16_S3_KPDF16_EEvlllT_PT11_llS8_llS6_PT12_llPT13_lli,"axG",@progbits,_ZN12_GLOBAL__N_127rocblas_gemm_batched_kernelIDF16_Li16ELi16ELi32ELi32ELi8ELi32ELi8ELi8ELi32ELc67ELc78EKPKDF16_S3_KPDF16_EEvlllT_PT11_llS8_llS6_PT12_llPT13_lli,comdat
.Lfunc_end161:
	.size	_ZN12_GLOBAL__N_127rocblas_gemm_batched_kernelIDF16_Li16ELi16ELi32ELi32ELi8ELi32ELi8ELi8ELi32ELc67ELc78EKPKDF16_S3_KPDF16_EEvlllT_PT11_llS8_llS6_PT12_llPT13_lli, .Lfunc_end161-_ZN12_GLOBAL__N_127rocblas_gemm_batched_kernelIDF16_Li16ELi16ELi32ELi32ELi8ELi32ELi8ELi8ELi32ELc67ELc78EKPKDF16_S3_KPDF16_EEvlllT_PT11_llS8_llS6_PT12_llPT13_lli
                                        ; -- End function
	.section	.AMDGPU.csdata,"",@progbits
; Kernel info:
; codeLenInByte = 1548
; NumSgprs: 40
; NumVgprs: 47
; NumAgprs: 0
; TotalNumVgprs: 47
; ScratchSize: 0
; MemoryBound: 0
; FloatMode: 240
; IeeeMode: 1
; LDSByteSize: 1024 bytes/workgroup (compile time only)
; SGPRBlocks: 4
; VGPRBlocks: 5
; NumSGPRsForWavesPerEU: 40
; NumVGPRsForWavesPerEU: 47
; AccumOffset: 48
; Occupancy: 8
; WaveLimiterHint : 1
; COMPUTE_PGM_RSRC2:SCRATCH_EN: 0
; COMPUTE_PGM_RSRC2:USER_SGPR: 6
; COMPUTE_PGM_RSRC2:TRAP_HANDLER: 0
; COMPUTE_PGM_RSRC2:TGID_X_EN: 1
; COMPUTE_PGM_RSRC2:TGID_Y_EN: 1
; COMPUTE_PGM_RSRC2:TGID_Z_EN: 1
; COMPUTE_PGM_RSRC2:TIDIG_COMP_CNT: 1
; COMPUTE_PGM_RSRC3_GFX90A:ACCUM_OFFSET: 11
; COMPUTE_PGM_RSRC3_GFX90A:TG_SPLIT: 0
	.section	.text._ZN12_GLOBAL__N_127rocblas_gemm_batched_kernelIDF16_Li16ELi16ELi32ELi32ELi8ELi32ELi8ELi8ELi32ELc67ELc84EKPKDF16_S3_KPDF16_EEvlllT_PT11_llS8_llS6_PT12_llPT13_lli,"axG",@progbits,_ZN12_GLOBAL__N_127rocblas_gemm_batched_kernelIDF16_Li16ELi16ELi32ELi32ELi8ELi32ELi8ELi8ELi32ELc67ELc84EKPKDF16_S3_KPDF16_EEvlllT_PT11_llS8_llS6_PT12_llPT13_lli,comdat
	.globl	_ZN12_GLOBAL__N_127rocblas_gemm_batched_kernelIDF16_Li16ELi16ELi32ELi32ELi8ELi32ELi8ELi8ELi32ELc67ELc84EKPKDF16_S3_KPDF16_EEvlllT_PT11_llS8_llS6_PT12_llPT13_lli ; -- Begin function _ZN12_GLOBAL__N_127rocblas_gemm_batched_kernelIDF16_Li16ELi16ELi32ELi32ELi8ELi32ELi8ELi8ELi32ELc67ELc84EKPKDF16_S3_KPDF16_EEvlllT_PT11_llS8_llS6_PT12_llPT13_lli
	.p2align	8
	.type	_ZN12_GLOBAL__N_127rocblas_gemm_batched_kernelIDF16_Li16ELi16ELi32ELi32ELi8ELi32ELi8ELi8ELi32ELc67ELc84EKPKDF16_S3_KPDF16_EEvlllT_PT11_llS8_llS6_PT12_llPT13_lli,@function
_ZN12_GLOBAL__N_127rocblas_gemm_batched_kernelIDF16_Li16ELi16ELi32ELi32ELi8ELi32ELi8ELi8ELi32ELc67ELc84EKPKDF16_S3_KPDF16_EEvlllT_PT11_llS8_llS6_PT12_llPT13_lli: ; @_ZN12_GLOBAL__N_127rocblas_gemm_batched_kernelIDF16_Li16ELi16ELi32ELi32ELi8ELi32ELi8ELi8ELi32ELc67ELc84EKPKDF16_S3_KPDF16_EEvlllT_PT11_llS8_llS6_PT12_llPT13_lli
; %bb.0:
	s_load_dwordx2 s[30:31], s[4:5], 0x10
	s_load_dwordx4 s[0:3], s[4:5], 0x78
	s_load_dwordx8 s[12:19], s[4:5], 0x58
	s_mov_b32 s9, 0
	s_lshl_b64 s[34:35], s[8:9], 3
	s_mov_b32 s10, s7
	v_bfe_u32 v9, v0, 10, 10
	s_waitcnt lgkmcnt(0)
	s_add_u32 s8, s12, s34
	s_addc_u32 s9, s13, s35
	s_load_dwordx2 s[12:13], s[8:9], 0x0
	s_add_u32 s8, s18, s34
	s_addc_u32 s9, s19, s35
	s_load_dwordx2 s[18:19], s[8:9], 0x0
	s_ashr_i32 s7, s6, 31
	s_ashr_i32 s11, s10, 31
	v_cmp_lt_i64_e64 s[8:9], s[30:31], 1
	v_and_b32_e32 v8, 0x3ff, v0
	s_lshl_b64 s[6:7], s[6:7], 5
	s_lshl_b64 s[28:29], s[10:11], 5
	s_and_b64 vcc, exec, s[8:9]
	s_cbranch_vccnz .LBB162_3
; %bb.1:
	s_load_dwordx8 s[20:27], s[4:5], 0x20
	s_load_dwordx4 s[8:11], s[4:5], 0x40
	v_lshlrev_b32_e32 v2, 4, v9
	v_add_u32_e32 v3, v2, v8
	v_and_b32_e32 v6, 31, v3
	s_waitcnt lgkmcnt(0)
	s_add_u32 s20, s20, s34
	s_addc_u32 s21, s21, s35
	s_add_u32 s26, s26, s34
	v_lshrrev_b32_e32 v0, 3, v3
	v_and_b32_e32 v4, 7, v8
	v_lshrrev_b32_e32 v7, 5, v3
	v_lshlrev_b32_e32 v3, 1, v6
	s_addc_u32 s27, s27, s35
	v_lshl_or_b32 v12, v7, 6, v3
	v_lshlrev_b32_e32 v3, 1, v4
	s_load_dwordx2 s[26:27], s[26:27], 0x0
	v_mov_b32_e32 v1, 0
	v_lshl_or_b32 v3, v0, 4, v3
	v_add_u32_e32 v13, 0x200, v3
	v_add_u32_e32 v15, 0x200, v2
	v_mad_u64_u32 v[2:3], s[34:35], v4, s8, v[0:1]
	v_mov_b32_e32 v0, v3
	v_mad_u64_u32 v[4:5], s[34:35], v4, s9, v[0:1]
	s_lshl_b64 s[10:11], s[10:11], 1
	v_mov_b32_e32 v3, v4
	v_mov_b32_e32 v0, s29
	v_add_co_u32_e32 v2, vcc, s28, v2
	v_addc_co_u32_e32 v3, vcc, v3, v0, vcc
	s_waitcnt lgkmcnt(0)
	s_add_u32 s10, s26, s10
	v_lshlrev_b64 v[2:3], 1, v[2:3]
	s_addc_u32 s11, s27, s11
	v_mov_b32_e32 v0, s11
	v_add_co_u32_e32 v2, vcc, s10, v2
	v_addc_co_u32_e32 v3, vcc, v0, v3, vcc
	v_mov_b32_e32 v0, s7
	v_add_co_u32_e32 v4, vcc, s6, v6
	v_addc_co_u32_e32 v0, vcc, 0, v0, vcc
	v_mul_lo_u32 v6, s23, v4
	v_mul_lo_u32 v0, s22, v0
	v_mad_u64_u32 v[4:5], s[10:11], s22, v4, 0
	v_add3_u32 v5, v5, v0, v6
	s_load_dwordx2 s[20:21], s[20:21], 0x0
	v_lshlrev_b64 v[4:5], 1, v[4:5]
	s_lshl_b64 s[10:11], s[24:25], 1
	v_mov_b32_e32 v0, s11
	v_add_co_u32_e32 v4, vcc, s10, v4
	v_addc_co_u32_e32 v0, vcc, v5, v0, vcc
	v_lshlrev_b32_e32 v5, 1, v7
	v_add_co_u32_e32 v4, vcc, v4, v5
	v_addc_co_u32_e32 v0, vcc, 0, v0, vcc
	s_lshl_b64 s[8:9], s[8:9], 4
	s_waitcnt lgkmcnt(0)
	v_mov_b32_e32 v5, s21
	v_add_co_u32_e32 v4, vcc, s20, v4
	v_lshlrev_b32_e32 v14, 1, v8
	v_addc_co_u32_e32 v5, vcc, v5, v0, vcc
	s_mov_b64 s[10:11], 0
	v_mov_b32_e32 v16, s9
	v_pk_mov_b32 v[6:7], s[30:31], s[30:31] op_sel:[0,1]
	v_mov_b32_e32 v0, v1
	v_mov_b32_e32 v10, v1
	;; [unrolled: 1-line block ×3, first 2 shown]
.LBB162_2:                              ; =>This Inner Loop Header: Depth=1
	global_load_ushort v17, v[4:5], off
	global_load_ushort v18, v[2:3], off
	v_add_co_u32_e32 v2, vcc, s8, v2
	v_addc_co_u32_e32 v3, vcc, v3, v16, vcc
	s_add_u32 s10, s10, 8
	v_add_co_u32_e32 v4, vcc, 16, v4
	v_addc_co_u32_e32 v5, vcc, 0, v5, vcc
	s_addc_u32 s11, s11, 0
	v_cmp_lt_i64_e32 vcc, s[10:11], v[6:7]
	s_and_b64 vcc, exec, vcc
	s_waitcnt vmcnt(1)
	ds_write_b16 v12, v17
	s_waitcnt vmcnt(0)
	ds_write_b16 v13, v18
	s_waitcnt lgkmcnt(0)
	s_barrier
	ds_read_b128 v[18:21], v15
	ds_read_b128 v[22:25], v15 offset:256
	ds_read_u16 v17, v14
	ds_read_u16 v26, v14 offset:32
	ds_read_u16 v27, v14 offset:64
	;; [unrolled: 1-line block ×15, first 2 shown]
	s_waitcnt lgkmcnt(14)
	v_lshrrev_b32_e32 v41, 16, v18
	v_fma_f16 v11, v17, v18, v11
	v_fma_f16 v10, v26, v18, v10
	v_lshrrev_b32_e32 v18, 16, v22
	v_fma_f16 v0, v17, v22, v0
	v_fma_f16 v1, v26, v22, v1
	s_waitcnt lgkmcnt(13)
	v_fma_f16 v11, v27, v41, v11
	s_waitcnt lgkmcnt(12)
	v_fma_f16 v10, v28, v41, v10
	v_fma_f16 v0, v27, v18, v0
	v_fma_f16 v1, v28, v18, v1
	v_lshrrev_b32_e32 v42, 16, v19
	v_lshrrev_b32_e32 v45, 16, v23
	s_waitcnt lgkmcnt(11)
	v_fma_f16 v11, v29, v19, v11
	s_waitcnt lgkmcnt(10)
	v_fma_f16 v10, v30, v19, v10
	v_fma_f16 v0, v29, v23, v0
	v_fma_f16 v1, v30, v23, v1
	s_waitcnt lgkmcnt(9)
	v_fma_f16 v11, v31, v42, v11
	s_waitcnt lgkmcnt(8)
	v_fma_f16 v10, v32, v42, v10
	v_fma_f16 v0, v31, v45, v0
	v_fma_f16 v1, v32, v45, v1
	v_lshrrev_b32_e32 v43, 16, v20
	v_lshrrev_b32_e32 v46, 16, v24
	s_waitcnt lgkmcnt(7)
	v_fma_f16 v11, v33, v20, v11
	s_waitcnt lgkmcnt(6)
	v_fma_f16 v10, v34, v20, v10
	;; [unrolled: 14-line block ×3, first 2 shown]
	v_fma_f16 v0, v37, v25, v0
	v_fma_f16 v1, v38, v25, v1
	s_waitcnt lgkmcnt(1)
	v_fma_f16 v11, v39, v44, v11
	s_waitcnt lgkmcnt(0)
	v_fma_f16 v10, v40, v44, v10
	v_fma_f16 v0, v39, v47, v0
	;; [unrolled: 1-line block ×3, first 2 shown]
	s_barrier
	s_cbranch_vccnz .LBB162_2
	s_branch .LBB162_4
.LBB162_3:
	v_mov_b32_e32 v11, 0
	v_mov_b32_e32 v10, 0
	;; [unrolled: 1-line block ×4, first 2 shown]
.LBB162_4:
	s_load_dword s8, s[4:5], 0x18
	s_load_dword s9, s[4:5], 0x50
	v_mov_b32_e32 v2, s29
	v_add_co_u32_e32 v4, vcc, s28, v9
	s_lshl_b64 s[2:3], s[2:3], 1
	v_addc_co_u32_e32 v7, vcc, 0, v2, vcc
	s_waitcnt lgkmcnt(0)
	s_add_u32 s4, s18, s2
	v_mov_b32_e32 v3, s7
	v_add_co_u32_e32 v2, vcc, s6, v8
	s_addc_u32 s5, s19, s3
	v_cmp_neq_f16_e64 s[2:3], s9, 0
	v_addc_co_u32_e32 v3, vcc, 0, v3, vcc
	s_and_b64 vcc, exec, s[2:3]
	v_mul_lo_u32 v5, v7, s0
	v_mul_lo_u32 v6, v4, s1
	v_lshlrev_b64 v[2:3], 1, v[2:3]
	s_cbranch_vccnz .LBB162_8
; %bb.5:
	v_mad_u64_u32 v[8:9], s[2:3], v4, s0, 0
	v_add3_u32 v9, v9, v6, v5
	v_lshlrev_b64 v[8:9], 1, v[8:9]
	v_mov_b32_e32 v12, s5
	v_add_co_u32_e32 v8, vcc, s4, v8
	v_addc_co_u32_e32 v9, vcc, v12, v9, vcc
	v_add_co_u32_e32 v8, vcc, v8, v2
	v_mul_f16_e32 v12, s8, v11
	v_addc_co_u32_e32 v9, vcc, v9, v3, vcc
	global_store_short v[8:9], v12, off
	v_mul_f16_e32 v12, s8, v10
	s_lshl_b64 s[2:3], s[0:1], 5
	global_store_short v[8:9], v12, off offset:32
	v_mov_b32_e32 v13, s3
	v_add_co_u32_e32 v8, vcc, s2, v8
	v_mul_f16_e32 v12, s8, v0
	v_addc_co_u32_e32 v9, vcc, v9, v13, vcc
	global_store_short v[8:9], v12, off
	v_mul_f16_e32 v12, s8, v1
	global_store_short v[8:9], v12, off offset:32
	s_cbranch_execnz .LBB162_7
.LBB162_6:
	s_lshl_b64 s[2:3], s[16:17], 1
	s_add_u32 s6, s12, s2
	s_addc_u32 s7, s13, s3
	v_mul_lo_u32 v7, v7, s14
	v_mul_lo_u32 v12, v4, s15
	v_mad_u64_u32 v[8:9], s[2:3], v4, s14, 0
	v_add3_u32 v9, v9, v12, v7
	v_lshlrev_b64 v[8:9], 1, v[8:9]
	v_mov_b32_e32 v7, s7
	v_add_co_u32_e32 v8, vcc, s6, v8
	v_addc_co_u32_e32 v7, vcc, v7, v9, vcc
	v_add_co_u32_e32 v8, vcc, v8, v2
	v_addc_co_u32_e32 v9, vcc, v7, v3, vcc
	global_load_ushort v7, v[8:9], off
	v_mad_u64_u32 v[12:13], s[2:3], v4, s0, 0
	v_add3_u32 v13, v13, v6, v5
	v_lshlrev_b64 v[4:5], 1, v[12:13]
	v_mov_b32_e32 v14, s5
	v_add_co_u32_e32 v4, vcc, s4, v4
	v_addc_co_u32_e32 v5, vcc, v14, v5, vcc
	v_add_co_u32_e32 v2, vcc, v4, v2
	v_addc_co_u32_e32 v3, vcc, v5, v3, vcc
	s_lshl_b64 s[2:3], s[14:15], 5
	v_mov_b32_e32 v5, s3
	s_lshl_b64 s[0:1], s[0:1], 5
	s_waitcnt vmcnt(0)
	v_mul_f16_e32 v4, s9, v7
	v_fma_f16 v4, v11, s8, v4
	global_store_short v[2:3], v4, off
	global_load_ushort v6, v[8:9], off offset:32
	v_add_co_u32_e32 v4, vcc, s2, v8
	v_addc_co_u32_e32 v5, vcc, v9, v5, vcc
	v_mov_b32_e32 v7, s1
	s_waitcnt vmcnt(0)
	v_mul_f16_e32 v6, s9, v6
	v_fma_f16 v6, v10, s8, v6
	global_store_short v[2:3], v6, off offset:32
	global_load_ushort v6, v[4:5], off
	v_add_co_u32_e32 v2, vcc, s0, v2
	v_addc_co_u32_e32 v3, vcc, v3, v7, vcc
	s_waitcnt vmcnt(0)
	v_mul_f16_e32 v6, s9, v6
	v_fma_f16 v0, v0, s8, v6
	global_store_short v[2:3], v0, off
	global_load_ushort v0, v[4:5], off offset:32
	s_waitcnt vmcnt(0)
	v_mul_f16_e32 v0, s9, v0
	v_fma_f16 v0, v1, s8, v0
	global_store_short v[2:3], v0, off offset:32
.LBB162_7:
	s_endpgm
.LBB162_8:
	s_branch .LBB162_6
	.section	.rodata,"a",@progbits
	.p2align	6, 0x0
	.amdhsa_kernel _ZN12_GLOBAL__N_127rocblas_gemm_batched_kernelIDF16_Li16ELi16ELi32ELi32ELi8ELi32ELi8ELi8ELi32ELc67ELc84EKPKDF16_S3_KPDF16_EEvlllT_PT11_llS8_llS6_PT12_llPT13_lli
		.amdhsa_group_segment_fixed_size 1024
		.amdhsa_private_segment_fixed_size 0
		.amdhsa_kernarg_size 140
		.amdhsa_user_sgpr_count 6
		.amdhsa_user_sgpr_private_segment_buffer 1
		.amdhsa_user_sgpr_dispatch_ptr 0
		.amdhsa_user_sgpr_queue_ptr 0
		.amdhsa_user_sgpr_kernarg_segment_ptr 1
		.amdhsa_user_sgpr_dispatch_id 0
		.amdhsa_user_sgpr_flat_scratch_init 0
		.amdhsa_user_sgpr_kernarg_preload_length 0
		.amdhsa_user_sgpr_kernarg_preload_offset 0
		.amdhsa_user_sgpr_private_segment_size 0
		.amdhsa_uses_dynamic_stack 0
		.amdhsa_system_sgpr_private_segment_wavefront_offset 0
		.amdhsa_system_sgpr_workgroup_id_x 1
		.amdhsa_system_sgpr_workgroup_id_y 1
		.amdhsa_system_sgpr_workgroup_id_z 1
		.amdhsa_system_sgpr_workgroup_info 0
		.amdhsa_system_vgpr_workitem_id 1
		.amdhsa_next_free_vgpr 48
		.amdhsa_next_free_sgpr 36
		.amdhsa_accum_offset 48
		.amdhsa_reserve_vcc 1
		.amdhsa_reserve_flat_scratch 0
		.amdhsa_float_round_mode_32 0
		.amdhsa_float_round_mode_16_64 0
		.amdhsa_float_denorm_mode_32 3
		.amdhsa_float_denorm_mode_16_64 3
		.amdhsa_dx10_clamp 1
		.amdhsa_ieee_mode 1
		.amdhsa_fp16_overflow 0
		.amdhsa_tg_split 0
		.amdhsa_exception_fp_ieee_invalid_op 0
		.amdhsa_exception_fp_denorm_src 0
		.amdhsa_exception_fp_ieee_div_zero 0
		.amdhsa_exception_fp_ieee_overflow 0
		.amdhsa_exception_fp_ieee_underflow 0
		.amdhsa_exception_fp_ieee_inexact 0
		.amdhsa_exception_int_div_zero 0
	.end_amdhsa_kernel
	.section	.text._ZN12_GLOBAL__N_127rocblas_gemm_batched_kernelIDF16_Li16ELi16ELi32ELi32ELi8ELi32ELi8ELi8ELi32ELc67ELc84EKPKDF16_S3_KPDF16_EEvlllT_PT11_llS8_llS6_PT12_llPT13_lli,"axG",@progbits,_ZN12_GLOBAL__N_127rocblas_gemm_batched_kernelIDF16_Li16ELi16ELi32ELi32ELi8ELi32ELi8ELi8ELi32ELc67ELc84EKPKDF16_S3_KPDF16_EEvlllT_PT11_llS8_llS6_PT12_llPT13_lli,comdat
.Lfunc_end162:
	.size	_ZN12_GLOBAL__N_127rocblas_gemm_batched_kernelIDF16_Li16ELi16ELi32ELi32ELi8ELi32ELi8ELi8ELi32ELc67ELc84EKPKDF16_S3_KPDF16_EEvlllT_PT11_llS8_llS6_PT12_llPT13_lli, .Lfunc_end162-_ZN12_GLOBAL__N_127rocblas_gemm_batched_kernelIDF16_Li16ELi16ELi32ELi32ELi8ELi32ELi8ELi8ELi32ELc67ELc84EKPKDF16_S3_KPDF16_EEvlllT_PT11_llS8_llS6_PT12_llPT13_lli
                                        ; -- End function
	.section	.AMDGPU.csdata,"",@progbits
; Kernel info:
; codeLenInByte = 1536
; NumSgprs: 40
; NumVgprs: 48
; NumAgprs: 0
; TotalNumVgprs: 48
; ScratchSize: 0
; MemoryBound: 0
; FloatMode: 240
; IeeeMode: 1
; LDSByteSize: 1024 bytes/workgroup (compile time only)
; SGPRBlocks: 4
; VGPRBlocks: 5
; NumSGPRsForWavesPerEU: 40
; NumVGPRsForWavesPerEU: 48
; AccumOffset: 48
; Occupancy: 8
; WaveLimiterHint : 1
; COMPUTE_PGM_RSRC2:SCRATCH_EN: 0
; COMPUTE_PGM_RSRC2:USER_SGPR: 6
; COMPUTE_PGM_RSRC2:TRAP_HANDLER: 0
; COMPUTE_PGM_RSRC2:TGID_X_EN: 1
; COMPUTE_PGM_RSRC2:TGID_Y_EN: 1
; COMPUTE_PGM_RSRC2:TGID_Z_EN: 1
; COMPUTE_PGM_RSRC2:TIDIG_COMP_CNT: 1
; COMPUTE_PGM_RSRC3_GFX90A:ACCUM_OFFSET: 11
; COMPUTE_PGM_RSRC3_GFX90A:TG_SPLIT: 0
	.section	.text._ZN12_GLOBAL__N_127rocblas_gemm_batched_kernelIDF16_Li16ELi16ELi32ELi32ELi8ELi32ELi8ELi8ELi32ELc78ELc67EKPKDF16_S3_KPDF16_EEvlllT_PT11_llS8_llS6_PT12_llPT13_lli,"axG",@progbits,_ZN12_GLOBAL__N_127rocblas_gemm_batched_kernelIDF16_Li16ELi16ELi32ELi32ELi8ELi32ELi8ELi8ELi32ELc78ELc67EKPKDF16_S3_KPDF16_EEvlllT_PT11_llS8_llS6_PT12_llPT13_lli,comdat
	.globl	_ZN12_GLOBAL__N_127rocblas_gemm_batched_kernelIDF16_Li16ELi16ELi32ELi32ELi8ELi32ELi8ELi8ELi32ELc78ELc67EKPKDF16_S3_KPDF16_EEvlllT_PT11_llS8_llS6_PT12_llPT13_lli ; -- Begin function _ZN12_GLOBAL__N_127rocblas_gemm_batched_kernelIDF16_Li16ELi16ELi32ELi32ELi8ELi32ELi8ELi8ELi32ELc78ELc67EKPKDF16_S3_KPDF16_EEvlllT_PT11_llS8_llS6_PT12_llPT13_lli
	.p2align	8
	.type	_ZN12_GLOBAL__N_127rocblas_gemm_batched_kernelIDF16_Li16ELi16ELi32ELi32ELi8ELi32ELi8ELi8ELi32ELc78ELc67EKPKDF16_S3_KPDF16_EEvlllT_PT11_llS8_llS6_PT12_llPT13_lli,@function
_ZN12_GLOBAL__N_127rocblas_gemm_batched_kernelIDF16_Li16ELi16ELi32ELi32ELi8ELi32ELi8ELi8ELi32ELc78ELc67EKPKDF16_S3_KPDF16_EEvlllT_PT11_llS8_llS6_PT12_llPT13_lli: ; @_ZN12_GLOBAL__N_127rocblas_gemm_batched_kernelIDF16_Li16ELi16ELi32ELi32ELi8ELi32ELi8ELi8ELi32ELc78ELc67EKPKDF16_S3_KPDF16_EEvlllT_PT11_llS8_llS6_PT12_llPT13_lli
; %bb.0:
	s_load_dwordx2 s[30:31], s[4:5], 0x10
	s_load_dwordx4 s[0:3], s[4:5], 0x78
	s_load_dwordx8 s[12:19], s[4:5], 0x58
	s_mov_b32 s9, 0
	s_lshl_b64 s[34:35], s[8:9], 3
	s_mov_b32 s10, s7
	v_bfe_u32 v9, v0, 10, 10
	s_waitcnt lgkmcnt(0)
	s_add_u32 s8, s12, s34
	s_addc_u32 s9, s13, s35
	s_load_dwordx2 s[12:13], s[8:9], 0x0
	s_add_u32 s8, s18, s34
	s_addc_u32 s9, s19, s35
	s_load_dwordx2 s[18:19], s[8:9], 0x0
	s_ashr_i32 s7, s6, 31
	s_ashr_i32 s11, s10, 31
	v_cmp_lt_i64_e64 s[8:9], s[30:31], 1
	v_and_b32_e32 v8, 0x3ff, v0
	s_lshl_b64 s[6:7], s[6:7], 5
	s_lshl_b64 s[28:29], s[10:11], 5
	s_and_b64 vcc, exec, s[8:9]
	s_cbranch_vccnz .LBB163_3
; %bb.1:
	s_load_dwordx8 s[20:27], s[4:5], 0x20
	s_load_dwordx4 s[8:11], s[4:5], 0x40
	v_lshlrev_b32_e32 v2, 4, v9
	v_add_u32_e32 v3, v2, v8
	v_and_b32_e32 v10, 31, v3
	s_waitcnt lgkmcnt(0)
	s_add_u32 s20, s20, s34
	s_addc_u32 s21, s21, s35
	s_add_u32 s26, s26, s34
	v_lshrrev_b32_e32 v0, 3, v3
	v_and_b32_e32 v4, 7, v8
	v_lshrrev_b32_e32 v6, 5, v3
	v_lshlrev_b32_e32 v3, 1, v10
	s_addc_u32 s27, s27, s35
	v_lshl_or_b32 v12, v6, 6, v3
	v_lshlrev_b32_e32 v3, 1, v4
	s_load_dwordx2 s[26:27], s[26:27], 0x0
	v_mov_b32_e32 v1, 0
	v_lshl_or_b32 v3, v0, 4, v3
	v_add_u32_e32 v13, 0x200, v3
	v_add_u32_e32 v15, 0x200, v2
	v_mad_u64_u32 v[2:3], s[34:35], v4, s8, v[0:1]
	v_mov_b32_e32 v0, v3
	v_mad_u64_u32 v[4:5], s[34:35], v4, s9, v[0:1]
	s_lshl_b64 s[10:11], s[10:11], 1
	v_mov_b32_e32 v3, v4
	v_mov_b32_e32 v0, s29
	v_add_co_u32_e32 v2, vcc, s28, v2
	v_addc_co_u32_e32 v3, vcc, v3, v0, vcc
	s_waitcnt lgkmcnt(0)
	s_add_u32 s10, s26, s10
	s_load_dwordx2 s[20:21], s[20:21], 0x0
	v_lshlrev_b64 v[2:3], 1, v[2:3]
	s_addc_u32 s11, s27, s11
	v_pk_mov_b32 v[4:5], s[6:7], s[6:7] op_sel:[0,1]
	v_mov_b32_e32 v0, s11
	v_add_co_u32_e32 v2, vcc, s10, v2
	s_lshl_b64 s[10:11], s[24:25], 1
	v_mad_u64_u32 v[4:5], s[24:25], v6, s22, v[4:5]
	v_addc_co_u32_e32 v3, vcc, v0, v3, vcc
	v_mov_b32_e32 v0, v5
	v_mad_u64_u32 v[6:7], s[24:25], v6, s23, v[0:1]
	s_lshl_b64 s[8:9], s[8:9], 4
	v_mov_b32_e32 v5, v6
	v_add_co_u32_e32 v4, vcc, v4, v10
	v_addc_co_u32_e32 v5, vcc, 0, v5, vcc
	s_waitcnt lgkmcnt(0)
	s_add_u32 s10, s20, s10
	v_lshlrev_b64 v[4:5], 1, v[4:5]
	s_addc_u32 s11, s21, s11
	v_mov_b32_e32 v0, s11
	v_add_co_u32_e32 v4, vcc, s10, v4
	s_lshl_b64 s[10:11], s[22:23], 4
	v_lshlrev_b32_e32 v14, 1, v8
	v_addc_co_u32_e32 v5, vcc, v0, v5, vcc
	s_mov_b64 s[20:21], 0
	v_mov_b32_e32 v16, s9
	v_mov_b32_e32 v17, s11
	v_pk_mov_b32 v[6:7], s[30:31], s[30:31] op_sel:[0,1]
	v_mov_b32_e32 v0, v1
	v_mov_b32_e32 v10, v1
	;; [unrolled: 1-line block ×3, first 2 shown]
.LBB163_2:                              ; =>This Inner Loop Header: Depth=1
	global_load_ushort v18, v[4:5], off
	global_load_ushort v19, v[2:3], off
	v_add_co_u32_e32 v2, vcc, s8, v2
	v_addc_co_u32_e32 v3, vcc, v3, v16, vcc
	s_add_u32 s20, s20, 8
	v_add_co_u32_e32 v4, vcc, s10, v4
	v_addc_co_u32_e32 v5, vcc, v5, v17, vcc
	s_addc_u32 s21, s21, 0
	v_cmp_lt_i64_e32 vcc, s[20:21], v[6:7]
	s_and_b64 vcc, exec, vcc
	s_waitcnt vmcnt(1)
	ds_write_b16 v12, v18
	s_waitcnt vmcnt(0)
	ds_write_b16 v13, v19
	s_waitcnt lgkmcnt(0)
	s_barrier
	ds_read_b128 v[18:21], v15
	ds_read_b128 v[22:25], v15 offset:256
	ds_read_u16 v26, v14
	ds_read_u16 v27, v14 offset:32
	ds_read_u16 v28, v14 offset:64
	;; [unrolled: 1-line block ×15, first 2 shown]
	s_waitcnt lgkmcnt(14)
	v_lshrrev_b32_e32 v42, 16, v18
	v_fma_f16 v11, v26, v18, v11
	v_fma_f16 v10, v27, v18, v10
	v_lshrrev_b32_e32 v18, 16, v22
	v_fma_f16 v0, v26, v22, v0
	v_fma_f16 v1, v27, v22, v1
	s_waitcnt lgkmcnt(13)
	v_fma_f16 v11, v28, v42, v11
	s_waitcnt lgkmcnt(12)
	v_fma_f16 v10, v29, v42, v10
	v_fma_f16 v0, v28, v18, v0
	v_fma_f16 v1, v29, v18, v1
	v_lshrrev_b32_e32 v43, 16, v19
	v_lshrrev_b32_e32 v46, 16, v23
	s_waitcnt lgkmcnt(11)
	v_fma_f16 v11, v30, v19, v11
	s_waitcnt lgkmcnt(10)
	v_fma_f16 v10, v31, v19, v10
	v_fma_f16 v0, v30, v23, v0
	v_fma_f16 v1, v31, v23, v1
	s_waitcnt lgkmcnt(9)
	v_fma_f16 v11, v32, v43, v11
	s_waitcnt lgkmcnt(8)
	v_fma_f16 v10, v33, v43, v10
	v_fma_f16 v0, v32, v46, v0
	v_fma_f16 v1, v33, v46, v1
	v_lshrrev_b32_e32 v44, 16, v20
	v_lshrrev_b32_e32 v47, 16, v24
	s_waitcnt lgkmcnt(7)
	v_fma_f16 v11, v34, v20, v11
	s_waitcnt lgkmcnt(6)
	v_fma_f16 v10, v35, v20, v10
	;; [unrolled: 14-line block ×3, first 2 shown]
	v_fma_f16 v0, v38, v25, v0
	v_fma_f16 v1, v39, v25, v1
	s_waitcnt lgkmcnt(1)
	v_fma_f16 v11, v40, v45, v11
	s_waitcnt lgkmcnt(0)
	v_fma_f16 v10, v41, v45, v10
	v_fma_f16 v0, v40, v48, v0
	;; [unrolled: 1-line block ×3, first 2 shown]
	s_barrier
	s_cbranch_vccnz .LBB163_2
	s_branch .LBB163_4
.LBB163_3:
	v_mov_b32_e32 v11, 0
	v_mov_b32_e32 v10, 0
	;; [unrolled: 1-line block ×4, first 2 shown]
.LBB163_4:
	s_load_dword s8, s[4:5], 0x18
	s_load_dword s9, s[4:5], 0x50
	v_mov_b32_e32 v2, s29
	v_add_co_u32_e32 v4, vcc, s28, v9
	s_lshl_b64 s[2:3], s[2:3], 1
	v_addc_co_u32_e32 v7, vcc, 0, v2, vcc
	s_waitcnt lgkmcnt(0)
	s_add_u32 s4, s18, s2
	v_mov_b32_e32 v3, s7
	v_add_co_u32_e32 v2, vcc, s6, v8
	s_addc_u32 s5, s19, s3
	v_cmp_neq_f16_e64 s[2:3], s9, 0
	v_addc_co_u32_e32 v3, vcc, 0, v3, vcc
	s_and_b64 vcc, exec, s[2:3]
	v_mul_lo_u32 v5, v7, s0
	v_mul_lo_u32 v6, v4, s1
	v_lshlrev_b64 v[2:3], 1, v[2:3]
	s_cbranch_vccnz .LBB163_8
; %bb.5:
	v_mad_u64_u32 v[8:9], s[2:3], v4, s0, 0
	v_add3_u32 v9, v9, v6, v5
	v_lshlrev_b64 v[8:9], 1, v[8:9]
	v_mov_b32_e32 v12, s5
	v_add_co_u32_e32 v8, vcc, s4, v8
	v_addc_co_u32_e32 v9, vcc, v12, v9, vcc
	v_add_co_u32_e32 v8, vcc, v8, v2
	v_mul_f16_e32 v12, s8, v11
	v_addc_co_u32_e32 v9, vcc, v9, v3, vcc
	global_store_short v[8:9], v12, off
	v_mul_f16_e32 v12, s8, v10
	s_lshl_b64 s[2:3], s[0:1], 5
	global_store_short v[8:9], v12, off offset:32
	v_mov_b32_e32 v13, s3
	v_add_co_u32_e32 v8, vcc, s2, v8
	v_mul_f16_e32 v12, s8, v0
	v_addc_co_u32_e32 v9, vcc, v9, v13, vcc
	global_store_short v[8:9], v12, off
	v_mul_f16_e32 v12, s8, v1
	global_store_short v[8:9], v12, off offset:32
	s_cbranch_execnz .LBB163_7
.LBB163_6:
	s_lshl_b64 s[2:3], s[16:17], 1
	s_add_u32 s6, s12, s2
	s_addc_u32 s7, s13, s3
	v_mul_lo_u32 v7, v7, s14
	v_mul_lo_u32 v12, v4, s15
	v_mad_u64_u32 v[8:9], s[2:3], v4, s14, 0
	v_add3_u32 v9, v9, v12, v7
	v_lshlrev_b64 v[8:9], 1, v[8:9]
	v_mov_b32_e32 v7, s7
	v_add_co_u32_e32 v8, vcc, s6, v8
	v_addc_co_u32_e32 v7, vcc, v7, v9, vcc
	v_add_co_u32_e32 v8, vcc, v8, v2
	v_addc_co_u32_e32 v9, vcc, v7, v3, vcc
	global_load_ushort v7, v[8:9], off
	v_mad_u64_u32 v[12:13], s[2:3], v4, s0, 0
	v_add3_u32 v13, v13, v6, v5
	v_lshlrev_b64 v[4:5], 1, v[12:13]
	v_mov_b32_e32 v14, s5
	v_add_co_u32_e32 v4, vcc, s4, v4
	v_addc_co_u32_e32 v5, vcc, v14, v5, vcc
	v_add_co_u32_e32 v2, vcc, v4, v2
	v_addc_co_u32_e32 v3, vcc, v5, v3, vcc
	s_lshl_b64 s[2:3], s[14:15], 5
	v_mov_b32_e32 v5, s3
	s_lshl_b64 s[0:1], s[0:1], 5
	s_waitcnt vmcnt(0)
	v_mul_f16_e32 v4, s9, v7
	v_fma_f16 v4, v11, s8, v4
	global_store_short v[2:3], v4, off
	global_load_ushort v6, v[8:9], off offset:32
	v_add_co_u32_e32 v4, vcc, s2, v8
	v_addc_co_u32_e32 v5, vcc, v9, v5, vcc
	v_mov_b32_e32 v7, s1
	s_waitcnt vmcnt(0)
	v_mul_f16_e32 v6, s9, v6
	v_fma_f16 v6, v10, s8, v6
	global_store_short v[2:3], v6, off offset:32
	global_load_ushort v6, v[4:5], off
	v_add_co_u32_e32 v2, vcc, s0, v2
	v_addc_co_u32_e32 v3, vcc, v3, v7, vcc
	s_waitcnt vmcnt(0)
	v_mul_f16_e32 v6, s9, v6
	v_fma_f16 v0, v0, s8, v6
	global_store_short v[2:3], v0, off
	global_load_ushort v0, v[4:5], off offset:32
	s_waitcnt vmcnt(0)
	v_mul_f16_e32 v0, s9, v0
	v_fma_f16 v0, v1, s8, v0
	global_store_short v[2:3], v0, off offset:32
.LBB163_7:
	s_endpgm
.LBB163_8:
	s_branch .LBB163_6
	.section	.rodata,"a",@progbits
	.p2align	6, 0x0
	.amdhsa_kernel _ZN12_GLOBAL__N_127rocblas_gemm_batched_kernelIDF16_Li16ELi16ELi32ELi32ELi8ELi32ELi8ELi8ELi32ELc78ELc67EKPKDF16_S3_KPDF16_EEvlllT_PT11_llS8_llS6_PT12_llPT13_lli
		.amdhsa_group_segment_fixed_size 1024
		.amdhsa_private_segment_fixed_size 0
		.amdhsa_kernarg_size 140
		.amdhsa_user_sgpr_count 6
		.amdhsa_user_sgpr_private_segment_buffer 1
		.amdhsa_user_sgpr_dispatch_ptr 0
		.amdhsa_user_sgpr_queue_ptr 0
		.amdhsa_user_sgpr_kernarg_segment_ptr 1
		.amdhsa_user_sgpr_dispatch_id 0
		.amdhsa_user_sgpr_flat_scratch_init 0
		.amdhsa_user_sgpr_kernarg_preload_length 0
		.amdhsa_user_sgpr_kernarg_preload_offset 0
		.amdhsa_user_sgpr_private_segment_size 0
		.amdhsa_uses_dynamic_stack 0
		.amdhsa_system_sgpr_private_segment_wavefront_offset 0
		.amdhsa_system_sgpr_workgroup_id_x 1
		.amdhsa_system_sgpr_workgroup_id_y 1
		.amdhsa_system_sgpr_workgroup_id_z 1
		.amdhsa_system_sgpr_workgroup_info 0
		.amdhsa_system_vgpr_workitem_id 1
		.amdhsa_next_free_vgpr 49
		.amdhsa_next_free_sgpr 36
		.amdhsa_accum_offset 52
		.amdhsa_reserve_vcc 1
		.amdhsa_reserve_flat_scratch 0
		.amdhsa_float_round_mode_32 0
		.amdhsa_float_round_mode_16_64 0
		.amdhsa_float_denorm_mode_32 3
		.amdhsa_float_denorm_mode_16_64 3
		.amdhsa_dx10_clamp 1
		.amdhsa_ieee_mode 1
		.amdhsa_fp16_overflow 0
		.amdhsa_tg_split 0
		.amdhsa_exception_fp_ieee_invalid_op 0
		.amdhsa_exception_fp_denorm_src 0
		.amdhsa_exception_fp_ieee_div_zero 0
		.amdhsa_exception_fp_ieee_overflow 0
		.amdhsa_exception_fp_ieee_underflow 0
		.amdhsa_exception_fp_ieee_inexact 0
		.amdhsa_exception_int_div_zero 0
	.end_amdhsa_kernel
	.section	.text._ZN12_GLOBAL__N_127rocblas_gemm_batched_kernelIDF16_Li16ELi16ELi32ELi32ELi8ELi32ELi8ELi8ELi32ELc78ELc67EKPKDF16_S3_KPDF16_EEvlllT_PT11_llS8_llS6_PT12_llPT13_lli,"axG",@progbits,_ZN12_GLOBAL__N_127rocblas_gemm_batched_kernelIDF16_Li16ELi16ELi32ELi32ELi8ELi32ELi8ELi8ELi32ELc78ELc67EKPKDF16_S3_KPDF16_EEvlllT_PT11_llS8_llS6_PT12_llPT13_lli,comdat
.Lfunc_end163:
	.size	_ZN12_GLOBAL__N_127rocblas_gemm_batched_kernelIDF16_Li16ELi16ELi32ELi32ELi8ELi32ELi8ELi8ELi32ELc78ELc67EKPKDF16_S3_KPDF16_EEvlllT_PT11_llS8_llS6_PT12_llPT13_lli, .Lfunc_end163-_ZN12_GLOBAL__N_127rocblas_gemm_batched_kernelIDF16_Li16ELi16ELi32ELi32ELi8ELi32ELi8ELi8ELi32ELc78ELc67EKPKDF16_S3_KPDF16_EEvlllT_PT11_llS8_llS6_PT12_llPT13_lli
                                        ; -- End function
	.section	.AMDGPU.csdata,"",@progbits
; Kernel info:
; codeLenInByte = 1524
; NumSgprs: 40
; NumVgprs: 49
; NumAgprs: 0
; TotalNumVgprs: 49
; ScratchSize: 0
; MemoryBound: 0
; FloatMode: 240
; IeeeMode: 1
; LDSByteSize: 1024 bytes/workgroup (compile time only)
; SGPRBlocks: 4
; VGPRBlocks: 6
; NumSGPRsForWavesPerEU: 40
; NumVGPRsForWavesPerEU: 49
; AccumOffset: 52
; Occupancy: 8
; WaveLimiterHint : 1
; COMPUTE_PGM_RSRC2:SCRATCH_EN: 0
; COMPUTE_PGM_RSRC2:USER_SGPR: 6
; COMPUTE_PGM_RSRC2:TRAP_HANDLER: 0
; COMPUTE_PGM_RSRC2:TGID_X_EN: 1
; COMPUTE_PGM_RSRC2:TGID_Y_EN: 1
; COMPUTE_PGM_RSRC2:TGID_Z_EN: 1
; COMPUTE_PGM_RSRC2:TIDIG_COMP_CNT: 1
; COMPUTE_PGM_RSRC3_GFX90A:ACCUM_OFFSET: 12
; COMPUTE_PGM_RSRC3_GFX90A:TG_SPLIT: 0
	.section	.text._ZN12_GLOBAL__N_127rocblas_gemm_batched_kernelIDF16_Li16ELi16ELi32ELi32ELi8ELi32ELi8ELi8ELi32ELc84ELc67EKPKDF16_S3_KPDF16_EEvlllT_PT11_llS8_llS6_PT12_llPT13_lli,"axG",@progbits,_ZN12_GLOBAL__N_127rocblas_gemm_batched_kernelIDF16_Li16ELi16ELi32ELi32ELi8ELi32ELi8ELi8ELi32ELc84ELc67EKPKDF16_S3_KPDF16_EEvlllT_PT11_llS8_llS6_PT12_llPT13_lli,comdat
	.globl	_ZN12_GLOBAL__N_127rocblas_gemm_batched_kernelIDF16_Li16ELi16ELi32ELi32ELi8ELi32ELi8ELi8ELi32ELc84ELc67EKPKDF16_S3_KPDF16_EEvlllT_PT11_llS8_llS6_PT12_llPT13_lli ; -- Begin function _ZN12_GLOBAL__N_127rocblas_gemm_batched_kernelIDF16_Li16ELi16ELi32ELi32ELi8ELi32ELi8ELi8ELi32ELc84ELc67EKPKDF16_S3_KPDF16_EEvlllT_PT11_llS8_llS6_PT12_llPT13_lli
	.p2align	8
	.type	_ZN12_GLOBAL__N_127rocblas_gemm_batched_kernelIDF16_Li16ELi16ELi32ELi32ELi8ELi32ELi8ELi8ELi32ELc84ELc67EKPKDF16_S3_KPDF16_EEvlllT_PT11_llS8_llS6_PT12_llPT13_lli,@function
_ZN12_GLOBAL__N_127rocblas_gemm_batched_kernelIDF16_Li16ELi16ELi32ELi32ELi8ELi32ELi8ELi8ELi32ELc84ELc67EKPKDF16_S3_KPDF16_EEvlllT_PT11_llS8_llS6_PT12_llPT13_lli: ; @_ZN12_GLOBAL__N_127rocblas_gemm_batched_kernelIDF16_Li16ELi16ELi32ELi32ELi8ELi32ELi8ELi8ELi32ELc84ELc67EKPKDF16_S3_KPDF16_EEvlllT_PT11_llS8_llS6_PT12_llPT13_lli
; %bb.0:
	s_load_dwordx2 s[30:31], s[4:5], 0x10
	s_load_dwordx4 s[0:3], s[4:5], 0x78
	s_load_dwordx8 s[12:19], s[4:5], 0x58
	s_mov_b32 s9, 0
	s_lshl_b64 s[34:35], s[8:9], 3
	s_mov_b32 s10, s7
	v_bfe_u32 v9, v0, 10, 10
	s_waitcnt lgkmcnt(0)
	s_add_u32 s8, s12, s34
	s_addc_u32 s9, s13, s35
	s_load_dwordx2 s[12:13], s[8:9], 0x0
	s_add_u32 s8, s18, s34
	s_addc_u32 s9, s19, s35
	s_load_dwordx2 s[18:19], s[8:9], 0x0
	s_ashr_i32 s7, s6, 31
	s_ashr_i32 s11, s10, 31
	v_cmp_lt_i64_e64 s[8:9], s[30:31], 1
	v_and_b32_e32 v8, 0x3ff, v0
	s_lshl_b64 s[6:7], s[6:7], 5
	s_lshl_b64 s[28:29], s[10:11], 5
	s_and_b64 vcc, exec, s[8:9]
	s_cbranch_vccnz .LBB164_3
; %bb.1:
	s_load_dwordx8 s[20:27], s[4:5], 0x20
	s_load_dwordx4 s[8:11], s[4:5], 0x40
	v_lshlrev_b32_e32 v2, 4, v9
	v_add_u32_e32 v3, v2, v8
	v_and_b32_e32 v6, 31, v3
	s_waitcnt lgkmcnt(0)
	s_add_u32 s20, s20, s34
	s_addc_u32 s21, s21, s35
	s_add_u32 s26, s26, s34
	v_lshrrev_b32_e32 v0, 3, v3
	v_and_b32_e32 v4, 7, v8
	v_lshrrev_b32_e32 v7, 5, v3
	v_lshlrev_b32_e32 v3, 1, v6
	s_addc_u32 s27, s27, s35
	v_lshl_or_b32 v12, v7, 6, v3
	v_lshlrev_b32_e32 v3, 1, v4
	s_load_dwordx2 s[26:27], s[26:27], 0x0
	v_mov_b32_e32 v1, 0
	v_lshl_or_b32 v3, v0, 4, v3
	v_add_u32_e32 v13, 0x200, v3
	v_add_u32_e32 v15, 0x200, v2
	v_mad_u64_u32 v[2:3], s[34:35], v4, s8, v[0:1]
	v_mov_b32_e32 v0, v3
	v_mad_u64_u32 v[4:5], s[34:35], v4, s9, v[0:1]
	s_lshl_b64 s[10:11], s[10:11], 1
	v_mov_b32_e32 v3, v4
	v_mov_b32_e32 v0, s29
	v_add_co_u32_e32 v2, vcc, s28, v2
	v_addc_co_u32_e32 v3, vcc, v3, v0, vcc
	s_waitcnt lgkmcnt(0)
	s_add_u32 s10, s26, s10
	v_lshlrev_b64 v[2:3], 1, v[2:3]
	s_addc_u32 s11, s27, s11
	v_mov_b32_e32 v0, s11
	v_add_co_u32_e32 v2, vcc, s10, v2
	v_addc_co_u32_e32 v3, vcc, v0, v3, vcc
	v_mov_b32_e32 v0, s7
	v_add_co_u32_e32 v4, vcc, s6, v6
	v_addc_co_u32_e32 v0, vcc, 0, v0, vcc
	v_mul_lo_u32 v6, s23, v4
	v_mul_lo_u32 v0, s22, v0
	v_mad_u64_u32 v[4:5], s[10:11], s22, v4, 0
	v_add3_u32 v5, v5, v0, v6
	s_load_dwordx2 s[20:21], s[20:21], 0x0
	v_lshlrev_b64 v[4:5], 1, v[4:5]
	s_lshl_b64 s[10:11], s[24:25], 1
	v_mov_b32_e32 v0, s11
	v_add_co_u32_e32 v4, vcc, s10, v4
	v_addc_co_u32_e32 v0, vcc, v5, v0, vcc
	v_lshlrev_b32_e32 v5, 1, v7
	v_add_co_u32_e32 v4, vcc, v4, v5
	v_addc_co_u32_e32 v0, vcc, 0, v0, vcc
	s_lshl_b64 s[8:9], s[8:9], 4
	s_waitcnt lgkmcnt(0)
	v_mov_b32_e32 v5, s21
	v_add_co_u32_e32 v4, vcc, s20, v4
	v_lshlrev_b32_e32 v14, 1, v8
	v_addc_co_u32_e32 v5, vcc, v5, v0, vcc
	s_mov_b64 s[10:11], 0
	v_mov_b32_e32 v16, s9
	v_pk_mov_b32 v[6:7], s[30:31], s[30:31] op_sel:[0,1]
	v_mov_b32_e32 v0, v1
	v_mov_b32_e32 v10, v1
	;; [unrolled: 1-line block ×3, first 2 shown]
.LBB164_2:                              ; =>This Inner Loop Header: Depth=1
	global_load_ushort v17, v[4:5], off
	global_load_ushort v18, v[2:3], off
	v_add_co_u32_e32 v2, vcc, s8, v2
	v_addc_co_u32_e32 v3, vcc, v3, v16, vcc
	s_add_u32 s10, s10, 8
	v_add_co_u32_e32 v4, vcc, 16, v4
	v_addc_co_u32_e32 v5, vcc, 0, v5, vcc
	s_addc_u32 s11, s11, 0
	v_cmp_lt_i64_e32 vcc, s[10:11], v[6:7]
	s_and_b64 vcc, exec, vcc
	s_waitcnt vmcnt(1)
	ds_write_b16 v12, v17
	s_waitcnt vmcnt(0)
	ds_write_b16 v13, v18
	s_waitcnt lgkmcnt(0)
	s_barrier
	ds_read_b128 v[18:21], v15
	ds_read_b128 v[22:25], v15 offset:256
	ds_read_u16 v17, v14
	ds_read_u16 v26, v14 offset:32
	ds_read_u16 v27, v14 offset:64
	ds_read_u16 v28, v14 offset:96
	ds_read_u16 v29, v14 offset:128
	ds_read_u16 v30, v14 offset:160
	ds_read_u16 v31, v14 offset:192
	ds_read_u16 v32, v14 offset:224
	ds_read_u16 v33, v14 offset:256
	ds_read_u16 v34, v14 offset:288
	ds_read_u16 v35, v14 offset:320
	ds_read_u16 v36, v14 offset:352
	ds_read_u16 v37, v14 offset:384
	ds_read_u16 v38, v14 offset:416
	ds_read_u16 v39, v14 offset:448
	ds_read_u16 v40, v14 offset:480
	s_waitcnt lgkmcnt(14)
	v_lshrrev_b32_e32 v41, 16, v18
	v_fma_f16 v11, v17, v18, v11
	v_fma_f16 v10, v26, v18, v10
	v_lshrrev_b32_e32 v18, 16, v22
	v_fma_f16 v0, v17, v22, v0
	v_fma_f16 v1, v26, v22, v1
	s_waitcnt lgkmcnt(13)
	v_fma_f16 v11, v27, v41, v11
	s_waitcnt lgkmcnt(12)
	v_fma_f16 v10, v28, v41, v10
	v_fma_f16 v0, v27, v18, v0
	v_fma_f16 v1, v28, v18, v1
	v_lshrrev_b32_e32 v42, 16, v19
	v_lshrrev_b32_e32 v45, 16, v23
	s_waitcnt lgkmcnt(11)
	v_fma_f16 v11, v29, v19, v11
	s_waitcnt lgkmcnt(10)
	v_fma_f16 v10, v30, v19, v10
	v_fma_f16 v0, v29, v23, v0
	v_fma_f16 v1, v30, v23, v1
	s_waitcnt lgkmcnt(9)
	v_fma_f16 v11, v31, v42, v11
	s_waitcnt lgkmcnt(8)
	v_fma_f16 v10, v32, v42, v10
	v_fma_f16 v0, v31, v45, v0
	v_fma_f16 v1, v32, v45, v1
	v_lshrrev_b32_e32 v43, 16, v20
	v_lshrrev_b32_e32 v46, 16, v24
	s_waitcnt lgkmcnt(7)
	v_fma_f16 v11, v33, v20, v11
	s_waitcnt lgkmcnt(6)
	v_fma_f16 v10, v34, v20, v10
	;; [unrolled: 14-line block ×3, first 2 shown]
	v_fma_f16 v0, v37, v25, v0
	v_fma_f16 v1, v38, v25, v1
	s_waitcnt lgkmcnt(1)
	v_fma_f16 v11, v39, v44, v11
	s_waitcnt lgkmcnt(0)
	v_fma_f16 v10, v40, v44, v10
	v_fma_f16 v0, v39, v47, v0
	;; [unrolled: 1-line block ×3, first 2 shown]
	s_barrier
	s_cbranch_vccnz .LBB164_2
	s_branch .LBB164_4
.LBB164_3:
	v_mov_b32_e32 v11, 0
	v_mov_b32_e32 v10, 0
	;; [unrolled: 1-line block ×4, first 2 shown]
.LBB164_4:
	s_load_dword s8, s[4:5], 0x18
	s_load_dword s9, s[4:5], 0x50
	v_mov_b32_e32 v2, s29
	v_add_co_u32_e32 v4, vcc, s28, v9
	s_lshl_b64 s[2:3], s[2:3], 1
	v_addc_co_u32_e32 v7, vcc, 0, v2, vcc
	s_waitcnt lgkmcnt(0)
	s_add_u32 s4, s18, s2
	v_mov_b32_e32 v3, s7
	v_add_co_u32_e32 v2, vcc, s6, v8
	s_addc_u32 s5, s19, s3
	v_cmp_neq_f16_e64 s[2:3], s9, 0
	v_addc_co_u32_e32 v3, vcc, 0, v3, vcc
	s_and_b64 vcc, exec, s[2:3]
	v_mul_lo_u32 v5, v7, s0
	v_mul_lo_u32 v6, v4, s1
	v_lshlrev_b64 v[2:3], 1, v[2:3]
	s_cbranch_vccnz .LBB164_8
; %bb.5:
	v_mad_u64_u32 v[8:9], s[2:3], v4, s0, 0
	v_add3_u32 v9, v9, v6, v5
	v_lshlrev_b64 v[8:9], 1, v[8:9]
	v_mov_b32_e32 v12, s5
	v_add_co_u32_e32 v8, vcc, s4, v8
	v_addc_co_u32_e32 v9, vcc, v12, v9, vcc
	v_add_co_u32_e32 v8, vcc, v8, v2
	v_mul_f16_e32 v12, s8, v11
	v_addc_co_u32_e32 v9, vcc, v9, v3, vcc
	global_store_short v[8:9], v12, off
	v_mul_f16_e32 v12, s8, v10
	s_lshl_b64 s[2:3], s[0:1], 5
	global_store_short v[8:9], v12, off offset:32
	v_mov_b32_e32 v13, s3
	v_add_co_u32_e32 v8, vcc, s2, v8
	v_mul_f16_e32 v12, s8, v0
	v_addc_co_u32_e32 v9, vcc, v9, v13, vcc
	global_store_short v[8:9], v12, off
	v_mul_f16_e32 v12, s8, v1
	global_store_short v[8:9], v12, off offset:32
	s_cbranch_execnz .LBB164_7
.LBB164_6:
	s_lshl_b64 s[2:3], s[16:17], 1
	s_add_u32 s6, s12, s2
	s_addc_u32 s7, s13, s3
	v_mul_lo_u32 v7, v7, s14
	v_mul_lo_u32 v12, v4, s15
	v_mad_u64_u32 v[8:9], s[2:3], v4, s14, 0
	v_add3_u32 v9, v9, v12, v7
	v_lshlrev_b64 v[8:9], 1, v[8:9]
	v_mov_b32_e32 v7, s7
	v_add_co_u32_e32 v8, vcc, s6, v8
	v_addc_co_u32_e32 v7, vcc, v7, v9, vcc
	v_add_co_u32_e32 v8, vcc, v8, v2
	v_addc_co_u32_e32 v9, vcc, v7, v3, vcc
	global_load_ushort v7, v[8:9], off
	v_mad_u64_u32 v[12:13], s[2:3], v4, s0, 0
	v_add3_u32 v13, v13, v6, v5
	v_lshlrev_b64 v[4:5], 1, v[12:13]
	v_mov_b32_e32 v14, s5
	v_add_co_u32_e32 v4, vcc, s4, v4
	v_addc_co_u32_e32 v5, vcc, v14, v5, vcc
	v_add_co_u32_e32 v2, vcc, v4, v2
	v_addc_co_u32_e32 v3, vcc, v5, v3, vcc
	s_lshl_b64 s[2:3], s[14:15], 5
	v_mov_b32_e32 v5, s3
	s_lshl_b64 s[0:1], s[0:1], 5
	s_waitcnt vmcnt(0)
	v_mul_f16_e32 v4, s9, v7
	v_fma_f16 v4, v11, s8, v4
	global_store_short v[2:3], v4, off
	global_load_ushort v6, v[8:9], off offset:32
	v_add_co_u32_e32 v4, vcc, s2, v8
	v_addc_co_u32_e32 v5, vcc, v9, v5, vcc
	v_mov_b32_e32 v7, s1
	s_waitcnt vmcnt(0)
	v_mul_f16_e32 v6, s9, v6
	v_fma_f16 v6, v10, s8, v6
	global_store_short v[2:3], v6, off offset:32
	global_load_ushort v6, v[4:5], off
	v_add_co_u32_e32 v2, vcc, s0, v2
	v_addc_co_u32_e32 v3, vcc, v3, v7, vcc
	s_waitcnt vmcnt(0)
	v_mul_f16_e32 v6, s9, v6
	v_fma_f16 v0, v0, s8, v6
	global_store_short v[2:3], v0, off
	global_load_ushort v0, v[4:5], off offset:32
	s_waitcnt vmcnt(0)
	v_mul_f16_e32 v0, s9, v0
	v_fma_f16 v0, v1, s8, v0
	global_store_short v[2:3], v0, off offset:32
.LBB164_7:
	s_endpgm
.LBB164_8:
	s_branch .LBB164_6
	.section	.rodata,"a",@progbits
	.p2align	6, 0x0
	.amdhsa_kernel _ZN12_GLOBAL__N_127rocblas_gemm_batched_kernelIDF16_Li16ELi16ELi32ELi32ELi8ELi32ELi8ELi8ELi32ELc84ELc67EKPKDF16_S3_KPDF16_EEvlllT_PT11_llS8_llS6_PT12_llPT13_lli
		.amdhsa_group_segment_fixed_size 1024
		.amdhsa_private_segment_fixed_size 0
		.amdhsa_kernarg_size 140
		.amdhsa_user_sgpr_count 6
		.amdhsa_user_sgpr_private_segment_buffer 1
		.amdhsa_user_sgpr_dispatch_ptr 0
		.amdhsa_user_sgpr_queue_ptr 0
		.amdhsa_user_sgpr_kernarg_segment_ptr 1
		.amdhsa_user_sgpr_dispatch_id 0
		.amdhsa_user_sgpr_flat_scratch_init 0
		.amdhsa_user_sgpr_kernarg_preload_length 0
		.amdhsa_user_sgpr_kernarg_preload_offset 0
		.amdhsa_user_sgpr_private_segment_size 0
		.amdhsa_uses_dynamic_stack 0
		.amdhsa_system_sgpr_private_segment_wavefront_offset 0
		.amdhsa_system_sgpr_workgroup_id_x 1
		.amdhsa_system_sgpr_workgroup_id_y 1
		.amdhsa_system_sgpr_workgroup_id_z 1
		.amdhsa_system_sgpr_workgroup_info 0
		.amdhsa_system_vgpr_workitem_id 1
		.amdhsa_next_free_vgpr 48
		.amdhsa_next_free_sgpr 36
		.amdhsa_accum_offset 48
		.amdhsa_reserve_vcc 1
		.amdhsa_reserve_flat_scratch 0
		.amdhsa_float_round_mode_32 0
		.amdhsa_float_round_mode_16_64 0
		.amdhsa_float_denorm_mode_32 3
		.amdhsa_float_denorm_mode_16_64 3
		.amdhsa_dx10_clamp 1
		.amdhsa_ieee_mode 1
		.amdhsa_fp16_overflow 0
		.amdhsa_tg_split 0
		.amdhsa_exception_fp_ieee_invalid_op 0
		.amdhsa_exception_fp_denorm_src 0
		.amdhsa_exception_fp_ieee_div_zero 0
		.amdhsa_exception_fp_ieee_overflow 0
		.amdhsa_exception_fp_ieee_underflow 0
		.amdhsa_exception_fp_ieee_inexact 0
		.amdhsa_exception_int_div_zero 0
	.end_amdhsa_kernel
	.section	.text._ZN12_GLOBAL__N_127rocblas_gemm_batched_kernelIDF16_Li16ELi16ELi32ELi32ELi8ELi32ELi8ELi8ELi32ELc84ELc67EKPKDF16_S3_KPDF16_EEvlllT_PT11_llS8_llS6_PT12_llPT13_lli,"axG",@progbits,_ZN12_GLOBAL__N_127rocblas_gemm_batched_kernelIDF16_Li16ELi16ELi32ELi32ELi8ELi32ELi8ELi8ELi32ELc84ELc67EKPKDF16_S3_KPDF16_EEvlllT_PT11_llS8_llS6_PT12_llPT13_lli,comdat
.Lfunc_end164:
	.size	_ZN12_GLOBAL__N_127rocblas_gemm_batched_kernelIDF16_Li16ELi16ELi32ELi32ELi8ELi32ELi8ELi8ELi32ELc84ELc67EKPKDF16_S3_KPDF16_EEvlllT_PT11_llS8_llS6_PT12_llPT13_lli, .Lfunc_end164-_ZN12_GLOBAL__N_127rocblas_gemm_batched_kernelIDF16_Li16ELi16ELi32ELi32ELi8ELi32ELi8ELi8ELi32ELc84ELc67EKPKDF16_S3_KPDF16_EEvlllT_PT11_llS8_llS6_PT12_llPT13_lli
                                        ; -- End function
	.section	.AMDGPU.csdata,"",@progbits
; Kernel info:
; codeLenInByte = 1536
; NumSgprs: 40
; NumVgprs: 48
; NumAgprs: 0
; TotalNumVgprs: 48
; ScratchSize: 0
; MemoryBound: 0
; FloatMode: 240
; IeeeMode: 1
; LDSByteSize: 1024 bytes/workgroup (compile time only)
; SGPRBlocks: 4
; VGPRBlocks: 5
; NumSGPRsForWavesPerEU: 40
; NumVGPRsForWavesPerEU: 48
; AccumOffset: 48
; Occupancy: 8
; WaveLimiterHint : 1
; COMPUTE_PGM_RSRC2:SCRATCH_EN: 0
; COMPUTE_PGM_RSRC2:USER_SGPR: 6
; COMPUTE_PGM_RSRC2:TRAP_HANDLER: 0
; COMPUTE_PGM_RSRC2:TGID_X_EN: 1
; COMPUTE_PGM_RSRC2:TGID_Y_EN: 1
; COMPUTE_PGM_RSRC2:TGID_Z_EN: 1
; COMPUTE_PGM_RSRC2:TIDIG_COMP_CNT: 1
; COMPUTE_PGM_RSRC3_GFX90A:ACCUM_OFFSET: 11
; COMPUTE_PGM_RSRC3_GFX90A:TG_SPLIT: 0
	.section	.text._ZN12_GLOBAL__N_135rocblas_gemm_batched_general_kernelIDF16_Li16ELi16ELi32ELi32ELi8ELi32ELi8ELi8ELi32ELc78ELc78EKPKDF16_S3_KPDF16_EEvlllT_PT11_llS8_llS6_PT12_llPT13_lli,"axG",@progbits,_ZN12_GLOBAL__N_135rocblas_gemm_batched_general_kernelIDF16_Li16ELi16ELi32ELi32ELi8ELi32ELi8ELi8ELi32ELc78ELc78EKPKDF16_S3_KPDF16_EEvlllT_PT11_llS8_llS6_PT12_llPT13_lli,comdat
	.globl	_ZN12_GLOBAL__N_135rocblas_gemm_batched_general_kernelIDF16_Li16ELi16ELi32ELi32ELi8ELi32ELi8ELi8ELi32ELc78ELc78EKPKDF16_S3_KPDF16_EEvlllT_PT11_llS8_llS6_PT12_llPT13_lli ; -- Begin function _ZN12_GLOBAL__N_135rocblas_gemm_batched_general_kernelIDF16_Li16ELi16ELi32ELi32ELi8ELi32ELi8ELi8ELi32ELc78ELc78EKPKDF16_S3_KPDF16_EEvlllT_PT11_llS8_llS6_PT12_llPT13_lli
	.p2align	8
	.type	_ZN12_GLOBAL__N_135rocblas_gemm_batched_general_kernelIDF16_Li16ELi16ELi32ELi32ELi8ELi32ELi8ELi8ELi32ELc78ELc78EKPKDF16_S3_KPDF16_EEvlllT_PT11_llS8_llS6_PT12_llPT13_lli,@function
_ZN12_GLOBAL__N_135rocblas_gemm_batched_general_kernelIDF16_Li16ELi16ELi32ELi32ELi8ELi32ELi8ELi8ELi32ELc78ELc78EKPKDF16_S3_KPDF16_EEvlllT_PT11_llS8_llS6_PT12_llPT13_lli: ; @_ZN12_GLOBAL__N_135rocblas_gemm_batched_general_kernelIDF16_Li16ELi16ELi32ELi32ELi8ELi32ELi8ELi8ELi32ELc78ELc78EKPKDF16_S3_KPDF16_EEvlllT_PT11_llS8_llS6_PT12_llPT13_lli
; %bb.0:
	s_load_dwordx4 s[36:39], s[4:5], 0x0
	s_load_dwordx2 s[34:35], s[4:5], 0x10
	s_load_dwordx4 s[28:31], s[4:5], 0x78
	s_load_dwordx8 s[12:19], s[4:5], 0x58
	s_mov_b32 s9, 0
	s_lshl_b64 s[0:1], s[8:9], 3
	s_mov_b32 s2, s7
	v_and_b32_e32 v10, 0x3ff, v0
	s_waitcnt lgkmcnt(0)
	s_add_u32 s8, s12, s0
	s_addc_u32 s9, s13, s1
	s_load_dwordx2 s[12:13], s[8:9], 0x0
	s_add_u32 s8, s18, s0
	s_addc_u32 s9, s19, s1
	s_load_dwordx2 s[40:41], s[8:9], 0x0
	s_ashr_i32 s3, s2, 31
	s_ashr_i32 s7, s6, 31
	s_lshl_b64 s[42:43], s[2:3], 5
	v_cmp_lt_i64_e64 s[2:3], s[34:35], 1
	v_bfe_u32 v1, v0, 10, 10
	s_lshl_b64 s[18:19], s[6:7], 5
	s_and_b64 vcc, exec, s[2:3]
	v_mov_b32_e32 v12, 0
	v_mov_b32_e32 v11, 0
	s_cbranch_vccnz .LBB165_7
; %bb.1:
	s_load_dwordx8 s[20:27], s[4:5], 0x20
	s_load_dwordx4 s[8:11], s[4:5], 0x40
	v_lshlrev_b32_e32 v8, 4, v1
	v_add_u32_e32 v3, v8, v10
	v_lshrrev_b32_e32 v0, 5, v3
	s_waitcnt lgkmcnt(0)
	s_add_u32 s2, s26, s0
	s_addc_u32 s3, s27, s1
	s_add_u32 s0, s20, s0
	v_lshrrev_b32_e32 v9, 3, v3
	v_and_b32_e32 v3, 31, v3
	v_and_b32_e32 v2, 7, v10
	s_addc_u32 s1, s21, s1
	v_mov_b32_e32 v7, s19
	v_or_b32_e32 v6, s18, v3
	s_load_dwordx2 s[20:21], s[0:1], 0x0
	v_mov_b32_e32 v5, s43
	v_add_co_u32_e32 v4, vcc, s42, v9
	v_cmp_gt_i64_e64 s[0:1], s[36:37], v[6:7]
	v_lshlrev_b32_e32 v6, 1, v2
	v_addc_co_u32_e32 v5, vcc, 0, v5, vcc
	v_lshl_or_b32 v7, v9, 4, v6
	s_load_dwordx2 s[26:27], s[2:3], 0x0
	v_cmp_gt_i64_e64 s[2:3], s[38:39], v[4:5]
	v_add_u32_e32 v13, 0x200, v7
	v_add_u32_e32 v15, 0x200, v8
	v_mul_lo_u32 v7, s9, v4
	v_mul_lo_u32 v8, s8, v5
	v_mad_u64_u32 v[4:5], s[8:9], s8, v4, 0
	v_add3_u32 v5, v5, v8, v7
	v_lshlrev_b64 v[4:5], 1, v[4:5]
	s_lshl_b64 s[8:9], s[10:11], 1
	v_mov_b32_e32 v7, s9
	v_add_co_u32_e32 v4, vcc, s8, v4
	v_addc_co_u32_e32 v5, vcc, v5, v7, vcc
	v_add_co_u32_e32 v4, vcc, v4, v6
	v_addc_co_u32_e32 v5, vcc, 0, v5, vcc
	s_waitcnt lgkmcnt(0)
	v_mov_b32_e32 v6, s27
	v_add_co_u32_e32 v4, vcc, s26, v4
	v_addc_co_u32_e32 v5, vcc, v6, v5, vcc
	v_mad_u64_u32 v[6:7], s[8:9], s22, v0, 0
	v_mov_b32_e32 v8, v7
	v_mad_u64_u32 v[8:9], s[8:9], s23, v0, v[8:9]
	s_lshl_b64 s[6:7], s[6:7], 6
	s_lshl_b64 s[8:9], s[24:25], 1
	v_mov_b32_e32 v7, v8
	s_add_u32 s6, s8, s6
	v_lshlrev_b64 v[6:7], 1, v[6:7]
	s_addc_u32 s7, s9, s7
	v_mov_b32_e32 v8, s7
	v_add_co_u32_e32 v6, vcc, s6, v6
	v_lshlrev_b32_e32 v12, 1, v3
	v_addc_co_u32_e32 v7, vcc, v8, v7, vcc
	v_add_co_u32_e32 v6, vcc, v6, v12
	v_addc_co_u32_e32 v7, vcc, 0, v7, vcc
	v_mov_b32_e32 v8, s21
	v_add_co_u32_e32 v6, vcc, s20, v6
	s_lshl_b64 s[6:7], s[22:23], 4
	v_mov_b32_e32 v11, 0
	v_lshl_or_b32 v3, v0, 6, v12
	v_lshlrev_b32_e32 v14, 1, v10
	v_addc_co_u32_e32 v7, vcc, v8, v7, vcc
	s_mov_b64 s[8:9], 0
	v_mov_b32_e32 v16, s7
	v_pk_mov_b32 v[8:9], s[34:35], s[34:35] op_sel:[0,1]
	v_mov_b32_e32 v12, 0
	s_branch .LBB165_3
.LBB165_2:                              ;   in Loop: Header=BB165_3 Depth=1
	s_or_b64 exec, exec, s[10:11]
	s_waitcnt vmcnt(0)
	ds_write_b16 v13, v17
	s_waitcnt lgkmcnt(0)
	s_barrier
	ds_read_b128 v[18:21], v15
	ds_read_b128 v[22:25], v15 offset:256
	ds_read_u16 v29, v14
	ds_read_u16 v30, v14 offset:32
	ds_read_u16 v31, v14 offset:64
	;; [unrolled: 1-line block ×7, first 2 shown]
	v_add_co_u32_e32 v4, vcc, 16, v4
	s_waitcnt lgkmcnt(7)
	v_fma_f16 v37, v29, v18, v11
	v_lshrrev_b32_e32 v11, 16, v11
	v_lshrrev_b32_e32 v17, 16, v18
	s_waitcnt lgkmcnt(6)
	v_fma_f16 v11, v30, v18, v11
	v_fma_f16 v29, v29, v22, v12
	v_lshrrev_b32_e32 v12, 16, v12
	v_lshrrev_b32_e32 v18, 16, v22
	v_fma_f16 v12, v30, v22, v12
	s_waitcnt lgkmcnt(5)
	v_fma_f16 v22, v31, v17, v37
	s_waitcnt lgkmcnt(4)
	v_fma_f16 v11, v32, v17, v11
	v_lshrrev_b32_e32 v26, 16, v19
	v_fma_f16 v17, v31, v18, v29
	v_fma_f16 v12, v32, v18, v12
	s_waitcnt lgkmcnt(3)
	v_fma_f16 v18, v33, v19, v22
	s_waitcnt lgkmcnt(2)
	v_fma_f16 v11, v34, v19, v11
	v_lshrrev_b32_e32 v38, 16, v23
	v_fma_f16 v17, v33, v23, v17
	v_fma_f16 v12, v34, v23, v12
	s_waitcnt lgkmcnt(1)
	v_fma_f16 v18, v35, v26, v18
	s_waitcnt lgkmcnt(0)
	v_fma_f16 v11, v36, v26, v11
	ds_read_u16 v19, v14 offset:256
	ds_read_u16 v22, v14 offset:288
	ds_read_u16 v23, v14 offset:320
	ds_read_u16 v26, v14 offset:352
	ds_read_u16 v29, v14 offset:384
	ds_read_u16 v30, v14 offset:416
	ds_read_u16 v31, v14 offset:448
	ds_read_u16 v32, v14 offset:480
	v_fma_f16 v17, v35, v38, v17
	v_fma_f16 v12, v36, v38, v12
	v_lshrrev_b32_e32 v27, 16, v20
	v_lshrrev_b32_e32 v39, 16, v24
	s_waitcnt lgkmcnt(7)
	v_fma_f16 v18, v19, v20, v18
	s_waitcnt lgkmcnt(6)
	v_fma_f16 v11, v22, v20, v11
	v_fma_f16 v17, v19, v24, v17
	;; [unrolled: 1-line block ×3, first 2 shown]
	v_addc_co_u32_e32 v5, vcc, 0, v5, vcc
	s_waitcnt lgkmcnt(5)
	v_fma_f16 v18, v23, v27, v18
	s_waitcnt lgkmcnt(4)
	v_fma_f16 v11, v26, v27, v11
	v_fma_f16 v17, v23, v39, v17
	;; [unrolled: 1-line block ×3, first 2 shown]
	s_add_u32 s8, s8, 8
	v_add_co_u32_e32 v6, vcc, s6, v6
	v_lshrrev_b32_e32 v28, 16, v21
	v_lshrrev_b32_e32 v40, 16, v25
	s_waitcnt lgkmcnt(3)
	v_fma_f16 v18, v29, v21, v18
	s_waitcnt lgkmcnt(2)
	v_fma_f16 v11, v30, v21, v11
	v_fma_f16 v17, v29, v25, v17
	;; [unrolled: 1-line block ×3, first 2 shown]
	s_addc_u32 s9, s9, 0
	v_addc_co_u32_e32 v7, vcc, v7, v16, vcc
	s_waitcnt lgkmcnt(1)
	v_fma_f16 v18, v31, v28, v18
	s_waitcnt lgkmcnt(0)
	v_fma_f16 v11, v32, v28, v11
	v_fma_f16 v17, v31, v40, v17
	;; [unrolled: 1-line block ×3, first 2 shown]
	v_cmp_lt_i64_e32 vcc, s[8:9], v[8:9]
	v_pack_b32_f16 v11, v18, v11
	v_pack_b32_f16 v12, v17, v12
	s_barrier
	s_cbranch_vccz .LBB165_7
.LBB165_3:                              ; =>This Inner Loop Header: Depth=1
	v_mov_b32_e32 v17, s9
	v_add_co_u32_e32 v18, vcc, s8, v0
	v_addc_co_u32_e32 v19, vcc, 0, v17, vcc
	v_cmp_gt_i64_e32 vcc, s[34:35], v[18:19]
	s_and_b64 s[20:21], s[0:1], vcc
	v_mov_b32_e32 v17, 0
	s_and_saveexec_b64 s[10:11], s[20:21]
	s_cbranch_execz .LBB165_5
; %bb.4:                                ;   in Loop: Header=BB165_3 Depth=1
	global_load_ushort v17, v[6:7], off
.LBB165_5:                              ;   in Loop: Header=BB165_3 Depth=1
	s_or_b64 exec, exec, s[10:11]
	s_waitcnt vmcnt(0)
	ds_write_b16 v3, v17
	v_mov_b32_e32 v17, s9
	v_add_co_u32_e32 v18, vcc, s8, v2
	v_addc_co_u32_e32 v19, vcc, 0, v17, vcc
	v_cmp_gt_i64_e32 vcc, s[34:35], v[18:19]
	s_and_b64 s[20:21], vcc, s[2:3]
	v_mov_b32_e32 v17, 0
	s_and_saveexec_b64 s[10:11], s[20:21]
	s_cbranch_execz .LBB165_2
; %bb.6:                                ;   in Loop: Header=BB165_3 Depth=1
	global_load_ushort v17, v[4:5], off
	s_branch .LBB165_2
.LBB165_7:
	s_load_dword s10, s[4:5], 0x18
	s_load_dword s11, s[4:5], 0x50
	s_lshl_b64 s[0:1], s[30:31], 1
	v_mov_b32_e32 v2, s43
	v_add_co_u32_e32 v0, vcc, s42, v1
	s_waitcnt lgkmcnt(0)
	s_add_u32 s20, s40, s0
	v_addc_co_u32_e32 v1, vcc, 0, v2, vcc
	v_cmp_neq_f16_e64 s[2:3], s11, 0
	s_addc_u32 s21, s41, s1
	v_cmp_gt_i64_e64 s[0:1], s[38:39], v[0:1]
	s_and_b64 vcc, exec, s[2:3]
	s_cbranch_vccnz .LBB165_20
; %bb.8:
	s_and_saveexec_b64 s[6:7], s[0:1]
	s_cbranch_execz .LBB165_18
; %bb.9:
	v_mov_b32_e32 v2, s19
	v_add_co_u32_e32 v4, vcc, s18, v10
	v_addc_co_u32_e32 v5, vcc, 0, v2, vcc
	v_mul_lo_u32 v6, v1, s28
	v_mul_lo_u32 v7, v0, s29
	v_mad_u64_u32 v[2:3], s[2:3], v0, s28, 0
	v_add3_u32 v3, v3, v7, v6
	v_lshlrev_b64 v[2:3], 1, v[2:3]
	v_mov_b32_e32 v7, s21
	v_add_co_u32_e64 v6, s[2:3], s20, v2
	v_cmp_gt_i64_e32 vcc, s[36:37], v[4:5]
	v_addc_co_u32_e64 v7, s[2:3], v7, v3, s[2:3]
	v_lshlrev_b64 v[2:3], 1, v[4:5]
	s_and_saveexec_b64 s[4:5], vcc
	s_cbranch_execz .LBB165_11
; %bb.10:
	v_add_co_u32_e64 v8, s[2:3], v6, v2
	v_addc_co_u32_e64 v9, s[2:3], v7, v3, s[2:3]
	v_mul_f16_e32 v13, s10, v11
	global_store_short v[8:9], v13, off
.LBB165_11:
	s_or_b64 exec, exec, s[4:5]
	v_add_co_u32_e64 v4, s[2:3], 16, v4
	v_addc_co_u32_e64 v5, s[2:3], 0, v5, s[2:3]
	v_cmp_gt_i64_e64 s[2:3], s[36:37], v[4:5]
	s_and_saveexec_b64 s[8:9], s[2:3]
	s_cbranch_execz .LBB165_13
; %bb.12:
	v_add_co_u32_e64 v4, s[4:5], v6, v2
	v_addc_co_u32_e64 v5, s[4:5], v7, v3, s[4:5]
	v_mul_f16_sdwa v8, v11, s10 dst_sel:DWORD dst_unused:UNUSED_PAD src0_sel:WORD_1 src1_sel:DWORD
	global_store_short v[4:5], v8, off offset:32
.LBB165_13:
	s_or_b64 exec, exec, s[8:9]
	v_add_co_u32_e64 v4, s[4:5], 16, v0
	v_addc_co_u32_e64 v5, s[4:5], 0, v1, s[4:5]
	v_cmp_gt_i64_e64 s[4:5], s[38:39], v[4:5]
	s_and_b64 exec, exec, s[4:5]
	s_cbranch_execz .LBB165_18
; %bb.14:
	s_lshl_b64 s[4:5], s[28:29], 5
	v_mov_b32_e32 v4, s5
	v_add_co_u32_e64 v5, s[4:5], s4, v6
	v_addc_co_u32_e64 v4, s[4:5], v7, v4, s[4:5]
	v_add_co_u32_e64 v2, s[4:5], v5, v2
	v_addc_co_u32_e64 v3, s[4:5], v4, v3, s[4:5]
	s_and_saveexec_b64 s[4:5], vcc
	s_cbranch_execz .LBB165_16
; %bb.15:
	v_mul_f16_e32 v4, s10, v12
	global_store_short v[2:3], v4, off
.LBB165_16:
	s_or_b64 exec, exec, s[4:5]
	s_and_b64 exec, exec, s[2:3]
	s_cbranch_execz .LBB165_18
; %bb.17:
	v_mul_f16_sdwa v4, v12, s10 dst_sel:DWORD dst_unused:UNUSED_PAD src0_sel:WORD_1 src1_sel:DWORD
	global_store_short v[2:3], v4, off offset:32
.LBB165_18:
	s_or_b64 exec, exec, s[6:7]
	s_cbranch_execz .LBB165_21
.LBB165_19:
	s_endpgm
.LBB165_20:
.LBB165_21:
	s_and_saveexec_b64 s[2:3], s[0:1]
	s_cbranch_execz .LBB165_19
; %bb.22:
	s_lshl_b64 s[0:1], s[16:17], 1
	s_add_u32 s2, s12, s0
	v_mov_b32_e32 v2, s19
	v_add_co_u32_e32 v4, vcc, s18, v10
	s_addc_u32 s3, s13, s1
	v_addc_co_u32_e32 v5, vcc, 0, v2, vcc
	v_mul_lo_u32 v6, v1, s14
	v_mul_lo_u32 v7, v0, s15
	v_mad_u64_u32 v[2:3], s[0:1], v0, s14, 0
	v_add3_u32 v3, v3, v7, v6
	v_mul_lo_u32 v6, v1, s28
	v_mul_lo_u32 v7, v0, s29
	v_mad_u64_u32 v[8:9], s[0:1], v0, s28, 0
	v_lshlrev_b64 v[2:3], 1, v[2:3]
	v_add3_u32 v9, v9, v7, v6
	v_mov_b32_e32 v7, s3
	v_add_co_u32_e64 v6, s[0:1], s2, v2
	v_addc_co_u32_e64 v7, s[0:1], v7, v3, s[0:1]
	v_lshlrev_b64 v[2:3], 1, v[8:9]
	v_mov_b32_e32 v9, s21
	v_add_co_u32_e64 v8, s[0:1], s20, v2
	v_cmp_gt_i64_e32 vcc, s[36:37], v[4:5]
	v_addc_co_u32_e64 v9, s[0:1], v9, v3, s[0:1]
	v_lshlrev_b64 v[2:3], 1, v[4:5]
	s_and_saveexec_b64 s[2:3], vcc
	s_cbranch_execz .LBB165_24
; %bb.23:
	v_add_co_u32_e64 v14, s[0:1], v6, v2
	v_addc_co_u32_e64 v15, s[0:1], v7, v3, s[0:1]
	global_load_ushort v10, v[14:15], off
	v_add_co_u32_e64 v14, s[0:1], v8, v2
	v_addc_co_u32_e64 v15, s[0:1], v9, v3, s[0:1]
	s_waitcnt vmcnt(0)
	v_mul_f16_e32 v10, s11, v10
	v_fma_f16 v10, v11, s10, v10
	global_store_short v[14:15], v10, off
.LBB165_24:
	s_or_b64 exec, exec, s[2:3]
	v_add_co_u32_e64 v4, s[0:1], 16, v4
	v_addc_co_u32_e64 v5, s[0:1], 0, v5, s[0:1]
	v_cmp_gt_i64_e64 s[0:1], s[36:37], v[4:5]
	s_and_saveexec_b64 s[4:5], s[0:1]
	s_cbranch_execz .LBB165_26
; %bb.25:
	v_add_co_u32_e64 v4, s[2:3], v6, v2
	v_addc_co_u32_e64 v5, s[2:3], v7, v3, s[2:3]
	global_load_ushort v4, v[4:5], off offset:32
	v_lshrrev_b32_e32 v5, 16, v11
	s_waitcnt vmcnt(0)
	v_mul_f16_e32 v4, s11, v4
	v_fma_f16 v10, v5, s10, v4
	v_add_co_u32_e64 v4, s[2:3], v8, v2
	v_addc_co_u32_e64 v5, s[2:3], v9, v3, s[2:3]
	global_store_short v[4:5], v10, off offset:32
.LBB165_26:
	s_or_b64 exec, exec, s[4:5]
	v_add_co_u32_e64 v0, s[2:3], 16, v0
	v_addc_co_u32_e64 v1, s[2:3], 0, v1, s[2:3]
	v_cmp_gt_i64_e64 s[2:3], s[38:39], v[0:1]
	s_and_b64 exec, exec, s[2:3]
	s_cbranch_execz .LBB165_19
; %bb.27:
	s_lshl_b64 s[2:3], s[14:15], 5
	v_mov_b32_e32 v0, s3
	v_add_co_u32_e64 v1, s[2:3], s2, v6
	v_addc_co_u32_e64 v4, s[2:3], v7, v0, s[2:3]
	s_lshl_b64 s[2:3], s[28:29], 5
	v_mov_b32_e32 v0, s3
	v_add_co_u32_e64 v5, s[2:3], s2, v8
	v_addc_co_u32_e64 v6, s[2:3], v9, v0, s[2:3]
	v_add_co_u32_e64 v0, s[2:3], v1, v2
	v_addc_co_u32_e64 v1, s[2:3], v4, v3, s[2:3]
	;; [unrolled: 2-line block ×3, first 2 shown]
	s_and_saveexec_b64 s[2:3], vcc
	s_cbranch_execz .LBB165_29
; %bb.28:
	global_load_ushort v4, v[0:1], off
	s_waitcnt vmcnt(0)
	v_mul_f16_e32 v4, s11, v4
	v_fma_f16 v4, v12, s10, v4
	global_store_short v[2:3], v4, off
.LBB165_29:
	s_or_b64 exec, exec, s[2:3]
	s_and_b64 exec, exec, s[0:1]
	s_cbranch_execz .LBB165_19
; %bb.30:
	global_load_ushort v0, v[0:1], off offset:32
	v_lshrrev_b32_e32 v1, 16, v12
	s_waitcnt vmcnt(0)
	v_mul_f16_e32 v0, s11, v0
	v_fma_f16 v0, v1, s10, v0
	global_store_short v[2:3], v0, off offset:32
	s_endpgm
	.section	.rodata,"a",@progbits
	.p2align	6, 0x0
	.amdhsa_kernel _ZN12_GLOBAL__N_135rocblas_gemm_batched_general_kernelIDF16_Li16ELi16ELi32ELi32ELi8ELi32ELi8ELi8ELi32ELc78ELc78EKPKDF16_S3_KPDF16_EEvlllT_PT11_llS8_llS6_PT12_llPT13_lli
		.amdhsa_group_segment_fixed_size 1024
		.amdhsa_private_segment_fixed_size 0
		.amdhsa_kernarg_size 140
		.amdhsa_user_sgpr_count 6
		.amdhsa_user_sgpr_private_segment_buffer 1
		.amdhsa_user_sgpr_dispatch_ptr 0
		.amdhsa_user_sgpr_queue_ptr 0
		.amdhsa_user_sgpr_kernarg_segment_ptr 1
		.amdhsa_user_sgpr_dispatch_id 0
		.amdhsa_user_sgpr_flat_scratch_init 0
		.amdhsa_user_sgpr_kernarg_preload_length 0
		.amdhsa_user_sgpr_kernarg_preload_offset 0
		.amdhsa_user_sgpr_private_segment_size 0
		.amdhsa_uses_dynamic_stack 0
		.amdhsa_system_sgpr_private_segment_wavefront_offset 0
		.amdhsa_system_sgpr_workgroup_id_x 1
		.amdhsa_system_sgpr_workgroup_id_y 1
		.amdhsa_system_sgpr_workgroup_id_z 1
		.amdhsa_system_sgpr_workgroup_info 0
		.amdhsa_system_vgpr_workitem_id 1
		.amdhsa_next_free_vgpr 41
		.amdhsa_next_free_sgpr 44
		.amdhsa_accum_offset 44
		.amdhsa_reserve_vcc 1
		.amdhsa_reserve_flat_scratch 0
		.amdhsa_float_round_mode_32 0
		.amdhsa_float_round_mode_16_64 0
		.amdhsa_float_denorm_mode_32 3
		.amdhsa_float_denorm_mode_16_64 3
		.amdhsa_dx10_clamp 1
		.amdhsa_ieee_mode 1
		.amdhsa_fp16_overflow 0
		.amdhsa_tg_split 0
		.amdhsa_exception_fp_ieee_invalid_op 0
		.amdhsa_exception_fp_denorm_src 0
		.amdhsa_exception_fp_ieee_div_zero 0
		.amdhsa_exception_fp_ieee_overflow 0
		.amdhsa_exception_fp_ieee_underflow 0
		.amdhsa_exception_fp_ieee_inexact 0
		.amdhsa_exception_int_div_zero 0
	.end_amdhsa_kernel
	.section	.text._ZN12_GLOBAL__N_135rocblas_gemm_batched_general_kernelIDF16_Li16ELi16ELi32ELi32ELi8ELi32ELi8ELi8ELi32ELc78ELc78EKPKDF16_S3_KPDF16_EEvlllT_PT11_llS8_llS6_PT12_llPT13_lli,"axG",@progbits,_ZN12_GLOBAL__N_135rocblas_gemm_batched_general_kernelIDF16_Li16ELi16ELi32ELi32ELi8ELi32ELi8ELi8ELi32ELc78ELc78EKPKDF16_S3_KPDF16_EEvlllT_PT11_llS8_llS6_PT12_llPT13_lli,comdat
.Lfunc_end165:
	.size	_ZN12_GLOBAL__N_135rocblas_gemm_batched_general_kernelIDF16_Li16ELi16ELi32ELi32ELi8ELi32ELi8ELi8ELi32ELc78ELc78EKPKDF16_S3_KPDF16_EEvlllT_PT11_llS8_llS6_PT12_llPT13_lli, .Lfunc_end165-_ZN12_GLOBAL__N_135rocblas_gemm_batched_general_kernelIDF16_Li16ELi16ELi32ELi32ELi8ELi32ELi8ELi8ELi32ELc78ELc78EKPKDF16_S3_KPDF16_EEvlllT_PT11_llS8_llS6_PT12_llPT13_lli
                                        ; -- End function
	.section	.AMDGPU.csdata,"",@progbits
; Kernel info:
; codeLenInByte = 2112
; NumSgprs: 48
; NumVgprs: 41
; NumAgprs: 0
; TotalNumVgprs: 41
; ScratchSize: 0
; MemoryBound: 0
; FloatMode: 240
; IeeeMode: 1
; LDSByteSize: 1024 bytes/workgroup (compile time only)
; SGPRBlocks: 5
; VGPRBlocks: 5
; NumSGPRsForWavesPerEU: 48
; NumVGPRsForWavesPerEU: 41
; AccumOffset: 44
; Occupancy: 8
; WaveLimiterHint : 1
; COMPUTE_PGM_RSRC2:SCRATCH_EN: 0
; COMPUTE_PGM_RSRC2:USER_SGPR: 6
; COMPUTE_PGM_RSRC2:TRAP_HANDLER: 0
; COMPUTE_PGM_RSRC2:TGID_X_EN: 1
; COMPUTE_PGM_RSRC2:TGID_Y_EN: 1
; COMPUTE_PGM_RSRC2:TGID_Z_EN: 1
; COMPUTE_PGM_RSRC2:TIDIG_COMP_CNT: 1
; COMPUTE_PGM_RSRC3_GFX90A:ACCUM_OFFSET: 10
; COMPUTE_PGM_RSRC3_GFX90A:TG_SPLIT: 0
	.section	.text._ZN12_GLOBAL__N_135rocblas_gemm_batched_general_kernelIDF16_Li16ELi16ELi32ELi32ELi8ELi32ELi8ELi8ELi32ELc84ELc78EKPKDF16_S3_KPDF16_EEvlllT_PT11_llS8_llS6_PT12_llPT13_lli,"axG",@progbits,_ZN12_GLOBAL__N_135rocblas_gemm_batched_general_kernelIDF16_Li16ELi16ELi32ELi32ELi8ELi32ELi8ELi8ELi32ELc84ELc78EKPKDF16_S3_KPDF16_EEvlllT_PT11_llS8_llS6_PT12_llPT13_lli,comdat
	.globl	_ZN12_GLOBAL__N_135rocblas_gemm_batched_general_kernelIDF16_Li16ELi16ELi32ELi32ELi8ELi32ELi8ELi8ELi32ELc84ELc78EKPKDF16_S3_KPDF16_EEvlllT_PT11_llS8_llS6_PT12_llPT13_lli ; -- Begin function _ZN12_GLOBAL__N_135rocblas_gemm_batched_general_kernelIDF16_Li16ELi16ELi32ELi32ELi8ELi32ELi8ELi8ELi32ELc84ELc78EKPKDF16_S3_KPDF16_EEvlllT_PT11_llS8_llS6_PT12_llPT13_lli
	.p2align	8
	.type	_ZN12_GLOBAL__N_135rocblas_gemm_batched_general_kernelIDF16_Li16ELi16ELi32ELi32ELi8ELi32ELi8ELi8ELi32ELc84ELc78EKPKDF16_S3_KPDF16_EEvlllT_PT11_llS8_llS6_PT12_llPT13_lli,@function
_ZN12_GLOBAL__N_135rocblas_gemm_batched_general_kernelIDF16_Li16ELi16ELi32ELi32ELi8ELi32ELi8ELi8ELi32ELc84ELc78EKPKDF16_S3_KPDF16_EEvlllT_PT11_llS8_llS6_PT12_llPT13_lli: ; @_ZN12_GLOBAL__N_135rocblas_gemm_batched_general_kernelIDF16_Li16ELi16ELi32ELi32ELi8ELi32ELi8ELi8ELi32ELc84ELc78EKPKDF16_S3_KPDF16_EEvlllT_PT11_llS8_llS6_PT12_llPT13_lli
; %bb.0:
	s_load_dwordx4 s[36:39], s[4:5], 0x0
	s_load_dwordx2 s[34:35], s[4:5], 0x10
	s_load_dwordx4 s[28:31], s[4:5], 0x78
	s_load_dwordx8 s[12:19], s[4:5], 0x58
	s_mov_b32 s9, 0
	s_lshl_b64 s[0:1], s[8:9], 3
	s_mov_b32 s2, s7
	v_and_b32_e32 v10, 0x3ff, v0
	s_waitcnt lgkmcnt(0)
	s_add_u32 s8, s12, s0
	s_addc_u32 s9, s13, s1
	s_load_dwordx2 s[12:13], s[8:9], 0x0
	s_add_u32 s8, s18, s0
	s_addc_u32 s9, s19, s1
	s_load_dwordx2 s[18:19], s[8:9], 0x0
	s_ashr_i32 s3, s2, 31
	s_ashr_i32 s7, s6, 31
	s_lshl_b64 s[40:41], s[2:3], 5
	v_cmp_lt_i64_e64 s[2:3], s[34:35], 1
	v_bfe_u32 v1, v0, 10, 10
	s_lshl_b64 s[6:7], s[6:7], 5
	s_and_b64 vcc, exec, s[2:3]
	v_mov_b32_e32 v12, 0
	v_mov_b32_e32 v11, 0
	s_cbranch_vccnz .LBB166_7
; %bb.1:
	s_load_dwordx8 s[20:27], s[4:5], 0x20
	s_load_dwordx4 s[8:11], s[4:5], 0x40
	v_lshlrev_b32_e32 v8, 4, v1
	v_add_u32_e32 v3, v8, v10
	v_and_b32_e32 v12, 31, v3
	s_waitcnt lgkmcnt(0)
	s_add_u32 s2, s26, s0
	s_addc_u32 s3, s27, s1
	s_add_u32 s0, s20, s0
	v_and_b32_e32 v2, 7, v10
	s_addc_u32 s1, s21, s1
	v_lshrrev_b32_e32 v9, 3, v3
	v_mov_b32_e32 v7, s7
	v_or_b32_e32 v6, s6, v12
	s_load_dwordx2 s[20:21], s[0:1], 0x0
	v_mov_b32_e32 v5, s41
	v_add_co_u32_e32 v4, vcc, s40, v9
	v_cmp_gt_i64_e64 s[0:1], s[36:37], v[6:7]
	v_lshlrev_b32_e32 v6, 1, v2
	v_addc_co_u32_e32 v5, vcc, 0, v5, vcc
	v_lshl_or_b32 v7, v9, 4, v6
	s_load_dwordx2 s[26:27], s[2:3], 0x0
	v_cmp_gt_i64_e64 s[2:3], s[38:39], v[4:5]
	v_add_u32_e32 v13, 0x200, v7
	v_add_u32_e32 v15, 0x200, v8
	v_mul_lo_u32 v7, s9, v4
	v_mul_lo_u32 v8, s8, v5
	v_mad_u64_u32 v[4:5], s[8:9], s8, v4, 0
	v_add3_u32 v5, v5, v8, v7
	v_lshlrev_b64 v[4:5], 1, v[4:5]
	s_lshl_b64 s[8:9], s[10:11], 1
	v_mov_b32_e32 v7, s9
	v_add_co_u32_e32 v4, vcc, s8, v4
	v_addc_co_u32_e32 v5, vcc, v5, v7, vcc
	v_add_co_u32_e32 v4, vcc, v4, v6
	v_addc_co_u32_e32 v5, vcc, 0, v5, vcc
	s_waitcnt lgkmcnt(0)
	v_mov_b32_e32 v6, s27
	v_add_co_u32_e32 v4, vcc, s26, v4
	v_addc_co_u32_e32 v5, vcc, v6, v5, vcc
	v_mov_b32_e32 v6, s7
	v_add_co_u32_e32 v7, vcc, s6, v12
	v_addc_co_u32_e32 v6, vcc, 0, v6, vcc
	v_mul_lo_u32 v8, s23, v7
	v_mul_lo_u32 v9, s22, v6
	v_mad_u64_u32 v[6:7], s[8:9], s22, v7, 0
	v_add3_u32 v7, v7, v9, v8
	v_lshlrev_b64 v[6:7], 1, v[6:7]
	s_lshl_b64 s[8:9], s[24:25], 1
	v_lshrrev_b32_e32 v0, 5, v3
	v_mov_b32_e32 v8, s9
	v_add_co_u32_e32 v6, vcc, s8, v6
	v_addc_co_u32_e32 v7, vcc, v7, v8, vcc
	v_lshlrev_b32_e32 v8, 1, v0
	v_add_co_u32_e32 v6, vcc, v6, v8
	v_addc_co_u32_e32 v7, vcc, 0, v7, vcc
	v_lshlrev_b32_e32 v3, 1, v12
	v_mov_b32_e32 v8, s21
	v_add_co_u32_e32 v6, vcc, s20, v6
	v_mov_b32_e32 v11, 0
	v_lshl_or_b32 v3, v0, 6, v3
	v_lshlrev_b32_e32 v14, 1, v10
	v_addc_co_u32_e32 v7, vcc, v8, v7, vcc
	s_mov_b64 s[8:9], 0
	v_pk_mov_b32 v[8:9], s[34:35], s[34:35] op_sel:[0,1]
	v_mov_b32_e32 v12, 0
	s_branch .LBB166_3
.LBB166_2:                              ;   in Loop: Header=BB166_3 Depth=1
	s_or_b64 exec, exec, s[10:11]
	s_waitcnt vmcnt(0)
	ds_write_b16 v13, v16
	s_waitcnt lgkmcnt(0)
	s_barrier
	ds_read_b128 v[16:19], v15
	ds_read_b128 v[20:23], v15 offset:256
	ds_read_u16 v28, v14
	ds_read_u16 v29, v14 offset:32
	ds_read_u16 v30, v14 offset:64
	ds_read_u16 v31, v14 offset:96
	ds_read_u16 v32, v14 offset:128
	ds_read_u16 v33, v14 offset:160
	ds_read_u16 v34, v14 offset:192
	ds_read_u16 v35, v14 offset:224
	v_add_co_u32_e32 v4, vcc, 16, v4
	s_waitcnt lgkmcnt(7)
	v_fma_f16 v36, v28, v16, v11
	v_lshrrev_b32_e32 v11, 16, v11
	v_lshrrev_b32_e32 v24, 16, v16
	s_waitcnt lgkmcnt(6)
	v_fma_f16 v11, v29, v16, v11
	v_fma_f16 v28, v28, v20, v12
	v_lshrrev_b32_e32 v12, 16, v12
	v_lshrrev_b32_e32 v16, 16, v20
	v_fma_f16 v12, v29, v20, v12
	s_waitcnt lgkmcnt(5)
	v_fma_f16 v20, v30, v24, v36
	s_waitcnt lgkmcnt(4)
	v_fma_f16 v11, v31, v24, v11
	v_lshrrev_b32_e32 v25, 16, v17
	v_fma_f16 v24, v30, v16, v28
	v_fma_f16 v12, v31, v16, v12
	s_waitcnt lgkmcnt(3)
	v_fma_f16 v16, v32, v17, v20
	s_waitcnt lgkmcnt(2)
	v_fma_f16 v11, v33, v17, v11
	v_lshrrev_b32_e32 v37, 16, v21
	v_fma_f16 v17, v32, v21, v24
	v_fma_f16 v12, v33, v21, v12
	s_waitcnt lgkmcnt(1)
	v_fma_f16 v16, v34, v25, v16
	s_waitcnt lgkmcnt(0)
	v_fma_f16 v11, v35, v25, v11
	ds_read_u16 v20, v14 offset:256
	ds_read_u16 v21, v14 offset:288
	;; [unrolled: 1-line block ×8, first 2 shown]
	v_fma_f16 v17, v34, v37, v17
	v_fma_f16 v12, v35, v37, v12
	v_lshrrev_b32_e32 v26, 16, v18
	v_lshrrev_b32_e32 v38, 16, v22
	s_waitcnt lgkmcnt(7)
	v_fma_f16 v16, v20, v18, v16
	s_waitcnt lgkmcnt(6)
	v_fma_f16 v11, v21, v18, v11
	v_fma_f16 v17, v20, v22, v17
	;; [unrolled: 1-line block ×3, first 2 shown]
	v_addc_co_u32_e32 v5, vcc, 0, v5, vcc
	s_waitcnt lgkmcnt(5)
	v_fma_f16 v16, v24, v26, v16
	s_waitcnt lgkmcnt(4)
	v_fma_f16 v11, v25, v26, v11
	v_fma_f16 v17, v24, v38, v17
	;; [unrolled: 1-line block ×3, first 2 shown]
	s_add_u32 s8, s8, 8
	v_add_co_u32_e32 v6, vcc, 16, v6
	v_lshrrev_b32_e32 v27, 16, v19
	v_lshrrev_b32_e32 v39, 16, v23
	s_waitcnt lgkmcnt(3)
	v_fma_f16 v16, v28, v19, v16
	s_waitcnt lgkmcnt(2)
	v_fma_f16 v11, v29, v19, v11
	v_fma_f16 v17, v28, v23, v17
	;; [unrolled: 1-line block ×3, first 2 shown]
	s_addc_u32 s9, s9, 0
	v_addc_co_u32_e32 v7, vcc, 0, v7, vcc
	s_waitcnt lgkmcnt(1)
	v_fma_f16 v16, v30, v27, v16
	s_waitcnt lgkmcnt(0)
	v_fma_f16 v11, v31, v27, v11
	v_fma_f16 v17, v30, v39, v17
	v_fma_f16 v12, v31, v39, v12
	v_cmp_lt_i64_e32 vcc, s[8:9], v[8:9]
	v_pack_b32_f16 v11, v16, v11
	v_pack_b32_f16 v12, v17, v12
	s_barrier
	s_cbranch_vccz .LBB166_7
.LBB166_3:                              ; =>This Inner Loop Header: Depth=1
	v_mov_b32_e32 v17, s9
	v_add_co_u32_e32 v16, vcc, s8, v0
	v_addc_co_u32_e32 v17, vcc, 0, v17, vcc
	v_cmp_gt_i64_e32 vcc, s[34:35], v[16:17]
	s_and_b64 s[20:21], s[0:1], vcc
	v_mov_b32_e32 v16, 0
	s_and_saveexec_b64 s[10:11], s[20:21]
	s_cbranch_execz .LBB166_5
; %bb.4:                                ;   in Loop: Header=BB166_3 Depth=1
	global_load_ushort v16, v[6:7], off
.LBB166_5:                              ;   in Loop: Header=BB166_3 Depth=1
	s_or_b64 exec, exec, s[10:11]
	s_waitcnt vmcnt(0)
	ds_write_b16 v3, v16
	v_mov_b32_e32 v17, s9
	v_add_co_u32_e32 v16, vcc, s8, v2
	v_addc_co_u32_e32 v17, vcc, 0, v17, vcc
	v_cmp_gt_i64_e32 vcc, s[34:35], v[16:17]
	s_and_b64 s[20:21], vcc, s[2:3]
	v_mov_b32_e32 v16, 0
	s_and_saveexec_b64 s[10:11], s[20:21]
	s_cbranch_execz .LBB166_2
; %bb.6:                                ;   in Loop: Header=BB166_3 Depth=1
	global_load_ushort v16, v[4:5], off
	s_branch .LBB166_2
.LBB166_7:
	s_load_dword s20, s[4:5], 0x18
	s_load_dword s21, s[4:5], 0x50
	s_lshl_b64 s[0:1], s[30:31], 1
	v_mov_b32_e32 v2, s41
	v_add_co_u32_e32 v0, vcc, s40, v1
	s_waitcnt lgkmcnt(0)
	s_add_u32 s18, s18, s0
	v_addc_co_u32_e32 v1, vcc, 0, v2, vcc
	v_cmp_neq_f16_e64 s[2:3], s21, 0
	s_addc_u32 s19, s19, s1
	v_cmp_gt_i64_e64 s[0:1], s[38:39], v[0:1]
	s_and_b64 vcc, exec, s[2:3]
	s_cbranch_vccnz .LBB166_20
; %bb.8:
	s_and_saveexec_b64 s[8:9], s[0:1]
	s_cbranch_execz .LBB166_18
; %bb.9:
	v_mov_b32_e32 v2, s7
	v_add_co_u32_e32 v4, vcc, s6, v10
	v_addc_co_u32_e32 v5, vcc, 0, v2, vcc
	v_mul_lo_u32 v6, v1, s28
	v_mul_lo_u32 v7, v0, s29
	v_mad_u64_u32 v[2:3], s[2:3], v0, s28, 0
	v_add3_u32 v3, v3, v7, v6
	v_lshlrev_b64 v[2:3], 1, v[2:3]
	v_mov_b32_e32 v7, s19
	v_add_co_u32_e64 v6, s[2:3], s18, v2
	v_cmp_gt_i64_e32 vcc, s[36:37], v[4:5]
	v_addc_co_u32_e64 v7, s[2:3], v7, v3, s[2:3]
	v_lshlrev_b64 v[2:3], 1, v[4:5]
	s_and_saveexec_b64 s[4:5], vcc
	s_cbranch_execz .LBB166_11
; %bb.10:
	v_add_co_u32_e64 v8, s[2:3], v6, v2
	v_addc_co_u32_e64 v9, s[2:3], v7, v3, s[2:3]
	v_mul_f16_e32 v13, s20, v11
	global_store_short v[8:9], v13, off
.LBB166_11:
	s_or_b64 exec, exec, s[4:5]
	v_add_co_u32_e64 v4, s[2:3], 16, v4
	v_addc_co_u32_e64 v5, s[2:3], 0, v5, s[2:3]
	v_cmp_gt_i64_e64 s[2:3], s[36:37], v[4:5]
	s_and_saveexec_b64 s[10:11], s[2:3]
	s_cbranch_execz .LBB166_13
; %bb.12:
	v_add_co_u32_e64 v4, s[4:5], v6, v2
	v_addc_co_u32_e64 v5, s[4:5], v7, v3, s[4:5]
	v_mul_f16_sdwa v8, v11, s20 dst_sel:DWORD dst_unused:UNUSED_PAD src0_sel:WORD_1 src1_sel:DWORD
	global_store_short v[4:5], v8, off offset:32
.LBB166_13:
	s_or_b64 exec, exec, s[10:11]
	v_add_co_u32_e64 v4, s[4:5], 16, v0
	v_addc_co_u32_e64 v5, s[4:5], 0, v1, s[4:5]
	v_cmp_gt_i64_e64 s[4:5], s[38:39], v[4:5]
	s_and_b64 exec, exec, s[4:5]
	s_cbranch_execz .LBB166_18
; %bb.14:
	s_lshl_b64 s[4:5], s[28:29], 5
	v_mov_b32_e32 v4, s5
	v_add_co_u32_e64 v5, s[4:5], s4, v6
	v_addc_co_u32_e64 v4, s[4:5], v7, v4, s[4:5]
	v_add_co_u32_e64 v2, s[4:5], v5, v2
	v_addc_co_u32_e64 v3, s[4:5], v4, v3, s[4:5]
	s_and_saveexec_b64 s[4:5], vcc
	s_cbranch_execz .LBB166_16
; %bb.15:
	v_mul_f16_e32 v4, s20, v12
	global_store_short v[2:3], v4, off
.LBB166_16:
	s_or_b64 exec, exec, s[4:5]
	s_and_b64 exec, exec, s[2:3]
	s_cbranch_execz .LBB166_18
; %bb.17:
	v_mul_f16_sdwa v4, v12, s20 dst_sel:DWORD dst_unused:UNUSED_PAD src0_sel:WORD_1 src1_sel:DWORD
	global_store_short v[2:3], v4, off offset:32
.LBB166_18:
	s_or_b64 exec, exec, s[8:9]
	s_cbranch_execz .LBB166_21
.LBB166_19:
	s_endpgm
.LBB166_20:
.LBB166_21:
	s_and_saveexec_b64 s[2:3], s[0:1]
	s_cbranch_execz .LBB166_19
; %bb.22:
	s_lshl_b64 s[0:1], s[16:17], 1
	s_add_u32 s2, s12, s0
	v_mov_b32_e32 v2, s7
	v_add_co_u32_e32 v4, vcc, s6, v10
	s_addc_u32 s3, s13, s1
	v_addc_co_u32_e32 v5, vcc, 0, v2, vcc
	v_mul_lo_u32 v6, v1, s14
	v_mul_lo_u32 v7, v0, s15
	v_mad_u64_u32 v[2:3], s[0:1], v0, s14, 0
	v_add3_u32 v3, v3, v7, v6
	v_mul_lo_u32 v6, v1, s28
	v_mul_lo_u32 v7, v0, s29
	v_mad_u64_u32 v[8:9], s[0:1], v0, s28, 0
	v_lshlrev_b64 v[2:3], 1, v[2:3]
	v_add3_u32 v9, v9, v7, v6
	v_mov_b32_e32 v7, s3
	v_add_co_u32_e64 v6, s[0:1], s2, v2
	v_addc_co_u32_e64 v7, s[0:1], v7, v3, s[0:1]
	v_lshlrev_b64 v[2:3], 1, v[8:9]
	v_mov_b32_e32 v9, s19
	v_add_co_u32_e64 v8, s[0:1], s18, v2
	v_cmp_gt_i64_e32 vcc, s[36:37], v[4:5]
	v_addc_co_u32_e64 v9, s[0:1], v9, v3, s[0:1]
	v_lshlrev_b64 v[2:3], 1, v[4:5]
	s_and_saveexec_b64 s[2:3], vcc
	s_cbranch_execz .LBB166_24
; %bb.23:
	v_add_co_u32_e64 v14, s[0:1], v6, v2
	v_addc_co_u32_e64 v15, s[0:1], v7, v3, s[0:1]
	global_load_ushort v10, v[14:15], off
	v_add_co_u32_e64 v14, s[0:1], v8, v2
	v_addc_co_u32_e64 v15, s[0:1], v9, v3, s[0:1]
	s_waitcnt vmcnt(0)
	v_mul_f16_e32 v10, s21, v10
	v_fma_f16 v10, v11, s20, v10
	global_store_short v[14:15], v10, off
.LBB166_24:
	s_or_b64 exec, exec, s[2:3]
	v_add_co_u32_e64 v4, s[0:1], 16, v4
	v_addc_co_u32_e64 v5, s[0:1], 0, v5, s[0:1]
	v_cmp_gt_i64_e64 s[0:1], s[36:37], v[4:5]
	s_and_saveexec_b64 s[4:5], s[0:1]
	s_cbranch_execz .LBB166_26
; %bb.25:
	v_add_co_u32_e64 v4, s[2:3], v6, v2
	v_addc_co_u32_e64 v5, s[2:3], v7, v3, s[2:3]
	global_load_ushort v4, v[4:5], off offset:32
	v_lshrrev_b32_e32 v5, 16, v11
	s_waitcnt vmcnt(0)
	v_mul_f16_e32 v4, s21, v4
	v_fma_f16 v10, v5, s20, v4
	v_add_co_u32_e64 v4, s[2:3], v8, v2
	v_addc_co_u32_e64 v5, s[2:3], v9, v3, s[2:3]
	global_store_short v[4:5], v10, off offset:32
.LBB166_26:
	s_or_b64 exec, exec, s[4:5]
	v_add_co_u32_e64 v0, s[2:3], 16, v0
	v_addc_co_u32_e64 v1, s[2:3], 0, v1, s[2:3]
	v_cmp_gt_i64_e64 s[2:3], s[38:39], v[0:1]
	s_and_b64 exec, exec, s[2:3]
	s_cbranch_execz .LBB166_19
; %bb.27:
	s_lshl_b64 s[2:3], s[14:15], 5
	v_mov_b32_e32 v0, s3
	v_add_co_u32_e64 v1, s[2:3], s2, v6
	v_addc_co_u32_e64 v4, s[2:3], v7, v0, s[2:3]
	s_lshl_b64 s[2:3], s[28:29], 5
	v_mov_b32_e32 v0, s3
	v_add_co_u32_e64 v5, s[2:3], s2, v8
	v_addc_co_u32_e64 v6, s[2:3], v9, v0, s[2:3]
	v_add_co_u32_e64 v0, s[2:3], v1, v2
	v_addc_co_u32_e64 v1, s[2:3], v4, v3, s[2:3]
	;; [unrolled: 2-line block ×3, first 2 shown]
	s_and_saveexec_b64 s[2:3], vcc
	s_cbranch_execz .LBB166_29
; %bb.28:
	global_load_ushort v4, v[0:1], off
	s_waitcnt vmcnt(0)
	v_mul_f16_e32 v4, s21, v4
	v_fma_f16 v4, v12, s20, v4
	global_store_short v[2:3], v4, off
.LBB166_29:
	s_or_b64 exec, exec, s[2:3]
	s_and_b64 exec, exec, s[0:1]
	s_cbranch_execz .LBB166_19
; %bb.30:
	global_load_ushort v0, v[0:1], off offset:32
	v_lshrrev_b32_e32 v1, 16, v12
	s_waitcnt vmcnt(0)
	v_mul_f16_e32 v0, s21, v0
	v_fma_f16 v0, v1, s20, v0
	global_store_short v[2:3], v0, off offset:32
	s_endpgm
	.section	.rodata,"a",@progbits
	.p2align	6, 0x0
	.amdhsa_kernel _ZN12_GLOBAL__N_135rocblas_gemm_batched_general_kernelIDF16_Li16ELi16ELi32ELi32ELi8ELi32ELi8ELi8ELi32ELc84ELc78EKPKDF16_S3_KPDF16_EEvlllT_PT11_llS8_llS6_PT12_llPT13_lli
		.amdhsa_group_segment_fixed_size 1024
		.amdhsa_private_segment_fixed_size 0
		.amdhsa_kernarg_size 140
		.amdhsa_user_sgpr_count 6
		.amdhsa_user_sgpr_private_segment_buffer 1
		.amdhsa_user_sgpr_dispatch_ptr 0
		.amdhsa_user_sgpr_queue_ptr 0
		.amdhsa_user_sgpr_kernarg_segment_ptr 1
		.amdhsa_user_sgpr_dispatch_id 0
		.amdhsa_user_sgpr_flat_scratch_init 0
		.amdhsa_user_sgpr_kernarg_preload_length 0
		.amdhsa_user_sgpr_kernarg_preload_offset 0
		.amdhsa_user_sgpr_private_segment_size 0
		.amdhsa_uses_dynamic_stack 0
		.amdhsa_system_sgpr_private_segment_wavefront_offset 0
		.amdhsa_system_sgpr_workgroup_id_x 1
		.amdhsa_system_sgpr_workgroup_id_y 1
		.amdhsa_system_sgpr_workgroup_id_z 1
		.amdhsa_system_sgpr_workgroup_info 0
		.amdhsa_system_vgpr_workitem_id 1
		.amdhsa_next_free_vgpr 40
		.amdhsa_next_free_sgpr 42
		.amdhsa_accum_offset 40
		.amdhsa_reserve_vcc 1
		.amdhsa_reserve_flat_scratch 0
		.amdhsa_float_round_mode_32 0
		.amdhsa_float_round_mode_16_64 0
		.amdhsa_float_denorm_mode_32 3
		.amdhsa_float_denorm_mode_16_64 3
		.amdhsa_dx10_clamp 1
		.amdhsa_ieee_mode 1
		.amdhsa_fp16_overflow 0
		.amdhsa_tg_split 0
		.amdhsa_exception_fp_ieee_invalid_op 0
		.amdhsa_exception_fp_denorm_src 0
		.amdhsa_exception_fp_ieee_div_zero 0
		.amdhsa_exception_fp_ieee_overflow 0
		.amdhsa_exception_fp_ieee_underflow 0
		.amdhsa_exception_fp_ieee_inexact 0
		.amdhsa_exception_int_div_zero 0
	.end_amdhsa_kernel
	.section	.text._ZN12_GLOBAL__N_135rocblas_gemm_batched_general_kernelIDF16_Li16ELi16ELi32ELi32ELi8ELi32ELi8ELi8ELi32ELc84ELc78EKPKDF16_S3_KPDF16_EEvlllT_PT11_llS8_llS6_PT12_llPT13_lli,"axG",@progbits,_ZN12_GLOBAL__N_135rocblas_gemm_batched_general_kernelIDF16_Li16ELi16ELi32ELi32ELi8ELi32ELi8ELi8ELi32ELc84ELc78EKPKDF16_S3_KPDF16_EEvlllT_PT11_llS8_llS6_PT12_llPT13_lli,comdat
.Lfunc_end166:
	.size	_ZN12_GLOBAL__N_135rocblas_gemm_batched_general_kernelIDF16_Li16ELi16ELi32ELi32ELi8ELi32ELi8ELi8ELi32ELc84ELc78EKPKDF16_S3_KPDF16_EEvlllT_PT11_llS8_llS6_PT12_llPT13_lli, .Lfunc_end166-_ZN12_GLOBAL__N_135rocblas_gemm_batched_general_kernelIDF16_Li16ELi16ELi32ELi32ELi8ELi32ELi8ELi8ELi32ELc84ELc78EKPKDF16_S3_KPDF16_EEvlllT_PT11_llS8_llS6_PT12_llPT13_lli
                                        ; -- End function
	.section	.AMDGPU.csdata,"",@progbits
; Kernel info:
; codeLenInByte = 2116
; NumSgprs: 46
; NumVgprs: 40
; NumAgprs: 0
; TotalNumVgprs: 40
; ScratchSize: 0
; MemoryBound: 0
; FloatMode: 240
; IeeeMode: 1
; LDSByteSize: 1024 bytes/workgroup (compile time only)
; SGPRBlocks: 5
; VGPRBlocks: 4
; NumSGPRsForWavesPerEU: 46
; NumVGPRsForWavesPerEU: 40
; AccumOffset: 40
; Occupancy: 8
; WaveLimiterHint : 1
; COMPUTE_PGM_RSRC2:SCRATCH_EN: 0
; COMPUTE_PGM_RSRC2:USER_SGPR: 6
; COMPUTE_PGM_RSRC2:TRAP_HANDLER: 0
; COMPUTE_PGM_RSRC2:TGID_X_EN: 1
; COMPUTE_PGM_RSRC2:TGID_Y_EN: 1
; COMPUTE_PGM_RSRC2:TGID_Z_EN: 1
; COMPUTE_PGM_RSRC2:TIDIG_COMP_CNT: 1
; COMPUTE_PGM_RSRC3_GFX90A:ACCUM_OFFSET: 9
; COMPUTE_PGM_RSRC3_GFX90A:TG_SPLIT: 0
	.section	.text._ZN12_GLOBAL__N_135rocblas_gemm_batched_general_kernelIDF16_Li16ELi16ELi32ELi32ELi8ELi32ELi8ELi8ELi32ELc78ELc84EKPKDF16_S3_KPDF16_EEvlllT_PT11_llS8_llS6_PT12_llPT13_lli,"axG",@progbits,_ZN12_GLOBAL__N_135rocblas_gemm_batched_general_kernelIDF16_Li16ELi16ELi32ELi32ELi8ELi32ELi8ELi8ELi32ELc78ELc84EKPKDF16_S3_KPDF16_EEvlllT_PT11_llS8_llS6_PT12_llPT13_lli,comdat
	.globl	_ZN12_GLOBAL__N_135rocblas_gemm_batched_general_kernelIDF16_Li16ELi16ELi32ELi32ELi8ELi32ELi8ELi8ELi32ELc78ELc84EKPKDF16_S3_KPDF16_EEvlllT_PT11_llS8_llS6_PT12_llPT13_lli ; -- Begin function _ZN12_GLOBAL__N_135rocblas_gemm_batched_general_kernelIDF16_Li16ELi16ELi32ELi32ELi8ELi32ELi8ELi8ELi32ELc78ELc84EKPKDF16_S3_KPDF16_EEvlllT_PT11_llS8_llS6_PT12_llPT13_lli
	.p2align	8
	.type	_ZN12_GLOBAL__N_135rocblas_gemm_batched_general_kernelIDF16_Li16ELi16ELi32ELi32ELi8ELi32ELi8ELi8ELi32ELc78ELc84EKPKDF16_S3_KPDF16_EEvlllT_PT11_llS8_llS6_PT12_llPT13_lli,@function
_ZN12_GLOBAL__N_135rocblas_gemm_batched_general_kernelIDF16_Li16ELi16ELi32ELi32ELi8ELi32ELi8ELi8ELi32ELc78ELc84EKPKDF16_S3_KPDF16_EEvlllT_PT11_llS8_llS6_PT12_llPT13_lli: ; @_ZN12_GLOBAL__N_135rocblas_gemm_batched_general_kernelIDF16_Li16ELi16ELi32ELi32ELi8ELi32ELi8ELi8ELi32ELc78ELc84EKPKDF16_S3_KPDF16_EEvlllT_PT11_llS8_llS6_PT12_llPT13_lli
; %bb.0:
	s_load_dwordx4 s[36:39], s[4:5], 0x0
	s_load_dwordx2 s[34:35], s[4:5], 0x10
	s_load_dwordx4 s[28:31], s[4:5], 0x78
	s_load_dwordx8 s[12:19], s[4:5], 0x58
	s_mov_b32 s9, 0
	s_lshl_b64 s[0:1], s[8:9], 3
	s_mov_b32 s44, s7
	v_and_b32_e32 v10, 0x3ff, v0
	s_waitcnt lgkmcnt(0)
	s_add_u32 s2, s12, s0
	s_addc_u32 s3, s13, s1
	s_load_dwordx2 s[12:13], s[2:3], 0x0
	s_add_u32 s2, s18, s0
	s_addc_u32 s3, s19, s1
	s_load_dwordx2 s[40:41], s[2:3], 0x0
	s_ashr_i32 s7, s6, 31
	s_ashr_i32 s45, s44, 31
	v_cmp_lt_i64_e64 s[2:3], s[34:35], 1
	v_bfe_u32 v1, v0, 10, 10
	s_lshl_b64 s[18:19], s[6:7], 5
	s_lshl_b64 s[42:43], s[44:45], 5
	s_and_b64 vcc, exec, s[2:3]
	v_mov_b32_e32 v12, 0
	v_mov_b32_e32 v11, 0
	s_cbranch_vccnz .LBB167_7
; %bb.1:
	s_load_dwordx8 s[20:27], s[4:5], 0x20
	s_load_dwordx4 s[8:11], s[4:5], 0x40
	v_lshlrev_b32_e32 v8, 4, v1
	v_add_u32_e32 v3, v8, v10
	v_lshrrev_b32_e32 v9, 3, v3
	s_waitcnt lgkmcnt(0)
	s_add_u32 s2, s26, s0
	v_mov_b32_e32 v5, s43
	v_add_co_u32_e32 v4, vcc, s42, v9
	s_addc_u32 s3, s27, s1
	v_and_b32_e32 v2, 7, v10
	v_addc_co_u32_e32 v5, vcc, 0, v5, vcc
	s_load_dwordx2 s[26:27], s[2:3], 0x0
	v_cmp_gt_i64_e64 s[2:3], s[38:39], v[4:5]
	v_lshlrev_b32_e32 v4, 1, v2
	v_lshrrev_b32_e32 v0, 5, v3
	s_add_u32 s0, s20, s0
	v_and_b32_e32 v3, 31, v3
	v_lshl_or_b32 v4, v9, 4, v4
	s_addc_u32 s1, s21, s1
	v_mov_b32_e32 v7, s19
	v_or_b32_e32 v6, s18, v3
	v_add_u32_e32 v13, 0x200, v4
	v_mad_u64_u32 v[4:5], s[46:47], s8, v2, 0
	s_load_dwordx2 s[20:21], s[0:1], 0x0
	v_cmp_gt_i64_e64 s[0:1], s[36:37], v[6:7]
	v_mov_b32_e32 v6, v5
	v_mad_u64_u32 v[6:7], s[46:47], s9, v2, v[6:7]
	s_lshl_b64 s[44:45], s[44:45], 6
	s_lshl_b64 s[10:11], s[10:11], 1
	v_mov_b32_e32 v5, v6
	s_add_u32 s10, s10, s44
	v_lshlrev_b64 v[4:5], 1, v[4:5]
	s_addc_u32 s11, s11, s45
	v_mov_b32_e32 v6, s11
	v_add_co_u32_e32 v4, vcc, s10, v4
	v_addc_co_u32_e32 v5, vcc, v6, v5, vcc
	v_lshlrev_b32_e32 v6, 1, v9
	v_add_co_u32_e32 v4, vcc, v4, v6
	v_addc_co_u32_e32 v5, vcc, 0, v5, vcc
	s_waitcnt lgkmcnt(0)
	v_mov_b32_e32 v6, s27
	v_add_co_u32_e32 v4, vcc, s26, v4
	v_addc_co_u32_e32 v5, vcc, v6, v5, vcc
	v_mad_u64_u32 v[6:7], s[10:11], s22, v0, 0
	v_add_u32_e32 v15, 0x200, v8
	v_mov_b32_e32 v8, v7
	v_mad_u64_u32 v[8:9], s[10:11], s23, v0, v[8:9]
	s_lshl_b64 s[8:9], s[8:9], 4
	s_lshl_b64 s[6:7], s[6:7], 6
	s_lshl_b64 s[10:11], s[24:25], 1
	v_mov_b32_e32 v7, v8
	s_add_u32 s6, s10, s6
	v_lshlrev_b64 v[6:7], 1, v[6:7]
	s_addc_u32 s7, s11, s7
	v_mov_b32_e32 v8, s7
	v_add_co_u32_e32 v6, vcc, s6, v6
	v_lshlrev_b32_e32 v12, 1, v3
	v_addc_co_u32_e32 v7, vcc, v8, v7, vcc
	v_add_co_u32_e32 v6, vcc, v6, v12
	v_addc_co_u32_e32 v7, vcc, 0, v7, vcc
	v_mov_b32_e32 v8, s21
	v_add_co_u32_e32 v6, vcc, s20, v6
	s_lshl_b64 s[6:7], s[22:23], 4
	v_mov_b32_e32 v11, 0
	v_lshl_or_b32 v3, v0, 6, v12
	v_lshlrev_b32_e32 v14, 1, v10
	v_addc_co_u32_e32 v7, vcc, v8, v7, vcc
	s_mov_b64 s[10:11], 0
	v_mov_b32_e32 v16, s9
	v_mov_b32_e32 v17, s7
	v_pk_mov_b32 v[8:9], s[34:35], s[34:35] op_sel:[0,1]
	v_mov_b32_e32 v12, 0
	s_branch .LBB167_3
.LBB167_2:                              ;   in Loop: Header=BB167_3 Depth=1
	s_or_b64 exec, exec, s[20:21]
	s_waitcnt vmcnt(0)
	ds_write_b16 v13, v18
	s_waitcnt lgkmcnt(0)
	s_barrier
	ds_read_b128 v[18:21], v15
	ds_read_b128 v[22:25], v15 offset:256
	ds_read_u16 v30, v14
	ds_read_u16 v31, v14 offset:32
	ds_read_u16 v32, v14 offset:64
	;; [unrolled: 1-line block ×7, first 2 shown]
	v_add_co_u32_e32 v4, vcc, s8, v4
	s_waitcnt lgkmcnt(7)
	v_fma_f16 v38, v30, v18, v11
	v_lshrrev_b32_e32 v11, 16, v11
	v_lshrrev_b32_e32 v26, 16, v18
	s_waitcnt lgkmcnt(6)
	v_fma_f16 v11, v31, v18, v11
	v_fma_f16 v30, v30, v22, v12
	v_lshrrev_b32_e32 v12, 16, v12
	v_lshrrev_b32_e32 v18, 16, v22
	v_fma_f16 v12, v31, v22, v12
	s_waitcnt lgkmcnt(5)
	v_fma_f16 v22, v32, v26, v38
	s_waitcnt lgkmcnt(4)
	v_fma_f16 v11, v33, v26, v11
	v_lshrrev_b32_e32 v27, 16, v19
	v_fma_f16 v26, v32, v18, v30
	v_fma_f16 v12, v33, v18, v12
	s_waitcnt lgkmcnt(3)
	v_fma_f16 v18, v34, v19, v22
	s_waitcnt lgkmcnt(2)
	v_fma_f16 v11, v35, v19, v11
	v_lshrrev_b32_e32 v39, 16, v23
	v_fma_f16 v19, v34, v23, v26
	v_fma_f16 v12, v35, v23, v12
	s_waitcnt lgkmcnt(1)
	v_fma_f16 v18, v36, v27, v18
	s_waitcnt lgkmcnt(0)
	v_fma_f16 v11, v37, v27, v11
	ds_read_u16 v22, v14 offset:256
	ds_read_u16 v23, v14 offset:288
	;; [unrolled: 1-line block ×8, first 2 shown]
	v_fma_f16 v19, v36, v39, v19
	v_fma_f16 v12, v37, v39, v12
	v_lshrrev_b32_e32 v28, 16, v20
	v_lshrrev_b32_e32 v40, 16, v24
	s_waitcnt lgkmcnt(7)
	v_fma_f16 v18, v22, v20, v18
	s_waitcnt lgkmcnt(6)
	v_fma_f16 v11, v23, v20, v11
	v_fma_f16 v19, v22, v24, v19
	v_fma_f16 v12, v23, v24, v12
	v_addc_co_u32_e32 v5, vcc, v5, v16, vcc
	s_waitcnt lgkmcnt(5)
	v_fma_f16 v18, v26, v28, v18
	s_waitcnt lgkmcnt(4)
	v_fma_f16 v11, v27, v28, v11
	v_fma_f16 v19, v26, v40, v19
	;; [unrolled: 1-line block ×3, first 2 shown]
	s_add_u32 s10, s10, 8
	v_add_co_u32_e32 v6, vcc, s6, v6
	v_lshrrev_b32_e32 v29, 16, v21
	v_lshrrev_b32_e32 v41, 16, v25
	s_waitcnt lgkmcnt(3)
	v_fma_f16 v18, v30, v21, v18
	s_waitcnt lgkmcnt(2)
	v_fma_f16 v11, v31, v21, v11
	v_fma_f16 v19, v30, v25, v19
	;; [unrolled: 1-line block ×3, first 2 shown]
	s_addc_u32 s11, s11, 0
	v_addc_co_u32_e32 v7, vcc, v7, v17, vcc
	s_waitcnt lgkmcnt(1)
	v_fma_f16 v18, v32, v29, v18
	s_waitcnt lgkmcnt(0)
	v_fma_f16 v11, v33, v29, v11
	v_fma_f16 v19, v32, v41, v19
	;; [unrolled: 1-line block ×3, first 2 shown]
	v_cmp_lt_i64_e32 vcc, s[10:11], v[8:9]
	v_pack_b32_f16 v11, v18, v11
	v_pack_b32_f16 v12, v19, v12
	s_barrier
	s_cbranch_vccz .LBB167_7
.LBB167_3:                              ; =>This Inner Loop Header: Depth=1
	v_mov_b32_e32 v19, s11
	v_add_co_u32_e32 v18, vcc, s10, v0
	v_addc_co_u32_e32 v19, vcc, 0, v19, vcc
	v_cmp_gt_i64_e32 vcc, s[34:35], v[18:19]
	s_and_b64 s[22:23], s[0:1], vcc
	v_mov_b32_e32 v18, 0
	s_and_saveexec_b64 s[20:21], s[22:23]
	s_cbranch_execz .LBB167_5
; %bb.4:                                ;   in Loop: Header=BB167_3 Depth=1
	global_load_ushort v18, v[6:7], off
.LBB167_5:                              ;   in Loop: Header=BB167_3 Depth=1
	s_or_b64 exec, exec, s[20:21]
	s_waitcnt vmcnt(0)
	ds_write_b16 v3, v18
	v_mov_b32_e32 v19, s11
	v_add_co_u32_e32 v18, vcc, s10, v2
	v_addc_co_u32_e32 v19, vcc, 0, v19, vcc
	v_cmp_gt_i64_e32 vcc, s[34:35], v[18:19]
	s_and_b64 s[22:23], vcc, s[2:3]
	v_mov_b32_e32 v18, 0
	s_and_saveexec_b64 s[20:21], s[22:23]
	s_cbranch_execz .LBB167_2
; %bb.6:                                ;   in Loop: Header=BB167_3 Depth=1
	global_load_ushort v18, v[4:5], off
	s_branch .LBB167_2
.LBB167_7:
	s_load_dword s10, s[4:5], 0x18
	s_load_dword s11, s[4:5], 0x50
	s_lshl_b64 s[0:1], s[30:31], 1
	v_mov_b32_e32 v2, s43
	v_add_co_u32_e32 v0, vcc, s42, v1
	s_waitcnt lgkmcnt(0)
	s_add_u32 s20, s40, s0
	v_addc_co_u32_e32 v1, vcc, 0, v2, vcc
	v_cmp_neq_f16_e64 s[2:3], s11, 0
	s_addc_u32 s21, s41, s1
	v_cmp_gt_i64_e64 s[0:1], s[38:39], v[0:1]
	s_and_b64 vcc, exec, s[2:3]
	s_cbranch_vccnz .LBB167_20
; %bb.8:
	s_and_saveexec_b64 s[6:7], s[0:1]
	s_cbranch_execz .LBB167_18
; %bb.9:
	v_mov_b32_e32 v2, s19
	v_add_co_u32_e32 v4, vcc, s18, v10
	v_addc_co_u32_e32 v5, vcc, 0, v2, vcc
	v_mul_lo_u32 v6, v1, s28
	v_mul_lo_u32 v7, v0, s29
	v_mad_u64_u32 v[2:3], s[2:3], v0, s28, 0
	v_add3_u32 v3, v3, v7, v6
	v_lshlrev_b64 v[2:3], 1, v[2:3]
	v_mov_b32_e32 v7, s21
	v_add_co_u32_e64 v6, s[2:3], s20, v2
	v_cmp_gt_i64_e32 vcc, s[36:37], v[4:5]
	v_addc_co_u32_e64 v7, s[2:3], v7, v3, s[2:3]
	v_lshlrev_b64 v[2:3], 1, v[4:5]
	s_and_saveexec_b64 s[4:5], vcc
	s_cbranch_execz .LBB167_11
; %bb.10:
	v_add_co_u32_e64 v8, s[2:3], v6, v2
	v_addc_co_u32_e64 v9, s[2:3], v7, v3, s[2:3]
	v_mul_f16_e32 v13, s10, v11
	global_store_short v[8:9], v13, off
.LBB167_11:
	s_or_b64 exec, exec, s[4:5]
	v_add_co_u32_e64 v4, s[2:3], 16, v4
	v_addc_co_u32_e64 v5, s[2:3], 0, v5, s[2:3]
	v_cmp_gt_i64_e64 s[2:3], s[36:37], v[4:5]
	s_and_saveexec_b64 s[8:9], s[2:3]
	s_cbranch_execz .LBB167_13
; %bb.12:
	v_add_co_u32_e64 v4, s[4:5], v6, v2
	v_addc_co_u32_e64 v5, s[4:5], v7, v3, s[4:5]
	v_mul_f16_sdwa v8, v11, s10 dst_sel:DWORD dst_unused:UNUSED_PAD src0_sel:WORD_1 src1_sel:DWORD
	global_store_short v[4:5], v8, off offset:32
.LBB167_13:
	s_or_b64 exec, exec, s[8:9]
	v_add_co_u32_e64 v4, s[4:5], 16, v0
	v_addc_co_u32_e64 v5, s[4:5], 0, v1, s[4:5]
	v_cmp_gt_i64_e64 s[4:5], s[38:39], v[4:5]
	s_and_b64 exec, exec, s[4:5]
	s_cbranch_execz .LBB167_18
; %bb.14:
	s_lshl_b64 s[4:5], s[28:29], 5
	v_mov_b32_e32 v4, s5
	v_add_co_u32_e64 v5, s[4:5], s4, v6
	v_addc_co_u32_e64 v4, s[4:5], v7, v4, s[4:5]
	v_add_co_u32_e64 v2, s[4:5], v5, v2
	v_addc_co_u32_e64 v3, s[4:5], v4, v3, s[4:5]
	s_and_saveexec_b64 s[4:5], vcc
	s_cbranch_execz .LBB167_16
; %bb.15:
	v_mul_f16_e32 v4, s10, v12
	global_store_short v[2:3], v4, off
.LBB167_16:
	s_or_b64 exec, exec, s[4:5]
	s_and_b64 exec, exec, s[2:3]
	s_cbranch_execz .LBB167_18
; %bb.17:
	v_mul_f16_sdwa v4, v12, s10 dst_sel:DWORD dst_unused:UNUSED_PAD src0_sel:WORD_1 src1_sel:DWORD
	global_store_short v[2:3], v4, off offset:32
.LBB167_18:
	s_or_b64 exec, exec, s[6:7]
	s_cbranch_execz .LBB167_21
.LBB167_19:
	s_endpgm
.LBB167_20:
.LBB167_21:
	s_and_saveexec_b64 s[2:3], s[0:1]
	s_cbranch_execz .LBB167_19
; %bb.22:
	s_lshl_b64 s[0:1], s[16:17], 1
	s_add_u32 s2, s12, s0
	v_mov_b32_e32 v2, s19
	v_add_co_u32_e32 v4, vcc, s18, v10
	s_addc_u32 s3, s13, s1
	v_addc_co_u32_e32 v5, vcc, 0, v2, vcc
	v_mul_lo_u32 v6, v1, s14
	v_mul_lo_u32 v7, v0, s15
	v_mad_u64_u32 v[2:3], s[0:1], v0, s14, 0
	v_add3_u32 v3, v3, v7, v6
	v_mul_lo_u32 v6, v1, s28
	v_mul_lo_u32 v7, v0, s29
	v_mad_u64_u32 v[8:9], s[0:1], v0, s28, 0
	v_lshlrev_b64 v[2:3], 1, v[2:3]
	v_add3_u32 v9, v9, v7, v6
	v_mov_b32_e32 v7, s3
	v_add_co_u32_e64 v6, s[0:1], s2, v2
	v_addc_co_u32_e64 v7, s[0:1], v7, v3, s[0:1]
	v_lshlrev_b64 v[2:3], 1, v[8:9]
	v_mov_b32_e32 v9, s21
	v_add_co_u32_e64 v8, s[0:1], s20, v2
	v_cmp_gt_i64_e32 vcc, s[36:37], v[4:5]
	v_addc_co_u32_e64 v9, s[0:1], v9, v3, s[0:1]
	v_lshlrev_b64 v[2:3], 1, v[4:5]
	s_and_saveexec_b64 s[2:3], vcc
	s_cbranch_execz .LBB167_24
; %bb.23:
	v_add_co_u32_e64 v14, s[0:1], v6, v2
	v_addc_co_u32_e64 v15, s[0:1], v7, v3, s[0:1]
	global_load_ushort v10, v[14:15], off
	v_add_co_u32_e64 v14, s[0:1], v8, v2
	v_addc_co_u32_e64 v15, s[0:1], v9, v3, s[0:1]
	s_waitcnt vmcnt(0)
	v_mul_f16_e32 v10, s11, v10
	v_fma_f16 v10, v11, s10, v10
	global_store_short v[14:15], v10, off
.LBB167_24:
	s_or_b64 exec, exec, s[2:3]
	v_add_co_u32_e64 v4, s[0:1], 16, v4
	v_addc_co_u32_e64 v5, s[0:1], 0, v5, s[0:1]
	v_cmp_gt_i64_e64 s[0:1], s[36:37], v[4:5]
	s_and_saveexec_b64 s[4:5], s[0:1]
	s_cbranch_execz .LBB167_26
; %bb.25:
	v_add_co_u32_e64 v4, s[2:3], v6, v2
	v_addc_co_u32_e64 v5, s[2:3], v7, v3, s[2:3]
	global_load_ushort v4, v[4:5], off offset:32
	v_lshrrev_b32_e32 v5, 16, v11
	s_waitcnt vmcnt(0)
	v_mul_f16_e32 v4, s11, v4
	v_fma_f16 v10, v5, s10, v4
	v_add_co_u32_e64 v4, s[2:3], v8, v2
	v_addc_co_u32_e64 v5, s[2:3], v9, v3, s[2:3]
	global_store_short v[4:5], v10, off offset:32
.LBB167_26:
	s_or_b64 exec, exec, s[4:5]
	v_add_co_u32_e64 v0, s[2:3], 16, v0
	v_addc_co_u32_e64 v1, s[2:3], 0, v1, s[2:3]
	v_cmp_gt_i64_e64 s[2:3], s[38:39], v[0:1]
	s_and_b64 exec, exec, s[2:3]
	s_cbranch_execz .LBB167_19
; %bb.27:
	s_lshl_b64 s[2:3], s[14:15], 5
	v_mov_b32_e32 v0, s3
	v_add_co_u32_e64 v1, s[2:3], s2, v6
	v_addc_co_u32_e64 v4, s[2:3], v7, v0, s[2:3]
	s_lshl_b64 s[2:3], s[28:29], 5
	v_mov_b32_e32 v0, s3
	v_add_co_u32_e64 v5, s[2:3], s2, v8
	v_addc_co_u32_e64 v6, s[2:3], v9, v0, s[2:3]
	v_add_co_u32_e64 v0, s[2:3], v1, v2
	v_addc_co_u32_e64 v1, s[2:3], v4, v3, s[2:3]
	;; [unrolled: 2-line block ×3, first 2 shown]
	s_and_saveexec_b64 s[2:3], vcc
	s_cbranch_execz .LBB167_29
; %bb.28:
	global_load_ushort v4, v[0:1], off
	s_waitcnt vmcnt(0)
	v_mul_f16_e32 v4, s11, v4
	v_fma_f16 v4, v12, s10, v4
	global_store_short v[2:3], v4, off
.LBB167_29:
	s_or_b64 exec, exec, s[2:3]
	s_and_b64 exec, exec, s[0:1]
	s_cbranch_execz .LBB167_19
; %bb.30:
	global_load_ushort v0, v[0:1], off offset:32
	v_lshrrev_b32_e32 v1, 16, v12
	s_waitcnt vmcnt(0)
	v_mul_f16_e32 v0, s11, v0
	v_fma_f16 v0, v1, s10, v0
	global_store_short v[2:3], v0, off offset:32
	s_endpgm
	.section	.rodata,"a",@progbits
	.p2align	6, 0x0
	.amdhsa_kernel _ZN12_GLOBAL__N_135rocblas_gemm_batched_general_kernelIDF16_Li16ELi16ELi32ELi32ELi8ELi32ELi8ELi8ELi32ELc78ELc84EKPKDF16_S3_KPDF16_EEvlllT_PT11_llS8_llS6_PT12_llPT13_lli
		.amdhsa_group_segment_fixed_size 1024
		.amdhsa_private_segment_fixed_size 0
		.amdhsa_kernarg_size 140
		.amdhsa_user_sgpr_count 6
		.amdhsa_user_sgpr_private_segment_buffer 1
		.amdhsa_user_sgpr_dispatch_ptr 0
		.amdhsa_user_sgpr_queue_ptr 0
		.amdhsa_user_sgpr_kernarg_segment_ptr 1
		.amdhsa_user_sgpr_dispatch_id 0
		.amdhsa_user_sgpr_flat_scratch_init 0
		.amdhsa_user_sgpr_kernarg_preload_length 0
		.amdhsa_user_sgpr_kernarg_preload_offset 0
		.amdhsa_user_sgpr_private_segment_size 0
		.amdhsa_uses_dynamic_stack 0
		.amdhsa_system_sgpr_private_segment_wavefront_offset 0
		.amdhsa_system_sgpr_workgroup_id_x 1
		.amdhsa_system_sgpr_workgroup_id_y 1
		.amdhsa_system_sgpr_workgroup_id_z 1
		.amdhsa_system_sgpr_workgroup_info 0
		.amdhsa_system_vgpr_workitem_id 1
		.amdhsa_next_free_vgpr 42
		.amdhsa_next_free_sgpr 48
		.amdhsa_accum_offset 44
		.amdhsa_reserve_vcc 1
		.amdhsa_reserve_flat_scratch 0
		.amdhsa_float_round_mode_32 0
		.amdhsa_float_round_mode_16_64 0
		.amdhsa_float_denorm_mode_32 3
		.amdhsa_float_denorm_mode_16_64 3
		.amdhsa_dx10_clamp 1
		.amdhsa_ieee_mode 1
		.amdhsa_fp16_overflow 0
		.amdhsa_tg_split 0
		.amdhsa_exception_fp_ieee_invalid_op 0
		.amdhsa_exception_fp_denorm_src 0
		.amdhsa_exception_fp_ieee_div_zero 0
		.amdhsa_exception_fp_ieee_overflow 0
		.amdhsa_exception_fp_ieee_underflow 0
		.amdhsa_exception_fp_ieee_inexact 0
		.amdhsa_exception_int_div_zero 0
	.end_amdhsa_kernel
	.section	.text._ZN12_GLOBAL__N_135rocblas_gemm_batched_general_kernelIDF16_Li16ELi16ELi32ELi32ELi8ELi32ELi8ELi8ELi32ELc78ELc84EKPKDF16_S3_KPDF16_EEvlllT_PT11_llS8_llS6_PT12_llPT13_lli,"axG",@progbits,_ZN12_GLOBAL__N_135rocblas_gemm_batched_general_kernelIDF16_Li16ELi16ELi32ELi32ELi8ELi32ELi8ELi8ELi32ELc78ELc84EKPKDF16_S3_KPDF16_EEvlllT_PT11_llS8_llS6_PT12_llPT13_lli,comdat
.Lfunc_end167:
	.size	_ZN12_GLOBAL__N_135rocblas_gemm_batched_general_kernelIDF16_Li16ELi16ELi32ELi32ELi8ELi32ELi8ELi8ELi32ELc78ELc84EKPKDF16_S3_KPDF16_EEvlllT_PT11_llS8_llS6_PT12_llPT13_lli, .Lfunc_end167-_ZN12_GLOBAL__N_135rocblas_gemm_batched_general_kernelIDF16_Li16ELi16ELi32ELi32ELi8ELi32ELi8ELi8ELi32ELc78ELc84EKPKDF16_S3_KPDF16_EEvlllT_PT11_llS8_llS6_PT12_llPT13_lli
                                        ; -- End function
	.section	.AMDGPU.csdata,"",@progbits
; Kernel info:
; codeLenInByte = 2128
; NumSgprs: 52
; NumVgprs: 42
; NumAgprs: 0
; TotalNumVgprs: 42
; ScratchSize: 0
; MemoryBound: 0
; FloatMode: 240
; IeeeMode: 1
; LDSByteSize: 1024 bytes/workgroup (compile time only)
; SGPRBlocks: 6
; VGPRBlocks: 5
; NumSGPRsForWavesPerEU: 52
; NumVGPRsForWavesPerEU: 42
; AccumOffset: 44
; Occupancy: 8
; WaveLimiterHint : 1
; COMPUTE_PGM_RSRC2:SCRATCH_EN: 0
; COMPUTE_PGM_RSRC2:USER_SGPR: 6
; COMPUTE_PGM_RSRC2:TRAP_HANDLER: 0
; COMPUTE_PGM_RSRC2:TGID_X_EN: 1
; COMPUTE_PGM_RSRC2:TGID_Y_EN: 1
; COMPUTE_PGM_RSRC2:TGID_Z_EN: 1
; COMPUTE_PGM_RSRC2:TIDIG_COMP_CNT: 1
; COMPUTE_PGM_RSRC3_GFX90A:ACCUM_OFFSET: 10
; COMPUTE_PGM_RSRC3_GFX90A:TG_SPLIT: 0
	.section	.text._ZN12_GLOBAL__N_135rocblas_gemm_batched_general_kernelIDF16_Li16ELi16ELi32ELi32ELi8ELi32ELi8ELi8ELi32ELc84ELc84EKPKDF16_S3_KPDF16_EEvlllT_PT11_llS8_llS6_PT12_llPT13_lli,"axG",@progbits,_ZN12_GLOBAL__N_135rocblas_gemm_batched_general_kernelIDF16_Li16ELi16ELi32ELi32ELi8ELi32ELi8ELi8ELi32ELc84ELc84EKPKDF16_S3_KPDF16_EEvlllT_PT11_llS8_llS6_PT12_llPT13_lli,comdat
	.globl	_ZN12_GLOBAL__N_135rocblas_gemm_batched_general_kernelIDF16_Li16ELi16ELi32ELi32ELi8ELi32ELi8ELi8ELi32ELc84ELc84EKPKDF16_S3_KPDF16_EEvlllT_PT11_llS8_llS6_PT12_llPT13_lli ; -- Begin function _ZN12_GLOBAL__N_135rocblas_gemm_batched_general_kernelIDF16_Li16ELi16ELi32ELi32ELi8ELi32ELi8ELi8ELi32ELc84ELc84EKPKDF16_S3_KPDF16_EEvlllT_PT11_llS8_llS6_PT12_llPT13_lli
	.p2align	8
	.type	_ZN12_GLOBAL__N_135rocblas_gemm_batched_general_kernelIDF16_Li16ELi16ELi32ELi32ELi8ELi32ELi8ELi8ELi32ELc84ELc84EKPKDF16_S3_KPDF16_EEvlllT_PT11_llS8_llS6_PT12_llPT13_lli,@function
_ZN12_GLOBAL__N_135rocblas_gemm_batched_general_kernelIDF16_Li16ELi16ELi32ELi32ELi8ELi32ELi8ELi8ELi32ELc84ELc84EKPKDF16_S3_KPDF16_EEvlllT_PT11_llS8_llS6_PT12_llPT13_lli: ; @_ZN12_GLOBAL__N_135rocblas_gemm_batched_general_kernelIDF16_Li16ELi16ELi32ELi32ELi8ELi32ELi8ELi8ELi32ELc84ELc84EKPKDF16_S3_KPDF16_EEvlllT_PT11_llS8_llS6_PT12_llPT13_lli
; %bb.0:
	s_load_dwordx4 s[36:39], s[4:5], 0x0
	s_load_dwordx2 s[34:35], s[4:5], 0x10
	s_load_dwordx4 s[28:31], s[4:5], 0x78
	s_load_dwordx8 s[12:19], s[4:5], 0x58
	s_mov_b32 s9, 0
	s_lshl_b64 s[0:1], s[8:9], 3
	s_mov_b32 s42, s7
	v_and_b32_e32 v10, 0x3ff, v0
	s_waitcnt lgkmcnt(0)
	s_add_u32 s2, s12, s0
	s_addc_u32 s3, s13, s1
	s_load_dwordx2 s[12:13], s[2:3], 0x0
	s_add_u32 s2, s18, s0
	s_addc_u32 s3, s19, s1
	s_load_dwordx2 s[18:19], s[2:3], 0x0
	s_ashr_i32 s7, s6, 31
	s_ashr_i32 s43, s42, 31
	v_cmp_lt_i64_e64 s[2:3], s[34:35], 1
	v_bfe_u32 v1, v0, 10, 10
	s_lshl_b64 s[6:7], s[6:7], 5
	s_lshl_b64 s[40:41], s[42:43], 5
	s_and_b64 vcc, exec, s[2:3]
	v_mov_b32_e32 v12, 0
	v_mov_b32_e32 v11, 0
	s_cbranch_vccnz .LBB168_7
; %bb.1:
	s_load_dwordx8 s[20:27], s[4:5], 0x20
	s_load_dwordx4 s[8:11], s[4:5], 0x40
	v_lshlrev_b32_e32 v8, 4, v1
	v_add_u32_e32 v3, v8, v10
	v_lshrrev_b32_e32 v9, 3, v3
	s_waitcnt lgkmcnt(0)
	s_add_u32 s2, s26, s0
	v_mov_b32_e32 v5, s41
	v_add_co_u32_e32 v4, vcc, s40, v9
	s_addc_u32 s3, s27, s1
	v_and_b32_e32 v2, 7, v10
	v_addc_co_u32_e32 v5, vcc, 0, v5, vcc
	s_load_dwordx2 s[26:27], s[2:3], 0x0
	v_cmp_gt_i64_e64 s[2:3], s[38:39], v[4:5]
	v_lshlrev_b32_e32 v4, 1, v2
	s_add_u32 s0, s20, s0
	v_and_b32_e32 v12, 31, v3
	v_lshl_or_b32 v4, v9, 4, v4
	s_addc_u32 s1, s21, s1
	v_mov_b32_e32 v7, s7
	v_or_b32_e32 v6, s6, v12
	v_add_u32_e32 v13, 0x200, v4
	v_mad_u64_u32 v[4:5], s[44:45], s8, v2, 0
	s_load_dwordx2 s[20:21], s[0:1], 0x0
	v_cmp_gt_i64_e64 s[0:1], s[36:37], v[6:7]
	v_mov_b32_e32 v6, v5
	v_mad_u64_u32 v[6:7], s[44:45], s9, v2, v[6:7]
	s_lshl_b64 s[42:43], s[42:43], 6
	s_lshl_b64 s[10:11], s[10:11], 1
	v_mov_b32_e32 v5, v6
	s_add_u32 s10, s10, s42
	v_lshlrev_b64 v[4:5], 1, v[4:5]
	s_addc_u32 s11, s11, s43
	v_mov_b32_e32 v6, s11
	v_add_co_u32_e32 v4, vcc, s10, v4
	v_addc_co_u32_e32 v5, vcc, v6, v5, vcc
	v_lshlrev_b32_e32 v6, 1, v9
	v_add_co_u32_e32 v4, vcc, v4, v6
	v_addc_co_u32_e32 v5, vcc, 0, v5, vcc
	s_waitcnt lgkmcnt(0)
	v_mov_b32_e32 v6, s27
	v_add_co_u32_e32 v4, vcc, s26, v4
	v_addc_co_u32_e32 v5, vcc, v6, v5, vcc
	v_mov_b32_e32 v6, s7
	v_add_co_u32_e32 v7, vcc, s6, v12
	v_addc_co_u32_e32 v6, vcc, 0, v6, vcc
	v_add_u32_e32 v15, 0x200, v8
	v_mul_lo_u32 v8, s23, v7
	v_mul_lo_u32 v9, s22, v6
	v_mad_u64_u32 v[6:7], s[10:11], s22, v7, 0
	v_add3_u32 v7, v7, v9, v8
	v_lshlrev_b64 v[6:7], 1, v[6:7]
	s_lshl_b64 s[10:11], s[24:25], 1
	v_lshrrev_b32_e32 v0, 5, v3
	v_mov_b32_e32 v8, s11
	v_add_co_u32_e32 v6, vcc, s10, v6
	v_addc_co_u32_e32 v7, vcc, v7, v8, vcc
	v_lshlrev_b32_e32 v8, 1, v0
	v_add_co_u32_e32 v6, vcc, v6, v8
	v_addc_co_u32_e32 v7, vcc, 0, v7, vcc
	v_lshlrev_b32_e32 v3, 1, v12
	s_lshl_b64 s[8:9], s[8:9], 4
	v_mov_b32_e32 v8, s21
	v_add_co_u32_e32 v6, vcc, s20, v6
	v_mov_b32_e32 v11, 0
	v_lshl_or_b32 v3, v0, 6, v3
	v_lshlrev_b32_e32 v14, 1, v10
	v_addc_co_u32_e32 v7, vcc, v8, v7, vcc
	s_mov_b64 s[10:11], 0
	v_mov_b32_e32 v16, s9
	v_pk_mov_b32 v[8:9], s[34:35], s[34:35] op_sel:[0,1]
	v_mov_b32_e32 v12, 0
	s_branch .LBB168_3
.LBB168_2:                              ;   in Loop: Header=BB168_3 Depth=1
	s_or_b64 exec, exec, s[20:21]
	s_waitcnt vmcnt(0)
	ds_write_b16 v13, v17
	s_waitcnt lgkmcnt(0)
	s_barrier
	ds_read_b128 v[18:21], v15
	ds_read_b128 v[22:25], v15 offset:256
	ds_read_u16 v29, v14
	ds_read_u16 v30, v14 offset:32
	ds_read_u16 v31, v14 offset:64
	;; [unrolled: 1-line block ×7, first 2 shown]
	v_add_co_u32_e32 v4, vcc, s8, v4
	s_waitcnt lgkmcnt(7)
	v_fma_f16 v37, v29, v18, v11
	v_lshrrev_b32_e32 v11, 16, v11
	v_lshrrev_b32_e32 v17, 16, v18
	s_waitcnt lgkmcnt(6)
	v_fma_f16 v11, v30, v18, v11
	v_fma_f16 v29, v29, v22, v12
	v_lshrrev_b32_e32 v12, 16, v12
	v_lshrrev_b32_e32 v18, 16, v22
	v_fma_f16 v12, v30, v22, v12
	s_waitcnt lgkmcnt(5)
	v_fma_f16 v22, v31, v17, v37
	s_waitcnt lgkmcnt(4)
	v_fma_f16 v11, v32, v17, v11
	v_lshrrev_b32_e32 v26, 16, v19
	v_fma_f16 v17, v31, v18, v29
	v_fma_f16 v12, v32, v18, v12
	s_waitcnt lgkmcnt(3)
	v_fma_f16 v18, v33, v19, v22
	s_waitcnt lgkmcnt(2)
	v_fma_f16 v11, v34, v19, v11
	v_lshrrev_b32_e32 v38, 16, v23
	v_fma_f16 v17, v33, v23, v17
	v_fma_f16 v12, v34, v23, v12
	s_waitcnt lgkmcnt(1)
	v_fma_f16 v18, v35, v26, v18
	s_waitcnt lgkmcnt(0)
	v_fma_f16 v11, v36, v26, v11
	ds_read_u16 v19, v14 offset:256
	ds_read_u16 v22, v14 offset:288
	;; [unrolled: 1-line block ×8, first 2 shown]
	v_fma_f16 v17, v35, v38, v17
	v_fma_f16 v12, v36, v38, v12
	v_lshrrev_b32_e32 v27, 16, v20
	v_lshrrev_b32_e32 v39, 16, v24
	s_waitcnt lgkmcnt(7)
	v_fma_f16 v18, v19, v20, v18
	s_waitcnt lgkmcnt(6)
	v_fma_f16 v11, v22, v20, v11
	v_fma_f16 v17, v19, v24, v17
	;; [unrolled: 1-line block ×3, first 2 shown]
	v_addc_co_u32_e32 v5, vcc, v5, v16, vcc
	s_waitcnt lgkmcnt(5)
	v_fma_f16 v18, v23, v27, v18
	s_waitcnt lgkmcnt(4)
	v_fma_f16 v11, v26, v27, v11
	v_fma_f16 v17, v23, v39, v17
	;; [unrolled: 1-line block ×3, first 2 shown]
	s_add_u32 s10, s10, 8
	v_add_co_u32_e32 v6, vcc, 16, v6
	v_lshrrev_b32_e32 v28, 16, v21
	v_lshrrev_b32_e32 v40, 16, v25
	s_waitcnt lgkmcnt(3)
	v_fma_f16 v18, v29, v21, v18
	s_waitcnt lgkmcnt(2)
	v_fma_f16 v11, v30, v21, v11
	v_fma_f16 v17, v29, v25, v17
	v_fma_f16 v12, v30, v25, v12
	s_addc_u32 s11, s11, 0
	v_addc_co_u32_e32 v7, vcc, 0, v7, vcc
	s_waitcnt lgkmcnt(1)
	v_fma_f16 v18, v31, v28, v18
	s_waitcnt lgkmcnt(0)
	v_fma_f16 v11, v32, v28, v11
	v_fma_f16 v17, v31, v40, v17
	;; [unrolled: 1-line block ×3, first 2 shown]
	v_cmp_lt_i64_e32 vcc, s[10:11], v[8:9]
	v_pack_b32_f16 v11, v18, v11
	v_pack_b32_f16 v12, v17, v12
	s_barrier
	s_cbranch_vccz .LBB168_7
.LBB168_3:                              ; =>This Inner Loop Header: Depth=1
	v_mov_b32_e32 v17, s11
	v_add_co_u32_e32 v18, vcc, s10, v0
	v_addc_co_u32_e32 v19, vcc, 0, v17, vcc
	v_cmp_gt_i64_e32 vcc, s[34:35], v[18:19]
	s_and_b64 s[22:23], s[0:1], vcc
	v_mov_b32_e32 v17, 0
	s_and_saveexec_b64 s[20:21], s[22:23]
	s_cbranch_execz .LBB168_5
; %bb.4:                                ;   in Loop: Header=BB168_3 Depth=1
	global_load_ushort v17, v[6:7], off
.LBB168_5:                              ;   in Loop: Header=BB168_3 Depth=1
	s_or_b64 exec, exec, s[20:21]
	s_waitcnt vmcnt(0)
	ds_write_b16 v3, v17
	v_mov_b32_e32 v17, s11
	v_add_co_u32_e32 v18, vcc, s10, v2
	v_addc_co_u32_e32 v19, vcc, 0, v17, vcc
	v_cmp_gt_i64_e32 vcc, s[34:35], v[18:19]
	s_and_b64 s[22:23], vcc, s[2:3]
	v_mov_b32_e32 v17, 0
	s_and_saveexec_b64 s[20:21], s[22:23]
	s_cbranch_execz .LBB168_2
; %bb.6:                                ;   in Loop: Header=BB168_3 Depth=1
	global_load_ushort v17, v[4:5], off
	s_branch .LBB168_2
.LBB168_7:
	s_load_dword s20, s[4:5], 0x18
	s_load_dword s21, s[4:5], 0x50
	s_lshl_b64 s[0:1], s[30:31], 1
	v_mov_b32_e32 v2, s41
	v_add_co_u32_e32 v0, vcc, s40, v1
	s_waitcnt lgkmcnt(0)
	s_add_u32 s18, s18, s0
	v_addc_co_u32_e32 v1, vcc, 0, v2, vcc
	v_cmp_neq_f16_e64 s[2:3], s21, 0
	s_addc_u32 s19, s19, s1
	v_cmp_gt_i64_e64 s[0:1], s[38:39], v[0:1]
	s_and_b64 vcc, exec, s[2:3]
	s_cbranch_vccnz .LBB168_20
; %bb.8:
	s_and_saveexec_b64 s[8:9], s[0:1]
	s_cbranch_execz .LBB168_18
; %bb.9:
	v_mov_b32_e32 v2, s7
	v_add_co_u32_e32 v4, vcc, s6, v10
	v_addc_co_u32_e32 v5, vcc, 0, v2, vcc
	v_mul_lo_u32 v6, v1, s28
	v_mul_lo_u32 v7, v0, s29
	v_mad_u64_u32 v[2:3], s[2:3], v0, s28, 0
	v_add3_u32 v3, v3, v7, v6
	v_lshlrev_b64 v[2:3], 1, v[2:3]
	v_mov_b32_e32 v7, s19
	v_add_co_u32_e64 v6, s[2:3], s18, v2
	v_cmp_gt_i64_e32 vcc, s[36:37], v[4:5]
	v_addc_co_u32_e64 v7, s[2:3], v7, v3, s[2:3]
	v_lshlrev_b64 v[2:3], 1, v[4:5]
	s_and_saveexec_b64 s[4:5], vcc
	s_cbranch_execz .LBB168_11
; %bb.10:
	v_add_co_u32_e64 v8, s[2:3], v6, v2
	v_addc_co_u32_e64 v9, s[2:3], v7, v3, s[2:3]
	v_mul_f16_e32 v13, s20, v11
	global_store_short v[8:9], v13, off
.LBB168_11:
	s_or_b64 exec, exec, s[4:5]
	v_add_co_u32_e64 v4, s[2:3], 16, v4
	v_addc_co_u32_e64 v5, s[2:3], 0, v5, s[2:3]
	v_cmp_gt_i64_e64 s[2:3], s[36:37], v[4:5]
	s_and_saveexec_b64 s[10:11], s[2:3]
	s_cbranch_execz .LBB168_13
; %bb.12:
	v_add_co_u32_e64 v4, s[4:5], v6, v2
	v_addc_co_u32_e64 v5, s[4:5], v7, v3, s[4:5]
	v_mul_f16_sdwa v8, v11, s20 dst_sel:DWORD dst_unused:UNUSED_PAD src0_sel:WORD_1 src1_sel:DWORD
	global_store_short v[4:5], v8, off offset:32
.LBB168_13:
	s_or_b64 exec, exec, s[10:11]
	v_add_co_u32_e64 v4, s[4:5], 16, v0
	v_addc_co_u32_e64 v5, s[4:5], 0, v1, s[4:5]
	v_cmp_gt_i64_e64 s[4:5], s[38:39], v[4:5]
	s_and_b64 exec, exec, s[4:5]
	s_cbranch_execz .LBB168_18
; %bb.14:
	s_lshl_b64 s[4:5], s[28:29], 5
	v_mov_b32_e32 v4, s5
	v_add_co_u32_e64 v5, s[4:5], s4, v6
	v_addc_co_u32_e64 v4, s[4:5], v7, v4, s[4:5]
	v_add_co_u32_e64 v2, s[4:5], v5, v2
	v_addc_co_u32_e64 v3, s[4:5], v4, v3, s[4:5]
	s_and_saveexec_b64 s[4:5], vcc
	s_cbranch_execz .LBB168_16
; %bb.15:
	v_mul_f16_e32 v4, s20, v12
	global_store_short v[2:3], v4, off
.LBB168_16:
	s_or_b64 exec, exec, s[4:5]
	s_and_b64 exec, exec, s[2:3]
	s_cbranch_execz .LBB168_18
; %bb.17:
	v_mul_f16_sdwa v4, v12, s20 dst_sel:DWORD dst_unused:UNUSED_PAD src0_sel:WORD_1 src1_sel:DWORD
	global_store_short v[2:3], v4, off offset:32
.LBB168_18:
	s_or_b64 exec, exec, s[8:9]
	s_cbranch_execz .LBB168_21
.LBB168_19:
	s_endpgm
.LBB168_20:
.LBB168_21:
	s_and_saveexec_b64 s[2:3], s[0:1]
	s_cbranch_execz .LBB168_19
; %bb.22:
	s_lshl_b64 s[0:1], s[16:17], 1
	s_add_u32 s2, s12, s0
	v_mov_b32_e32 v2, s7
	v_add_co_u32_e32 v4, vcc, s6, v10
	s_addc_u32 s3, s13, s1
	v_addc_co_u32_e32 v5, vcc, 0, v2, vcc
	v_mul_lo_u32 v6, v1, s14
	v_mul_lo_u32 v7, v0, s15
	v_mad_u64_u32 v[2:3], s[0:1], v0, s14, 0
	v_add3_u32 v3, v3, v7, v6
	v_mul_lo_u32 v6, v1, s28
	v_mul_lo_u32 v7, v0, s29
	v_mad_u64_u32 v[8:9], s[0:1], v0, s28, 0
	v_lshlrev_b64 v[2:3], 1, v[2:3]
	v_add3_u32 v9, v9, v7, v6
	v_mov_b32_e32 v7, s3
	v_add_co_u32_e64 v6, s[0:1], s2, v2
	v_addc_co_u32_e64 v7, s[0:1], v7, v3, s[0:1]
	v_lshlrev_b64 v[2:3], 1, v[8:9]
	v_mov_b32_e32 v9, s19
	v_add_co_u32_e64 v8, s[0:1], s18, v2
	v_cmp_gt_i64_e32 vcc, s[36:37], v[4:5]
	v_addc_co_u32_e64 v9, s[0:1], v9, v3, s[0:1]
	v_lshlrev_b64 v[2:3], 1, v[4:5]
	s_and_saveexec_b64 s[2:3], vcc
	s_cbranch_execz .LBB168_24
; %bb.23:
	v_add_co_u32_e64 v14, s[0:1], v6, v2
	v_addc_co_u32_e64 v15, s[0:1], v7, v3, s[0:1]
	global_load_ushort v10, v[14:15], off
	v_add_co_u32_e64 v14, s[0:1], v8, v2
	v_addc_co_u32_e64 v15, s[0:1], v9, v3, s[0:1]
	s_waitcnt vmcnt(0)
	v_mul_f16_e32 v10, s21, v10
	v_fma_f16 v10, v11, s20, v10
	global_store_short v[14:15], v10, off
.LBB168_24:
	s_or_b64 exec, exec, s[2:3]
	v_add_co_u32_e64 v4, s[0:1], 16, v4
	v_addc_co_u32_e64 v5, s[0:1], 0, v5, s[0:1]
	v_cmp_gt_i64_e64 s[0:1], s[36:37], v[4:5]
	s_and_saveexec_b64 s[4:5], s[0:1]
	s_cbranch_execz .LBB168_26
; %bb.25:
	v_add_co_u32_e64 v4, s[2:3], v6, v2
	v_addc_co_u32_e64 v5, s[2:3], v7, v3, s[2:3]
	global_load_ushort v4, v[4:5], off offset:32
	v_lshrrev_b32_e32 v5, 16, v11
	s_waitcnt vmcnt(0)
	v_mul_f16_e32 v4, s21, v4
	v_fma_f16 v10, v5, s20, v4
	v_add_co_u32_e64 v4, s[2:3], v8, v2
	v_addc_co_u32_e64 v5, s[2:3], v9, v3, s[2:3]
	global_store_short v[4:5], v10, off offset:32
.LBB168_26:
	s_or_b64 exec, exec, s[4:5]
	v_add_co_u32_e64 v0, s[2:3], 16, v0
	v_addc_co_u32_e64 v1, s[2:3], 0, v1, s[2:3]
	v_cmp_gt_i64_e64 s[2:3], s[38:39], v[0:1]
	s_and_b64 exec, exec, s[2:3]
	s_cbranch_execz .LBB168_19
; %bb.27:
	s_lshl_b64 s[2:3], s[14:15], 5
	v_mov_b32_e32 v0, s3
	v_add_co_u32_e64 v1, s[2:3], s2, v6
	v_addc_co_u32_e64 v4, s[2:3], v7, v0, s[2:3]
	s_lshl_b64 s[2:3], s[28:29], 5
	v_mov_b32_e32 v0, s3
	v_add_co_u32_e64 v5, s[2:3], s2, v8
	v_addc_co_u32_e64 v6, s[2:3], v9, v0, s[2:3]
	v_add_co_u32_e64 v0, s[2:3], v1, v2
	v_addc_co_u32_e64 v1, s[2:3], v4, v3, s[2:3]
	;; [unrolled: 2-line block ×3, first 2 shown]
	s_and_saveexec_b64 s[2:3], vcc
	s_cbranch_execz .LBB168_29
; %bb.28:
	global_load_ushort v4, v[0:1], off
	s_waitcnt vmcnt(0)
	v_mul_f16_e32 v4, s21, v4
	v_fma_f16 v4, v12, s20, v4
	global_store_short v[2:3], v4, off
.LBB168_29:
	s_or_b64 exec, exec, s[2:3]
	s_and_b64 exec, exec, s[0:1]
	s_cbranch_execz .LBB168_19
; %bb.30:
	global_load_ushort v0, v[0:1], off offset:32
	v_lshrrev_b32_e32 v1, 16, v12
	s_waitcnt vmcnt(0)
	v_mul_f16_e32 v0, s21, v0
	v_fma_f16 v0, v1, s20, v0
	global_store_short v[2:3], v0, off offset:32
	s_endpgm
	.section	.rodata,"a",@progbits
	.p2align	6, 0x0
	.amdhsa_kernel _ZN12_GLOBAL__N_135rocblas_gemm_batched_general_kernelIDF16_Li16ELi16ELi32ELi32ELi8ELi32ELi8ELi8ELi32ELc84ELc84EKPKDF16_S3_KPDF16_EEvlllT_PT11_llS8_llS6_PT12_llPT13_lli
		.amdhsa_group_segment_fixed_size 1024
		.amdhsa_private_segment_fixed_size 0
		.amdhsa_kernarg_size 140
		.amdhsa_user_sgpr_count 6
		.amdhsa_user_sgpr_private_segment_buffer 1
		.amdhsa_user_sgpr_dispatch_ptr 0
		.amdhsa_user_sgpr_queue_ptr 0
		.amdhsa_user_sgpr_kernarg_segment_ptr 1
		.amdhsa_user_sgpr_dispatch_id 0
		.amdhsa_user_sgpr_flat_scratch_init 0
		.amdhsa_user_sgpr_kernarg_preload_length 0
		.amdhsa_user_sgpr_kernarg_preload_offset 0
		.amdhsa_user_sgpr_private_segment_size 0
		.amdhsa_uses_dynamic_stack 0
		.amdhsa_system_sgpr_private_segment_wavefront_offset 0
		.amdhsa_system_sgpr_workgroup_id_x 1
		.amdhsa_system_sgpr_workgroup_id_y 1
		.amdhsa_system_sgpr_workgroup_id_z 1
		.amdhsa_system_sgpr_workgroup_info 0
		.amdhsa_system_vgpr_workitem_id 1
		.amdhsa_next_free_vgpr 41
		.amdhsa_next_free_sgpr 46
		.amdhsa_accum_offset 44
		.amdhsa_reserve_vcc 1
		.amdhsa_reserve_flat_scratch 0
		.amdhsa_float_round_mode_32 0
		.amdhsa_float_round_mode_16_64 0
		.amdhsa_float_denorm_mode_32 3
		.amdhsa_float_denorm_mode_16_64 3
		.amdhsa_dx10_clamp 1
		.amdhsa_ieee_mode 1
		.amdhsa_fp16_overflow 0
		.amdhsa_tg_split 0
		.amdhsa_exception_fp_ieee_invalid_op 0
		.amdhsa_exception_fp_denorm_src 0
		.amdhsa_exception_fp_ieee_div_zero 0
		.amdhsa_exception_fp_ieee_overflow 0
		.amdhsa_exception_fp_ieee_underflow 0
		.amdhsa_exception_fp_ieee_inexact 0
		.amdhsa_exception_int_div_zero 0
	.end_amdhsa_kernel
	.section	.text._ZN12_GLOBAL__N_135rocblas_gemm_batched_general_kernelIDF16_Li16ELi16ELi32ELi32ELi8ELi32ELi8ELi8ELi32ELc84ELc84EKPKDF16_S3_KPDF16_EEvlllT_PT11_llS8_llS6_PT12_llPT13_lli,"axG",@progbits,_ZN12_GLOBAL__N_135rocblas_gemm_batched_general_kernelIDF16_Li16ELi16ELi32ELi32ELi8ELi32ELi8ELi8ELi32ELc84ELc84EKPKDF16_S3_KPDF16_EEvlllT_PT11_llS8_llS6_PT12_llPT13_lli,comdat
.Lfunc_end168:
	.size	_ZN12_GLOBAL__N_135rocblas_gemm_batched_general_kernelIDF16_Li16ELi16ELi32ELi32ELi8ELi32ELi8ELi8ELi32ELc84ELc84EKPKDF16_S3_KPDF16_EEvlllT_PT11_llS8_llS6_PT12_llPT13_lli, .Lfunc_end168-_ZN12_GLOBAL__N_135rocblas_gemm_batched_general_kernelIDF16_Li16ELi16ELi32ELi32ELi8ELi32ELi8ELi8ELi32ELc84ELc84EKPKDF16_S3_KPDF16_EEvlllT_PT11_llS8_llS6_PT12_llPT13_lli
                                        ; -- End function
	.section	.AMDGPU.csdata,"",@progbits
; Kernel info:
; codeLenInByte = 2132
; NumSgprs: 50
; NumVgprs: 41
; NumAgprs: 0
; TotalNumVgprs: 41
; ScratchSize: 0
; MemoryBound: 0
; FloatMode: 240
; IeeeMode: 1
; LDSByteSize: 1024 bytes/workgroup (compile time only)
; SGPRBlocks: 6
; VGPRBlocks: 5
; NumSGPRsForWavesPerEU: 50
; NumVGPRsForWavesPerEU: 41
; AccumOffset: 44
; Occupancy: 8
; WaveLimiterHint : 1
; COMPUTE_PGM_RSRC2:SCRATCH_EN: 0
; COMPUTE_PGM_RSRC2:USER_SGPR: 6
; COMPUTE_PGM_RSRC2:TRAP_HANDLER: 0
; COMPUTE_PGM_RSRC2:TGID_X_EN: 1
; COMPUTE_PGM_RSRC2:TGID_Y_EN: 1
; COMPUTE_PGM_RSRC2:TGID_Z_EN: 1
; COMPUTE_PGM_RSRC2:TIDIG_COMP_CNT: 1
; COMPUTE_PGM_RSRC3_GFX90A:ACCUM_OFFSET: 10
; COMPUTE_PGM_RSRC3_GFX90A:TG_SPLIT: 0
	.section	.text._ZN12_GLOBAL__N_135rocblas_gemm_batched_general_kernelIDF16_Li16ELi16ELi32ELi32ELi8ELi32ELi8ELi8ELi32ELc67ELc67EKPKDF16_S3_KPDF16_EEvlllT_PT11_llS8_llS6_PT12_llPT13_lli,"axG",@progbits,_ZN12_GLOBAL__N_135rocblas_gemm_batched_general_kernelIDF16_Li16ELi16ELi32ELi32ELi8ELi32ELi8ELi8ELi32ELc67ELc67EKPKDF16_S3_KPDF16_EEvlllT_PT11_llS8_llS6_PT12_llPT13_lli,comdat
	.globl	_ZN12_GLOBAL__N_135rocblas_gemm_batched_general_kernelIDF16_Li16ELi16ELi32ELi32ELi8ELi32ELi8ELi8ELi32ELc67ELc67EKPKDF16_S3_KPDF16_EEvlllT_PT11_llS8_llS6_PT12_llPT13_lli ; -- Begin function _ZN12_GLOBAL__N_135rocblas_gemm_batched_general_kernelIDF16_Li16ELi16ELi32ELi32ELi8ELi32ELi8ELi8ELi32ELc67ELc67EKPKDF16_S3_KPDF16_EEvlllT_PT11_llS8_llS6_PT12_llPT13_lli
	.p2align	8
	.type	_ZN12_GLOBAL__N_135rocblas_gemm_batched_general_kernelIDF16_Li16ELi16ELi32ELi32ELi8ELi32ELi8ELi8ELi32ELc67ELc67EKPKDF16_S3_KPDF16_EEvlllT_PT11_llS8_llS6_PT12_llPT13_lli,@function
_ZN12_GLOBAL__N_135rocblas_gemm_batched_general_kernelIDF16_Li16ELi16ELi32ELi32ELi8ELi32ELi8ELi8ELi32ELc67ELc67EKPKDF16_S3_KPDF16_EEvlllT_PT11_llS8_llS6_PT12_llPT13_lli: ; @_ZN12_GLOBAL__N_135rocblas_gemm_batched_general_kernelIDF16_Li16ELi16ELi32ELi32ELi8ELi32ELi8ELi8ELi32ELc67ELc67EKPKDF16_S3_KPDF16_EEvlllT_PT11_llS8_llS6_PT12_llPT13_lli
; %bb.0:
	s_load_dwordx4 s[36:39], s[4:5], 0x0
	s_load_dwordx2 s[34:35], s[4:5], 0x10
	s_load_dwordx4 s[28:31], s[4:5], 0x78
	s_load_dwordx8 s[12:19], s[4:5], 0x58
	s_mov_b32 s9, 0
	s_lshl_b64 s[0:1], s[8:9], 3
	s_mov_b32 s42, s7
	v_and_b32_e32 v10, 0x3ff, v0
	s_waitcnt lgkmcnt(0)
	s_add_u32 s2, s12, s0
	s_addc_u32 s3, s13, s1
	s_load_dwordx2 s[12:13], s[2:3], 0x0
	s_add_u32 s2, s18, s0
	s_addc_u32 s3, s19, s1
	s_load_dwordx2 s[18:19], s[2:3], 0x0
	s_ashr_i32 s7, s6, 31
	s_ashr_i32 s43, s42, 31
	v_cmp_lt_i64_e64 s[2:3], s[34:35], 1
	v_bfe_u32 v1, v0, 10, 10
	s_lshl_b64 s[6:7], s[6:7], 5
	s_lshl_b64 s[40:41], s[42:43], 5
	s_and_b64 vcc, exec, s[2:3]
	v_mov_b32_e32 v12, 0
	v_mov_b32_e32 v11, 0
	s_cbranch_vccnz .LBB169_7
; %bb.1:
	s_load_dwordx8 s[20:27], s[4:5], 0x20
	s_load_dwordx4 s[8:11], s[4:5], 0x40
	v_lshlrev_b32_e32 v8, 4, v1
	v_add_u32_e32 v3, v8, v10
	v_lshrrev_b32_e32 v9, 3, v3
	s_waitcnt lgkmcnt(0)
	s_add_u32 s2, s26, s0
	v_mov_b32_e32 v5, s41
	v_add_co_u32_e32 v4, vcc, s40, v9
	s_addc_u32 s3, s27, s1
	v_and_b32_e32 v2, 7, v10
	v_addc_co_u32_e32 v5, vcc, 0, v5, vcc
	s_load_dwordx2 s[26:27], s[2:3], 0x0
	v_cmp_gt_i64_e64 s[2:3], s[38:39], v[4:5]
	v_lshlrev_b32_e32 v4, 1, v2
	s_add_u32 s0, s20, s0
	v_and_b32_e32 v12, 31, v3
	v_lshl_or_b32 v4, v9, 4, v4
	s_addc_u32 s1, s21, s1
	v_mov_b32_e32 v7, s7
	v_or_b32_e32 v6, s6, v12
	v_add_u32_e32 v13, 0x200, v4
	v_mad_u64_u32 v[4:5], s[44:45], s8, v2, 0
	s_load_dwordx2 s[20:21], s[0:1], 0x0
	v_cmp_gt_i64_e64 s[0:1], s[36:37], v[6:7]
	v_mov_b32_e32 v6, v5
	v_mad_u64_u32 v[6:7], s[44:45], s9, v2, v[6:7]
	s_lshl_b64 s[42:43], s[42:43], 6
	s_lshl_b64 s[10:11], s[10:11], 1
	v_mov_b32_e32 v5, v6
	s_add_u32 s10, s10, s42
	v_lshlrev_b64 v[4:5], 1, v[4:5]
	s_addc_u32 s11, s11, s43
	v_mov_b32_e32 v6, s11
	v_add_co_u32_e32 v4, vcc, s10, v4
	v_addc_co_u32_e32 v5, vcc, v6, v5, vcc
	v_lshlrev_b32_e32 v6, 1, v9
	v_add_co_u32_e32 v4, vcc, v4, v6
	v_addc_co_u32_e32 v5, vcc, 0, v5, vcc
	s_waitcnt lgkmcnt(0)
	v_mov_b32_e32 v6, s27
	v_add_co_u32_e32 v4, vcc, s26, v4
	v_addc_co_u32_e32 v5, vcc, v6, v5, vcc
	v_mov_b32_e32 v6, s7
	v_add_co_u32_e32 v7, vcc, s6, v12
	v_addc_co_u32_e32 v6, vcc, 0, v6, vcc
	v_add_u32_e32 v15, 0x200, v8
	v_mul_lo_u32 v8, s23, v7
	v_mul_lo_u32 v9, s22, v6
	v_mad_u64_u32 v[6:7], s[10:11], s22, v7, 0
	v_add3_u32 v7, v7, v9, v8
	v_lshlrev_b64 v[6:7], 1, v[6:7]
	s_lshl_b64 s[10:11], s[24:25], 1
	v_lshrrev_b32_e32 v0, 5, v3
	v_mov_b32_e32 v8, s11
	v_add_co_u32_e32 v6, vcc, s10, v6
	v_addc_co_u32_e32 v7, vcc, v7, v8, vcc
	v_lshlrev_b32_e32 v8, 1, v0
	v_add_co_u32_e32 v6, vcc, v6, v8
	v_addc_co_u32_e32 v7, vcc, 0, v7, vcc
	v_lshlrev_b32_e32 v3, 1, v12
	s_lshl_b64 s[8:9], s[8:9], 4
	v_mov_b32_e32 v8, s21
	v_add_co_u32_e32 v6, vcc, s20, v6
	v_mov_b32_e32 v11, 0
	v_lshl_or_b32 v3, v0, 6, v3
	v_lshlrev_b32_e32 v14, 1, v10
	v_addc_co_u32_e32 v7, vcc, v8, v7, vcc
	s_mov_b64 s[10:11], 0
	v_mov_b32_e32 v16, s9
	v_pk_mov_b32 v[8:9], s[34:35], s[34:35] op_sel:[0,1]
	v_mov_b32_e32 v12, 0
	s_branch .LBB169_3
.LBB169_2:                              ;   in Loop: Header=BB169_3 Depth=1
	s_or_b64 exec, exec, s[20:21]
	s_waitcnt vmcnt(0)
	ds_write_b16 v13, v17
	s_waitcnt lgkmcnt(0)
	s_barrier
	ds_read_b128 v[18:21], v15
	ds_read_b128 v[22:25], v15 offset:256
	ds_read_u16 v29, v14
	ds_read_u16 v30, v14 offset:32
	ds_read_u16 v31, v14 offset:64
	;; [unrolled: 1-line block ×7, first 2 shown]
	v_add_co_u32_e32 v4, vcc, s8, v4
	s_waitcnt lgkmcnt(7)
	v_fma_f16 v37, v29, v18, v11
	v_lshrrev_b32_e32 v11, 16, v11
	v_lshrrev_b32_e32 v17, 16, v18
	s_waitcnt lgkmcnt(6)
	v_fma_f16 v11, v30, v18, v11
	v_fma_f16 v29, v29, v22, v12
	v_lshrrev_b32_e32 v12, 16, v12
	v_lshrrev_b32_e32 v18, 16, v22
	v_fma_f16 v12, v30, v22, v12
	s_waitcnt lgkmcnt(5)
	v_fma_f16 v22, v31, v17, v37
	s_waitcnt lgkmcnt(4)
	v_fma_f16 v11, v32, v17, v11
	v_lshrrev_b32_e32 v26, 16, v19
	v_fma_f16 v17, v31, v18, v29
	v_fma_f16 v12, v32, v18, v12
	s_waitcnt lgkmcnt(3)
	v_fma_f16 v18, v33, v19, v22
	s_waitcnt lgkmcnt(2)
	v_fma_f16 v11, v34, v19, v11
	v_lshrrev_b32_e32 v38, 16, v23
	v_fma_f16 v17, v33, v23, v17
	v_fma_f16 v12, v34, v23, v12
	s_waitcnt lgkmcnt(1)
	v_fma_f16 v18, v35, v26, v18
	s_waitcnt lgkmcnt(0)
	v_fma_f16 v11, v36, v26, v11
	ds_read_u16 v19, v14 offset:256
	ds_read_u16 v22, v14 offset:288
	;; [unrolled: 1-line block ×8, first 2 shown]
	v_fma_f16 v17, v35, v38, v17
	v_fma_f16 v12, v36, v38, v12
	v_lshrrev_b32_e32 v27, 16, v20
	v_lshrrev_b32_e32 v39, 16, v24
	s_waitcnt lgkmcnt(7)
	v_fma_f16 v18, v19, v20, v18
	s_waitcnt lgkmcnt(6)
	v_fma_f16 v11, v22, v20, v11
	v_fma_f16 v17, v19, v24, v17
	;; [unrolled: 1-line block ×3, first 2 shown]
	v_addc_co_u32_e32 v5, vcc, v5, v16, vcc
	s_waitcnt lgkmcnt(5)
	v_fma_f16 v18, v23, v27, v18
	s_waitcnt lgkmcnt(4)
	v_fma_f16 v11, v26, v27, v11
	v_fma_f16 v17, v23, v39, v17
	;; [unrolled: 1-line block ×3, first 2 shown]
	s_add_u32 s10, s10, 8
	v_add_co_u32_e32 v6, vcc, 16, v6
	v_lshrrev_b32_e32 v28, 16, v21
	v_lshrrev_b32_e32 v40, 16, v25
	s_waitcnt lgkmcnt(3)
	v_fma_f16 v18, v29, v21, v18
	s_waitcnt lgkmcnt(2)
	v_fma_f16 v11, v30, v21, v11
	v_fma_f16 v17, v29, v25, v17
	;; [unrolled: 1-line block ×3, first 2 shown]
	s_addc_u32 s11, s11, 0
	v_addc_co_u32_e32 v7, vcc, 0, v7, vcc
	s_waitcnt lgkmcnt(1)
	v_fma_f16 v18, v31, v28, v18
	s_waitcnt lgkmcnt(0)
	v_fma_f16 v11, v32, v28, v11
	v_fma_f16 v17, v31, v40, v17
	;; [unrolled: 1-line block ×3, first 2 shown]
	v_cmp_lt_i64_e32 vcc, s[10:11], v[8:9]
	v_pack_b32_f16 v11, v18, v11
	v_pack_b32_f16 v12, v17, v12
	s_barrier
	s_cbranch_vccz .LBB169_7
.LBB169_3:                              ; =>This Inner Loop Header: Depth=1
	v_mov_b32_e32 v17, s11
	v_add_co_u32_e32 v18, vcc, s10, v0
	v_addc_co_u32_e32 v19, vcc, 0, v17, vcc
	v_cmp_gt_i64_e32 vcc, s[34:35], v[18:19]
	s_and_b64 s[22:23], s[0:1], vcc
	v_mov_b32_e32 v17, 0
	s_and_saveexec_b64 s[20:21], s[22:23]
	s_cbranch_execz .LBB169_5
; %bb.4:                                ;   in Loop: Header=BB169_3 Depth=1
	global_load_ushort v17, v[6:7], off
.LBB169_5:                              ;   in Loop: Header=BB169_3 Depth=1
	s_or_b64 exec, exec, s[20:21]
	s_waitcnt vmcnt(0)
	ds_write_b16 v3, v17
	v_mov_b32_e32 v17, s11
	v_add_co_u32_e32 v18, vcc, s10, v2
	v_addc_co_u32_e32 v19, vcc, 0, v17, vcc
	v_cmp_gt_i64_e32 vcc, s[34:35], v[18:19]
	s_and_b64 s[22:23], vcc, s[2:3]
	v_mov_b32_e32 v17, 0
	s_and_saveexec_b64 s[20:21], s[22:23]
	s_cbranch_execz .LBB169_2
; %bb.6:                                ;   in Loop: Header=BB169_3 Depth=1
	global_load_ushort v17, v[4:5], off
	s_branch .LBB169_2
.LBB169_7:
	s_load_dword s20, s[4:5], 0x18
	s_load_dword s21, s[4:5], 0x50
	s_lshl_b64 s[0:1], s[30:31], 1
	v_mov_b32_e32 v2, s41
	v_add_co_u32_e32 v0, vcc, s40, v1
	s_waitcnt lgkmcnt(0)
	s_add_u32 s18, s18, s0
	v_addc_co_u32_e32 v1, vcc, 0, v2, vcc
	v_cmp_neq_f16_e64 s[2:3], s21, 0
	s_addc_u32 s19, s19, s1
	v_cmp_gt_i64_e64 s[0:1], s[38:39], v[0:1]
	s_and_b64 vcc, exec, s[2:3]
	s_cbranch_vccnz .LBB169_20
; %bb.8:
	s_and_saveexec_b64 s[8:9], s[0:1]
	s_cbranch_execz .LBB169_18
; %bb.9:
	v_mov_b32_e32 v2, s7
	v_add_co_u32_e32 v4, vcc, s6, v10
	v_addc_co_u32_e32 v5, vcc, 0, v2, vcc
	v_mul_lo_u32 v6, v1, s28
	v_mul_lo_u32 v7, v0, s29
	v_mad_u64_u32 v[2:3], s[2:3], v0, s28, 0
	v_add3_u32 v3, v3, v7, v6
	v_lshlrev_b64 v[2:3], 1, v[2:3]
	v_mov_b32_e32 v7, s19
	v_add_co_u32_e64 v6, s[2:3], s18, v2
	v_cmp_gt_i64_e32 vcc, s[36:37], v[4:5]
	v_addc_co_u32_e64 v7, s[2:3], v7, v3, s[2:3]
	v_lshlrev_b64 v[2:3], 1, v[4:5]
	s_and_saveexec_b64 s[4:5], vcc
	s_cbranch_execz .LBB169_11
; %bb.10:
	v_add_co_u32_e64 v8, s[2:3], v6, v2
	v_addc_co_u32_e64 v9, s[2:3], v7, v3, s[2:3]
	v_mul_f16_e32 v13, s20, v11
	global_store_short v[8:9], v13, off
.LBB169_11:
	s_or_b64 exec, exec, s[4:5]
	v_add_co_u32_e64 v4, s[2:3], 16, v4
	v_addc_co_u32_e64 v5, s[2:3], 0, v5, s[2:3]
	v_cmp_gt_i64_e64 s[2:3], s[36:37], v[4:5]
	s_and_saveexec_b64 s[10:11], s[2:3]
	s_cbranch_execz .LBB169_13
; %bb.12:
	v_add_co_u32_e64 v4, s[4:5], v6, v2
	v_addc_co_u32_e64 v5, s[4:5], v7, v3, s[4:5]
	v_mul_f16_sdwa v8, v11, s20 dst_sel:DWORD dst_unused:UNUSED_PAD src0_sel:WORD_1 src1_sel:DWORD
	global_store_short v[4:5], v8, off offset:32
.LBB169_13:
	s_or_b64 exec, exec, s[10:11]
	v_add_co_u32_e64 v4, s[4:5], 16, v0
	v_addc_co_u32_e64 v5, s[4:5], 0, v1, s[4:5]
	v_cmp_gt_i64_e64 s[4:5], s[38:39], v[4:5]
	s_and_b64 exec, exec, s[4:5]
	s_cbranch_execz .LBB169_18
; %bb.14:
	s_lshl_b64 s[4:5], s[28:29], 5
	v_mov_b32_e32 v4, s5
	v_add_co_u32_e64 v5, s[4:5], s4, v6
	v_addc_co_u32_e64 v4, s[4:5], v7, v4, s[4:5]
	v_add_co_u32_e64 v2, s[4:5], v5, v2
	v_addc_co_u32_e64 v3, s[4:5], v4, v3, s[4:5]
	s_and_saveexec_b64 s[4:5], vcc
	s_cbranch_execz .LBB169_16
; %bb.15:
	v_mul_f16_e32 v4, s20, v12
	global_store_short v[2:3], v4, off
.LBB169_16:
	s_or_b64 exec, exec, s[4:5]
	s_and_b64 exec, exec, s[2:3]
	s_cbranch_execz .LBB169_18
; %bb.17:
	v_mul_f16_sdwa v4, v12, s20 dst_sel:DWORD dst_unused:UNUSED_PAD src0_sel:WORD_1 src1_sel:DWORD
	global_store_short v[2:3], v4, off offset:32
.LBB169_18:
	s_or_b64 exec, exec, s[8:9]
	s_cbranch_execz .LBB169_21
.LBB169_19:
	s_endpgm
.LBB169_20:
.LBB169_21:
	s_and_saveexec_b64 s[2:3], s[0:1]
	s_cbranch_execz .LBB169_19
; %bb.22:
	s_lshl_b64 s[0:1], s[16:17], 1
	s_add_u32 s2, s12, s0
	v_mov_b32_e32 v2, s7
	v_add_co_u32_e32 v4, vcc, s6, v10
	s_addc_u32 s3, s13, s1
	v_addc_co_u32_e32 v5, vcc, 0, v2, vcc
	v_mul_lo_u32 v6, v1, s14
	v_mul_lo_u32 v7, v0, s15
	v_mad_u64_u32 v[2:3], s[0:1], v0, s14, 0
	v_add3_u32 v3, v3, v7, v6
	v_mul_lo_u32 v6, v1, s28
	v_mul_lo_u32 v7, v0, s29
	v_mad_u64_u32 v[8:9], s[0:1], v0, s28, 0
	v_lshlrev_b64 v[2:3], 1, v[2:3]
	v_add3_u32 v9, v9, v7, v6
	v_mov_b32_e32 v7, s3
	v_add_co_u32_e64 v6, s[0:1], s2, v2
	v_addc_co_u32_e64 v7, s[0:1], v7, v3, s[0:1]
	v_lshlrev_b64 v[2:3], 1, v[8:9]
	v_mov_b32_e32 v9, s19
	v_add_co_u32_e64 v8, s[0:1], s18, v2
	v_cmp_gt_i64_e32 vcc, s[36:37], v[4:5]
	v_addc_co_u32_e64 v9, s[0:1], v9, v3, s[0:1]
	v_lshlrev_b64 v[2:3], 1, v[4:5]
	s_and_saveexec_b64 s[2:3], vcc
	s_cbranch_execz .LBB169_24
; %bb.23:
	v_add_co_u32_e64 v14, s[0:1], v6, v2
	v_addc_co_u32_e64 v15, s[0:1], v7, v3, s[0:1]
	global_load_ushort v10, v[14:15], off
	v_add_co_u32_e64 v14, s[0:1], v8, v2
	v_addc_co_u32_e64 v15, s[0:1], v9, v3, s[0:1]
	s_waitcnt vmcnt(0)
	v_mul_f16_e32 v10, s21, v10
	v_fma_f16 v10, v11, s20, v10
	global_store_short v[14:15], v10, off
.LBB169_24:
	s_or_b64 exec, exec, s[2:3]
	v_add_co_u32_e64 v4, s[0:1], 16, v4
	v_addc_co_u32_e64 v5, s[0:1], 0, v5, s[0:1]
	v_cmp_gt_i64_e64 s[0:1], s[36:37], v[4:5]
	s_and_saveexec_b64 s[4:5], s[0:1]
	s_cbranch_execz .LBB169_26
; %bb.25:
	v_add_co_u32_e64 v4, s[2:3], v6, v2
	v_addc_co_u32_e64 v5, s[2:3], v7, v3, s[2:3]
	global_load_ushort v4, v[4:5], off offset:32
	v_lshrrev_b32_e32 v5, 16, v11
	s_waitcnt vmcnt(0)
	v_mul_f16_e32 v4, s21, v4
	v_fma_f16 v10, v5, s20, v4
	v_add_co_u32_e64 v4, s[2:3], v8, v2
	v_addc_co_u32_e64 v5, s[2:3], v9, v3, s[2:3]
	global_store_short v[4:5], v10, off offset:32
.LBB169_26:
	s_or_b64 exec, exec, s[4:5]
	v_add_co_u32_e64 v0, s[2:3], 16, v0
	v_addc_co_u32_e64 v1, s[2:3], 0, v1, s[2:3]
	v_cmp_gt_i64_e64 s[2:3], s[38:39], v[0:1]
	s_and_b64 exec, exec, s[2:3]
	s_cbranch_execz .LBB169_19
; %bb.27:
	s_lshl_b64 s[2:3], s[14:15], 5
	v_mov_b32_e32 v0, s3
	v_add_co_u32_e64 v1, s[2:3], s2, v6
	v_addc_co_u32_e64 v4, s[2:3], v7, v0, s[2:3]
	s_lshl_b64 s[2:3], s[28:29], 5
	v_mov_b32_e32 v0, s3
	v_add_co_u32_e64 v5, s[2:3], s2, v8
	v_addc_co_u32_e64 v6, s[2:3], v9, v0, s[2:3]
	v_add_co_u32_e64 v0, s[2:3], v1, v2
	v_addc_co_u32_e64 v1, s[2:3], v4, v3, s[2:3]
	;; [unrolled: 2-line block ×3, first 2 shown]
	s_and_saveexec_b64 s[2:3], vcc
	s_cbranch_execz .LBB169_29
; %bb.28:
	global_load_ushort v4, v[0:1], off
	s_waitcnt vmcnt(0)
	v_mul_f16_e32 v4, s21, v4
	v_fma_f16 v4, v12, s20, v4
	global_store_short v[2:3], v4, off
.LBB169_29:
	s_or_b64 exec, exec, s[2:3]
	s_and_b64 exec, exec, s[0:1]
	s_cbranch_execz .LBB169_19
; %bb.30:
	global_load_ushort v0, v[0:1], off offset:32
	v_lshrrev_b32_e32 v1, 16, v12
	s_waitcnt vmcnt(0)
	v_mul_f16_e32 v0, s21, v0
	v_fma_f16 v0, v1, s20, v0
	global_store_short v[2:3], v0, off offset:32
	s_endpgm
	.section	.rodata,"a",@progbits
	.p2align	6, 0x0
	.amdhsa_kernel _ZN12_GLOBAL__N_135rocblas_gemm_batched_general_kernelIDF16_Li16ELi16ELi32ELi32ELi8ELi32ELi8ELi8ELi32ELc67ELc67EKPKDF16_S3_KPDF16_EEvlllT_PT11_llS8_llS6_PT12_llPT13_lli
		.amdhsa_group_segment_fixed_size 1024
		.amdhsa_private_segment_fixed_size 0
		.amdhsa_kernarg_size 140
		.amdhsa_user_sgpr_count 6
		.amdhsa_user_sgpr_private_segment_buffer 1
		.amdhsa_user_sgpr_dispatch_ptr 0
		.amdhsa_user_sgpr_queue_ptr 0
		.amdhsa_user_sgpr_kernarg_segment_ptr 1
		.amdhsa_user_sgpr_dispatch_id 0
		.amdhsa_user_sgpr_flat_scratch_init 0
		.amdhsa_user_sgpr_kernarg_preload_length 0
		.amdhsa_user_sgpr_kernarg_preload_offset 0
		.amdhsa_user_sgpr_private_segment_size 0
		.amdhsa_uses_dynamic_stack 0
		.amdhsa_system_sgpr_private_segment_wavefront_offset 0
		.amdhsa_system_sgpr_workgroup_id_x 1
		.amdhsa_system_sgpr_workgroup_id_y 1
		.amdhsa_system_sgpr_workgroup_id_z 1
		.amdhsa_system_sgpr_workgroup_info 0
		.amdhsa_system_vgpr_workitem_id 1
		.amdhsa_next_free_vgpr 41
		.amdhsa_next_free_sgpr 46
		.amdhsa_accum_offset 44
		.amdhsa_reserve_vcc 1
		.amdhsa_reserve_flat_scratch 0
		.amdhsa_float_round_mode_32 0
		.amdhsa_float_round_mode_16_64 0
		.amdhsa_float_denorm_mode_32 3
		.amdhsa_float_denorm_mode_16_64 3
		.amdhsa_dx10_clamp 1
		.amdhsa_ieee_mode 1
		.amdhsa_fp16_overflow 0
		.amdhsa_tg_split 0
		.amdhsa_exception_fp_ieee_invalid_op 0
		.amdhsa_exception_fp_denorm_src 0
		.amdhsa_exception_fp_ieee_div_zero 0
		.amdhsa_exception_fp_ieee_overflow 0
		.amdhsa_exception_fp_ieee_underflow 0
		.amdhsa_exception_fp_ieee_inexact 0
		.amdhsa_exception_int_div_zero 0
	.end_amdhsa_kernel
	.section	.text._ZN12_GLOBAL__N_135rocblas_gemm_batched_general_kernelIDF16_Li16ELi16ELi32ELi32ELi8ELi32ELi8ELi8ELi32ELc67ELc67EKPKDF16_S3_KPDF16_EEvlllT_PT11_llS8_llS6_PT12_llPT13_lli,"axG",@progbits,_ZN12_GLOBAL__N_135rocblas_gemm_batched_general_kernelIDF16_Li16ELi16ELi32ELi32ELi8ELi32ELi8ELi8ELi32ELc67ELc67EKPKDF16_S3_KPDF16_EEvlllT_PT11_llS8_llS6_PT12_llPT13_lli,comdat
.Lfunc_end169:
	.size	_ZN12_GLOBAL__N_135rocblas_gemm_batched_general_kernelIDF16_Li16ELi16ELi32ELi32ELi8ELi32ELi8ELi8ELi32ELc67ELc67EKPKDF16_S3_KPDF16_EEvlllT_PT11_llS8_llS6_PT12_llPT13_lli, .Lfunc_end169-_ZN12_GLOBAL__N_135rocblas_gemm_batched_general_kernelIDF16_Li16ELi16ELi32ELi32ELi8ELi32ELi8ELi8ELi32ELc67ELc67EKPKDF16_S3_KPDF16_EEvlllT_PT11_llS8_llS6_PT12_llPT13_lli
                                        ; -- End function
	.section	.AMDGPU.csdata,"",@progbits
; Kernel info:
; codeLenInByte = 2132
; NumSgprs: 50
; NumVgprs: 41
; NumAgprs: 0
; TotalNumVgprs: 41
; ScratchSize: 0
; MemoryBound: 0
; FloatMode: 240
; IeeeMode: 1
; LDSByteSize: 1024 bytes/workgroup (compile time only)
; SGPRBlocks: 6
; VGPRBlocks: 5
; NumSGPRsForWavesPerEU: 50
; NumVGPRsForWavesPerEU: 41
; AccumOffset: 44
; Occupancy: 8
; WaveLimiterHint : 1
; COMPUTE_PGM_RSRC2:SCRATCH_EN: 0
; COMPUTE_PGM_RSRC2:USER_SGPR: 6
; COMPUTE_PGM_RSRC2:TRAP_HANDLER: 0
; COMPUTE_PGM_RSRC2:TGID_X_EN: 1
; COMPUTE_PGM_RSRC2:TGID_Y_EN: 1
; COMPUTE_PGM_RSRC2:TGID_Z_EN: 1
; COMPUTE_PGM_RSRC2:TIDIG_COMP_CNT: 1
; COMPUTE_PGM_RSRC3_GFX90A:ACCUM_OFFSET: 10
; COMPUTE_PGM_RSRC3_GFX90A:TG_SPLIT: 0
	.section	.text._ZN12_GLOBAL__N_135rocblas_gemm_batched_general_kernelIDF16_Li16ELi16ELi32ELi32ELi8ELi32ELi8ELi8ELi32ELc67ELc78EKPKDF16_S3_KPDF16_EEvlllT_PT11_llS8_llS6_PT12_llPT13_lli,"axG",@progbits,_ZN12_GLOBAL__N_135rocblas_gemm_batched_general_kernelIDF16_Li16ELi16ELi32ELi32ELi8ELi32ELi8ELi8ELi32ELc67ELc78EKPKDF16_S3_KPDF16_EEvlllT_PT11_llS8_llS6_PT12_llPT13_lli,comdat
	.globl	_ZN12_GLOBAL__N_135rocblas_gemm_batched_general_kernelIDF16_Li16ELi16ELi32ELi32ELi8ELi32ELi8ELi8ELi32ELc67ELc78EKPKDF16_S3_KPDF16_EEvlllT_PT11_llS8_llS6_PT12_llPT13_lli ; -- Begin function _ZN12_GLOBAL__N_135rocblas_gemm_batched_general_kernelIDF16_Li16ELi16ELi32ELi32ELi8ELi32ELi8ELi8ELi32ELc67ELc78EKPKDF16_S3_KPDF16_EEvlllT_PT11_llS8_llS6_PT12_llPT13_lli
	.p2align	8
	.type	_ZN12_GLOBAL__N_135rocblas_gemm_batched_general_kernelIDF16_Li16ELi16ELi32ELi32ELi8ELi32ELi8ELi8ELi32ELc67ELc78EKPKDF16_S3_KPDF16_EEvlllT_PT11_llS8_llS6_PT12_llPT13_lli,@function
_ZN12_GLOBAL__N_135rocblas_gemm_batched_general_kernelIDF16_Li16ELi16ELi32ELi32ELi8ELi32ELi8ELi8ELi32ELc67ELc78EKPKDF16_S3_KPDF16_EEvlllT_PT11_llS8_llS6_PT12_llPT13_lli: ; @_ZN12_GLOBAL__N_135rocblas_gemm_batched_general_kernelIDF16_Li16ELi16ELi32ELi32ELi8ELi32ELi8ELi8ELi32ELc67ELc78EKPKDF16_S3_KPDF16_EEvlllT_PT11_llS8_llS6_PT12_llPT13_lli
; %bb.0:
	s_load_dwordx4 s[36:39], s[4:5], 0x0
	s_load_dwordx2 s[34:35], s[4:5], 0x10
	s_load_dwordx4 s[28:31], s[4:5], 0x78
	s_load_dwordx8 s[12:19], s[4:5], 0x58
	s_mov_b32 s9, 0
	s_lshl_b64 s[0:1], s[8:9], 3
	s_mov_b32 s2, s7
	v_and_b32_e32 v10, 0x3ff, v0
	s_waitcnt lgkmcnt(0)
	s_add_u32 s8, s12, s0
	s_addc_u32 s9, s13, s1
	s_load_dwordx2 s[12:13], s[8:9], 0x0
	s_add_u32 s8, s18, s0
	s_addc_u32 s9, s19, s1
	s_load_dwordx2 s[18:19], s[8:9], 0x0
	s_ashr_i32 s3, s2, 31
	s_ashr_i32 s7, s6, 31
	s_lshl_b64 s[40:41], s[2:3], 5
	v_cmp_lt_i64_e64 s[2:3], s[34:35], 1
	v_bfe_u32 v1, v0, 10, 10
	s_lshl_b64 s[6:7], s[6:7], 5
	s_and_b64 vcc, exec, s[2:3]
	v_mov_b32_e32 v12, 0
	v_mov_b32_e32 v11, 0
	s_cbranch_vccnz .LBB170_7
; %bb.1:
	s_load_dwordx8 s[20:27], s[4:5], 0x20
	s_load_dwordx4 s[8:11], s[4:5], 0x40
	v_lshlrev_b32_e32 v8, 4, v1
	v_add_u32_e32 v3, v8, v10
	v_and_b32_e32 v12, 31, v3
	s_waitcnt lgkmcnt(0)
	s_add_u32 s2, s26, s0
	s_addc_u32 s3, s27, s1
	s_add_u32 s0, s20, s0
	v_and_b32_e32 v2, 7, v10
	s_addc_u32 s1, s21, s1
	v_lshrrev_b32_e32 v9, 3, v3
	v_mov_b32_e32 v7, s7
	v_or_b32_e32 v6, s6, v12
	s_load_dwordx2 s[20:21], s[0:1], 0x0
	v_mov_b32_e32 v5, s41
	v_add_co_u32_e32 v4, vcc, s40, v9
	v_cmp_gt_i64_e64 s[0:1], s[36:37], v[6:7]
	v_lshlrev_b32_e32 v6, 1, v2
	v_addc_co_u32_e32 v5, vcc, 0, v5, vcc
	v_lshl_or_b32 v7, v9, 4, v6
	s_load_dwordx2 s[26:27], s[2:3], 0x0
	v_cmp_gt_i64_e64 s[2:3], s[38:39], v[4:5]
	v_add_u32_e32 v13, 0x200, v7
	v_add_u32_e32 v15, 0x200, v8
	v_mul_lo_u32 v7, s9, v4
	v_mul_lo_u32 v8, s8, v5
	v_mad_u64_u32 v[4:5], s[8:9], s8, v4, 0
	v_add3_u32 v5, v5, v8, v7
	v_lshlrev_b64 v[4:5], 1, v[4:5]
	s_lshl_b64 s[8:9], s[10:11], 1
	v_mov_b32_e32 v7, s9
	v_add_co_u32_e32 v4, vcc, s8, v4
	v_addc_co_u32_e32 v5, vcc, v5, v7, vcc
	v_add_co_u32_e32 v4, vcc, v4, v6
	v_addc_co_u32_e32 v5, vcc, 0, v5, vcc
	s_waitcnt lgkmcnt(0)
	v_mov_b32_e32 v6, s27
	v_add_co_u32_e32 v4, vcc, s26, v4
	v_addc_co_u32_e32 v5, vcc, v6, v5, vcc
	v_mov_b32_e32 v6, s7
	v_add_co_u32_e32 v7, vcc, s6, v12
	v_addc_co_u32_e32 v6, vcc, 0, v6, vcc
	v_mul_lo_u32 v8, s23, v7
	v_mul_lo_u32 v9, s22, v6
	v_mad_u64_u32 v[6:7], s[8:9], s22, v7, 0
	v_add3_u32 v7, v7, v9, v8
	v_lshlrev_b64 v[6:7], 1, v[6:7]
	s_lshl_b64 s[8:9], s[24:25], 1
	v_lshrrev_b32_e32 v0, 5, v3
	v_mov_b32_e32 v8, s9
	v_add_co_u32_e32 v6, vcc, s8, v6
	v_addc_co_u32_e32 v7, vcc, v7, v8, vcc
	v_lshlrev_b32_e32 v8, 1, v0
	v_add_co_u32_e32 v6, vcc, v6, v8
	v_addc_co_u32_e32 v7, vcc, 0, v7, vcc
	v_lshlrev_b32_e32 v3, 1, v12
	v_mov_b32_e32 v8, s21
	v_add_co_u32_e32 v6, vcc, s20, v6
	v_mov_b32_e32 v11, 0
	v_lshl_or_b32 v3, v0, 6, v3
	v_lshlrev_b32_e32 v14, 1, v10
	v_addc_co_u32_e32 v7, vcc, v8, v7, vcc
	s_mov_b64 s[8:9], 0
	v_pk_mov_b32 v[8:9], s[34:35], s[34:35] op_sel:[0,1]
	v_mov_b32_e32 v12, 0
	s_branch .LBB170_3
.LBB170_2:                              ;   in Loop: Header=BB170_3 Depth=1
	s_or_b64 exec, exec, s[10:11]
	s_waitcnt vmcnt(0)
	ds_write_b16 v13, v16
	s_waitcnt lgkmcnt(0)
	s_barrier
	ds_read_b128 v[16:19], v15
	ds_read_b128 v[20:23], v15 offset:256
	ds_read_u16 v28, v14
	ds_read_u16 v29, v14 offset:32
	ds_read_u16 v30, v14 offset:64
	;; [unrolled: 1-line block ×7, first 2 shown]
	v_add_co_u32_e32 v4, vcc, 16, v4
	s_waitcnt lgkmcnt(7)
	v_fma_f16 v36, v28, v16, v11
	v_lshrrev_b32_e32 v11, 16, v11
	v_lshrrev_b32_e32 v24, 16, v16
	s_waitcnt lgkmcnt(6)
	v_fma_f16 v11, v29, v16, v11
	v_fma_f16 v28, v28, v20, v12
	v_lshrrev_b32_e32 v12, 16, v12
	v_lshrrev_b32_e32 v16, 16, v20
	v_fma_f16 v12, v29, v20, v12
	s_waitcnt lgkmcnt(5)
	v_fma_f16 v20, v30, v24, v36
	s_waitcnt lgkmcnt(4)
	v_fma_f16 v11, v31, v24, v11
	v_lshrrev_b32_e32 v25, 16, v17
	v_fma_f16 v24, v30, v16, v28
	v_fma_f16 v12, v31, v16, v12
	s_waitcnt lgkmcnt(3)
	v_fma_f16 v16, v32, v17, v20
	s_waitcnt lgkmcnt(2)
	v_fma_f16 v11, v33, v17, v11
	v_lshrrev_b32_e32 v37, 16, v21
	v_fma_f16 v17, v32, v21, v24
	v_fma_f16 v12, v33, v21, v12
	s_waitcnt lgkmcnt(1)
	v_fma_f16 v16, v34, v25, v16
	s_waitcnt lgkmcnt(0)
	v_fma_f16 v11, v35, v25, v11
	ds_read_u16 v20, v14 offset:256
	ds_read_u16 v21, v14 offset:288
	;; [unrolled: 1-line block ×8, first 2 shown]
	v_fma_f16 v17, v34, v37, v17
	v_fma_f16 v12, v35, v37, v12
	v_lshrrev_b32_e32 v26, 16, v18
	v_lshrrev_b32_e32 v38, 16, v22
	s_waitcnt lgkmcnt(7)
	v_fma_f16 v16, v20, v18, v16
	s_waitcnt lgkmcnt(6)
	v_fma_f16 v11, v21, v18, v11
	v_fma_f16 v17, v20, v22, v17
	v_fma_f16 v12, v21, v22, v12
	v_addc_co_u32_e32 v5, vcc, 0, v5, vcc
	s_waitcnt lgkmcnt(5)
	v_fma_f16 v16, v24, v26, v16
	s_waitcnt lgkmcnt(4)
	v_fma_f16 v11, v25, v26, v11
	v_fma_f16 v17, v24, v38, v17
	;; [unrolled: 1-line block ×3, first 2 shown]
	s_add_u32 s8, s8, 8
	v_add_co_u32_e32 v6, vcc, 16, v6
	v_lshrrev_b32_e32 v27, 16, v19
	v_lshrrev_b32_e32 v39, 16, v23
	s_waitcnt lgkmcnt(3)
	v_fma_f16 v16, v28, v19, v16
	s_waitcnt lgkmcnt(2)
	v_fma_f16 v11, v29, v19, v11
	v_fma_f16 v17, v28, v23, v17
	;; [unrolled: 1-line block ×3, first 2 shown]
	s_addc_u32 s9, s9, 0
	v_addc_co_u32_e32 v7, vcc, 0, v7, vcc
	s_waitcnt lgkmcnt(1)
	v_fma_f16 v16, v30, v27, v16
	s_waitcnt lgkmcnt(0)
	v_fma_f16 v11, v31, v27, v11
	v_fma_f16 v17, v30, v39, v17
	;; [unrolled: 1-line block ×3, first 2 shown]
	v_cmp_lt_i64_e32 vcc, s[8:9], v[8:9]
	v_pack_b32_f16 v11, v16, v11
	v_pack_b32_f16 v12, v17, v12
	s_barrier
	s_cbranch_vccz .LBB170_7
.LBB170_3:                              ; =>This Inner Loop Header: Depth=1
	v_mov_b32_e32 v17, s9
	v_add_co_u32_e32 v16, vcc, s8, v0
	v_addc_co_u32_e32 v17, vcc, 0, v17, vcc
	v_cmp_gt_i64_e32 vcc, s[34:35], v[16:17]
	s_and_b64 s[20:21], s[0:1], vcc
	v_mov_b32_e32 v16, 0
	s_and_saveexec_b64 s[10:11], s[20:21]
	s_cbranch_execz .LBB170_5
; %bb.4:                                ;   in Loop: Header=BB170_3 Depth=1
	global_load_ushort v16, v[6:7], off
.LBB170_5:                              ;   in Loop: Header=BB170_3 Depth=1
	s_or_b64 exec, exec, s[10:11]
	s_waitcnt vmcnt(0)
	ds_write_b16 v3, v16
	v_mov_b32_e32 v17, s9
	v_add_co_u32_e32 v16, vcc, s8, v2
	v_addc_co_u32_e32 v17, vcc, 0, v17, vcc
	v_cmp_gt_i64_e32 vcc, s[34:35], v[16:17]
	s_and_b64 s[20:21], vcc, s[2:3]
	v_mov_b32_e32 v16, 0
	s_and_saveexec_b64 s[10:11], s[20:21]
	s_cbranch_execz .LBB170_2
; %bb.6:                                ;   in Loop: Header=BB170_3 Depth=1
	global_load_ushort v16, v[4:5], off
	s_branch .LBB170_2
.LBB170_7:
	s_load_dword s20, s[4:5], 0x18
	s_load_dword s21, s[4:5], 0x50
	s_lshl_b64 s[0:1], s[30:31], 1
	v_mov_b32_e32 v2, s41
	v_add_co_u32_e32 v0, vcc, s40, v1
	s_waitcnt lgkmcnt(0)
	s_add_u32 s18, s18, s0
	v_addc_co_u32_e32 v1, vcc, 0, v2, vcc
	v_cmp_neq_f16_e64 s[2:3], s21, 0
	s_addc_u32 s19, s19, s1
	v_cmp_gt_i64_e64 s[0:1], s[38:39], v[0:1]
	s_and_b64 vcc, exec, s[2:3]
	s_cbranch_vccnz .LBB170_20
; %bb.8:
	s_and_saveexec_b64 s[8:9], s[0:1]
	s_cbranch_execz .LBB170_18
; %bb.9:
	v_mov_b32_e32 v2, s7
	v_add_co_u32_e32 v4, vcc, s6, v10
	v_addc_co_u32_e32 v5, vcc, 0, v2, vcc
	v_mul_lo_u32 v6, v1, s28
	v_mul_lo_u32 v7, v0, s29
	v_mad_u64_u32 v[2:3], s[2:3], v0, s28, 0
	v_add3_u32 v3, v3, v7, v6
	v_lshlrev_b64 v[2:3], 1, v[2:3]
	v_mov_b32_e32 v7, s19
	v_add_co_u32_e64 v6, s[2:3], s18, v2
	v_cmp_gt_i64_e32 vcc, s[36:37], v[4:5]
	v_addc_co_u32_e64 v7, s[2:3], v7, v3, s[2:3]
	v_lshlrev_b64 v[2:3], 1, v[4:5]
	s_and_saveexec_b64 s[4:5], vcc
	s_cbranch_execz .LBB170_11
; %bb.10:
	v_add_co_u32_e64 v8, s[2:3], v6, v2
	v_addc_co_u32_e64 v9, s[2:3], v7, v3, s[2:3]
	v_mul_f16_e32 v13, s20, v11
	global_store_short v[8:9], v13, off
.LBB170_11:
	s_or_b64 exec, exec, s[4:5]
	v_add_co_u32_e64 v4, s[2:3], 16, v4
	v_addc_co_u32_e64 v5, s[2:3], 0, v5, s[2:3]
	v_cmp_gt_i64_e64 s[2:3], s[36:37], v[4:5]
	s_and_saveexec_b64 s[10:11], s[2:3]
	s_cbranch_execz .LBB170_13
; %bb.12:
	v_add_co_u32_e64 v4, s[4:5], v6, v2
	v_addc_co_u32_e64 v5, s[4:5], v7, v3, s[4:5]
	v_mul_f16_sdwa v8, v11, s20 dst_sel:DWORD dst_unused:UNUSED_PAD src0_sel:WORD_1 src1_sel:DWORD
	global_store_short v[4:5], v8, off offset:32
.LBB170_13:
	s_or_b64 exec, exec, s[10:11]
	v_add_co_u32_e64 v4, s[4:5], 16, v0
	v_addc_co_u32_e64 v5, s[4:5], 0, v1, s[4:5]
	v_cmp_gt_i64_e64 s[4:5], s[38:39], v[4:5]
	s_and_b64 exec, exec, s[4:5]
	s_cbranch_execz .LBB170_18
; %bb.14:
	s_lshl_b64 s[4:5], s[28:29], 5
	v_mov_b32_e32 v4, s5
	v_add_co_u32_e64 v5, s[4:5], s4, v6
	v_addc_co_u32_e64 v4, s[4:5], v7, v4, s[4:5]
	v_add_co_u32_e64 v2, s[4:5], v5, v2
	v_addc_co_u32_e64 v3, s[4:5], v4, v3, s[4:5]
	s_and_saveexec_b64 s[4:5], vcc
	s_cbranch_execz .LBB170_16
; %bb.15:
	v_mul_f16_e32 v4, s20, v12
	global_store_short v[2:3], v4, off
.LBB170_16:
	s_or_b64 exec, exec, s[4:5]
	s_and_b64 exec, exec, s[2:3]
	s_cbranch_execz .LBB170_18
; %bb.17:
	v_mul_f16_sdwa v4, v12, s20 dst_sel:DWORD dst_unused:UNUSED_PAD src0_sel:WORD_1 src1_sel:DWORD
	global_store_short v[2:3], v4, off offset:32
.LBB170_18:
	s_or_b64 exec, exec, s[8:9]
	s_cbranch_execz .LBB170_21
.LBB170_19:
	s_endpgm
.LBB170_20:
.LBB170_21:
	s_and_saveexec_b64 s[2:3], s[0:1]
	s_cbranch_execz .LBB170_19
; %bb.22:
	s_lshl_b64 s[0:1], s[16:17], 1
	s_add_u32 s2, s12, s0
	v_mov_b32_e32 v2, s7
	v_add_co_u32_e32 v4, vcc, s6, v10
	s_addc_u32 s3, s13, s1
	v_addc_co_u32_e32 v5, vcc, 0, v2, vcc
	v_mul_lo_u32 v6, v1, s14
	v_mul_lo_u32 v7, v0, s15
	v_mad_u64_u32 v[2:3], s[0:1], v0, s14, 0
	v_add3_u32 v3, v3, v7, v6
	v_mul_lo_u32 v6, v1, s28
	v_mul_lo_u32 v7, v0, s29
	v_mad_u64_u32 v[8:9], s[0:1], v0, s28, 0
	v_lshlrev_b64 v[2:3], 1, v[2:3]
	v_add3_u32 v9, v9, v7, v6
	v_mov_b32_e32 v7, s3
	v_add_co_u32_e64 v6, s[0:1], s2, v2
	v_addc_co_u32_e64 v7, s[0:1], v7, v3, s[0:1]
	v_lshlrev_b64 v[2:3], 1, v[8:9]
	v_mov_b32_e32 v9, s19
	v_add_co_u32_e64 v8, s[0:1], s18, v2
	v_cmp_gt_i64_e32 vcc, s[36:37], v[4:5]
	v_addc_co_u32_e64 v9, s[0:1], v9, v3, s[0:1]
	v_lshlrev_b64 v[2:3], 1, v[4:5]
	s_and_saveexec_b64 s[2:3], vcc
	s_cbranch_execz .LBB170_24
; %bb.23:
	v_add_co_u32_e64 v14, s[0:1], v6, v2
	v_addc_co_u32_e64 v15, s[0:1], v7, v3, s[0:1]
	global_load_ushort v10, v[14:15], off
	v_add_co_u32_e64 v14, s[0:1], v8, v2
	v_addc_co_u32_e64 v15, s[0:1], v9, v3, s[0:1]
	s_waitcnt vmcnt(0)
	v_mul_f16_e32 v10, s21, v10
	v_fma_f16 v10, v11, s20, v10
	global_store_short v[14:15], v10, off
.LBB170_24:
	s_or_b64 exec, exec, s[2:3]
	v_add_co_u32_e64 v4, s[0:1], 16, v4
	v_addc_co_u32_e64 v5, s[0:1], 0, v5, s[0:1]
	v_cmp_gt_i64_e64 s[0:1], s[36:37], v[4:5]
	s_and_saveexec_b64 s[4:5], s[0:1]
	s_cbranch_execz .LBB170_26
; %bb.25:
	v_add_co_u32_e64 v4, s[2:3], v6, v2
	v_addc_co_u32_e64 v5, s[2:3], v7, v3, s[2:3]
	global_load_ushort v4, v[4:5], off offset:32
	v_lshrrev_b32_e32 v5, 16, v11
	s_waitcnt vmcnt(0)
	v_mul_f16_e32 v4, s21, v4
	v_fma_f16 v10, v5, s20, v4
	v_add_co_u32_e64 v4, s[2:3], v8, v2
	v_addc_co_u32_e64 v5, s[2:3], v9, v3, s[2:3]
	global_store_short v[4:5], v10, off offset:32
.LBB170_26:
	s_or_b64 exec, exec, s[4:5]
	v_add_co_u32_e64 v0, s[2:3], 16, v0
	v_addc_co_u32_e64 v1, s[2:3], 0, v1, s[2:3]
	v_cmp_gt_i64_e64 s[2:3], s[38:39], v[0:1]
	s_and_b64 exec, exec, s[2:3]
	s_cbranch_execz .LBB170_19
; %bb.27:
	s_lshl_b64 s[2:3], s[14:15], 5
	v_mov_b32_e32 v0, s3
	v_add_co_u32_e64 v1, s[2:3], s2, v6
	v_addc_co_u32_e64 v4, s[2:3], v7, v0, s[2:3]
	s_lshl_b64 s[2:3], s[28:29], 5
	v_mov_b32_e32 v0, s3
	v_add_co_u32_e64 v5, s[2:3], s2, v8
	v_addc_co_u32_e64 v6, s[2:3], v9, v0, s[2:3]
	v_add_co_u32_e64 v0, s[2:3], v1, v2
	v_addc_co_u32_e64 v1, s[2:3], v4, v3, s[2:3]
	;; [unrolled: 2-line block ×3, first 2 shown]
	s_and_saveexec_b64 s[2:3], vcc
	s_cbranch_execz .LBB170_29
; %bb.28:
	global_load_ushort v4, v[0:1], off
	s_waitcnt vmcnt(0)
	v_mul_f16_e32 v4, s21, v4
	v_fma_f16 v4, v12, s20, v4
	global_store_short v[2:3], v4, off
.LBB170_29:
	s_or_b64 exec, exec, s[2:3]
	s_and_b64 exec, exec, s[0:1]
	s_cbranch_execz .LBB170_19
; %bb.30:
	global_load_ushort v0, v[0:1], off offset:32
	v_lshrrev_b32_e32 v1, 16, v12
	s_waitcnt vmcnt(0)
	v_mul_f16_e32 v0, s21, v0
	v_fma_f16 v0, v1, s20, v0
	global_store_short v[2:3], v0, off offset:32
	s_endpgm
	.section	.rodata,"a",@progbits
	.p2align	6, 0x0
	.amdhsa_kernel _ZN12_GLOBAL__N_135rocblas_gemm_batched_general_kernelIDF16_Li16ELi16ELi32ELi32ELi8ELi32ELi8ELi8ELi32ELc67ELc78EKPKDF16_S3_KPDF16_EEvlllT_PT11_llS8_llS6_PT12_llPT13_lli
		.amdhsa_group_segment_fixed_size 1024
		.amdhsa_private_segment_fixed_size 0
		.amdhsa_kernarg_size 140
		.amdhsa_user_sgpr_count 6
		.amdhsa_user_sgpr_private_segment_buffer 1
		.amdhsa_user_sgpr_dispatch_ptr 0
		.amdhsa_user_sgpr_queue_ptr 0
		.amdhsa_user_sgpr_kernarg_segment_ptr 1
		.amdhsa_user_sgpr_dispatch_id 0
		.amdhsa_user_sgpr_flat_scratch_init 0
		.amdhsa_user_sgpr_kernarg_preload_length 0
		.amdhsa_user_sgpr_kernarg_preload_offset 0
		.amdhsa_user_sgpr_private_segment_size 0
		.amdhsa_uses_dynamic_stack 0
		.amdhsa_system_sgpr_private_segment_wavefront_offset 0
		.amdhsa_system_sgpr_workgroup_id_x 1
		.amdhsa_system_sgpr_workgroup_id_y 1
		.amdhsa_system_sgpr_workgroup_id_z 1
		.amdhsa_system_sgpr_workgroup_info 0
		.amdhsa_system_vgpr_workitem_id 1
		.amdhsa_next_free_vgpr 40
		.amdhsa_next_free_sgpr 42
		.amdhsa_accum_offset 40
		.amdhsa_reserve_vcc 1
		.amdhsa_reserve_flat_scratch 0
		.amdhsa_float_round_mode_32 0
		.amdhsa_float_round_mode_16_64 0
		.amdhsa_float_denorm_mode_32 3
		.amdhsa_float_denorm_mode_16_64 3
		.amdhsa_dx10_clamp 1
		.amdhsa_ieee_mode 1
		.amdhsa_fp16_overflow 0
		.amdhsa_tg_split 0
		.amdhsa_exception_fp_ieee_invalid_op 0
		.amdhsa_exception_fp_denorm_src 0
		.amdhsa_exception_fp_ieee_div_zero 0
		.amdhsa_exception_fp_ieee_overflow 0
		.amdhsa_exception_fp_ieee_underflow 0
		.amdhsa_exception_fp_ieee_inexact 0
		.amdhsa_exception_int_div_zero 0
	.end_amdhsa_kernel
	.section	.text._ZN12_GLOBAL__N_135rocblas_gemm_batched_general_kernelIDF16_Li16ELi16ELi32ELi32ELi8ELi32ELi8ELi8ELi32ELc67ELc78EKPKDF16_S3_KPDF16_EEvlllT_PT11_llS8_llS6_PT12_llPT13_lli,"axG",@progbits,_ZN12_GLOBAL__N_135rocblas_gemm_batched_general_kernelIDF16_Li16ELi16ELi32ELi32ELi8ELi32ELi8ELi8ELi32ELc67ELc78EKPKDF16_S3_KPDF16_EEvlllT_PT11_llS8_llS6_PT12_llPT13_lli,comdat
.Lfunc_end170:
	.size	_ZN12_GLOBAL__N_135rocblas_gemm_batched_general_kernelIDF16_Li16ELi16ELi32ELi32ELi8ELi32ELi8ELi8ELi32ELc67ELc78EKPKDF16_S3_KPDF16_EEvlllT_PT11_llS8_llS6_PT12_llPT13_lli, .Lfunc_end170-_ZN12_GLOBAL__N_135rocblas_gemm_batched_general_kernelIDF16_Li16ELi16ELi32ELi32ELi8ELi32ELi8ELi8ELi32ELc67ELc78EKPKDF16_S3_KPDF16_EEvlllT_PT11_llS8_llS6_PT12_llPT13_lli
                                        ; -- End function
	.section	.AMDGPU.csdata,"",@progbits
; Kernel info:
; codeLenInByte = 2116
; NumSgprs: 46
; NumVgprs: 40
; NumAgprs: 0
; TotalNumVgprs: 40
; ScratchSize: 0
; MemoryBound: 0
; FloatMode: 240
; IeeeMode: 1
; LDSByteSize: 1024 bytes/workgroup (compile time only)
; SGPRBlocks: 5
; VGPRBlocks: 4
; NumSGPRsForWavesPerEU: 46
; NumVGPRsForWavesPerEU: 40
; AccumOffset: 40
; Occupancy: 8
; WaveLimiterHint : 1
; COMPUTE_PGM_RSRC2:SCRATCH_EN: 0
; COMPUTE_PGM_RSRC2:USER_SGPR: 6
; COMPUTE_PGM_RSRC2:TRAP_HANDLER: 0
; COMPUTE_PGM_RSRC2:TGID_X_EN: 1
; COMPUTE_PGM_RSRC2:TGID_Y_EN: 1
; COMPUTE_PGM_RSRC2:TGID_Z_EN: 1
; COMPUTE_PGM_RSRC2:TIDIG_COMP_CNT: 1
; COMPUTE_PGM_RSRC3_GFX90A:ACCUM_OFFSET: 9
; COMPUTE_PGM_RSRC3_GFX90A:TG_SPLIT: 0
	.section	.text._ZN12_GLOBAL__N_135rocblas_gemm_batched_general_kernelIDF16_Li16ELi16ELi32ELi32ELi8ELi32ELi8ELi8ELi32ELc67ELc84EKPKDF16_S3_KPDF16_EEvlllT_PT11_llS8_llS6_PT12_llPT13_lli,"axG",@progbits,_ZN12_GLOBAL__N_135rocblas_gemm_batched_general_kernelIDF16_Li16ELi16ELi32ELi32ELi8ELi32ELi8ELi8ELi32ELc67ELc84EKPKDF16_S3_KPDF16_EEvlllT_PT11_llS8_llS6_PT12_llPT13_lli,comdat
	.globl	_ZN12_GLOBAL__N_135rocblas_gemm_batched_general_kernelIDF16_Li16ELi16ELi32ELi32ELi8ELi32ELi8ELi8ELi32ELc67ELc84EKPKDF16_S3_KPDF16_EEvlllT_PT11_llS8_llS6_PT12_llPT13_lli ; -- Begin function _ZN12_GLOBAL__N_135rocblas_gemm_batched_general_kernelIDF16_Li16ELi16ELi32ELi32ELi8ELi32ELi8ELi8ELi32ELc67ELc84EKPKDF16_S3_KPDF16_EEvlllT_PT11_llS8_llS6_PT12_llPT13_lli
	.p2align	8
	.type	_ZN12_GLOBAL__N_135rocblas_gemm_batched_general_kernelIDF16_Li16ELi16ELi32ELi32ELi8ELi32ELi8ELi8ELi32ELc67ELc84EKPKDF16_S3_KPDF16_EEvlllT_PT11_llS8_llS6_PT12_llPT13_lli,@function
_ZN12_GLOBAL__N_135rocblas_gemm_batched_general_kernelIDF16_Li16ELi16ELi32ELi32ELi8ELi32ELi8ELi8ELi32ELc67ELc84EKPKDF16_S3_KPDF16_EEvlllT_PT11_llS8_llS6_PT12_llPT13_lli: ; @_ZN12_GLOBAL__N_135rocblas_gemm_batched_general_kernelIDF16_Li16ELi16ELi32ELi32ELi8ELi32ELi8ELi8ELi32ELc67ELc84EKPKDF16_S3_KPDF16_EEvlllT_PT11_llS8_llS6_PT12_llPT13_lli
; %bb.0:
	s_load_dwordx4 s[36:39], s[4:5], 0x0
	s_load_dwordx2 s[34:35], s[4:5], 0x10
	s_load_dwordx4 s[28:31], s[4:5], 0x78
	s_load_dwordx8 s[12:19], s[4:5], 0x58
	s_mov_b32 s9, 0
	s_lshl_b64 s[0:1], s[8:9], 3
	s_mov_b32 s42, s7
	v_and_b32_e32 v10, 0x3ff, v0
	s_waitcnt lgkmcnt(0)
	s_add_u32 s2, s12, s0
	s_addc_u32 s3, s13, s1
	s_load_dwordx2 s[12:13], s[2:3], 0x0
	s_add_u32 s2, s18, s0
	s_addc_u32 s3, s19, s1
	s_load_dwordx2 s[18:19], s[2:3], 0x0
	s_ashr_i32 s7, s6, 31
	s_ashr_i32 s43, s42, 31
	v_cmp_lt_i64_e64 s[2:3], s[34:35], 1
	v_bfe_u32 v1, v0, 10, 10
	s_lshl_b64 s[6:7], s[6:7], 5
	s_lshl_b64 s[40:41], s[42:43], 5
	s_and_b64 vcc, exec, s[2:3]
	v_mov_b32_e32 v12, 0
	v_mov_b32_e32 v11, 0
	s_cbranch_vccnz .LBB171_7
; %bb.1:
	s_load_dwordx8 s[20:27], s[4:5], 0x20
	s_load_dwordx4 s[8:11], s[4:5], 0x40
	v_lshlrev_b32_e32 v8, 4, v1
	v_add_u32_e32 v3, v8, v10
	v_lshrrev_b32_e32 v9, 3, v3
	s_waitcnt lgkmcnt(0)
	s_add_u32 s2, s26, s0
	v_mov_b32_e32 v5, s41
	v_add_co_u32_e32 v4, vcc, s40, v9
	s_addc_u32 s3, s27, s1
	v_and_b32_e32 v2, 7, v10
	v_addc_co_u32_e32 v5, vcc, 0, v5, vcc
	s_load_dwordx2 s[26:27], s[2:3], 0x0
	v_cmp_gt_i64_e64 s[2:3], s[38:39], v[4:5]
	v_lshlrev_b32_e32 v4, 1, v2
	s_add_u32 s0, s20, s0
	v_and_b32_e32 v12, 31, v3
	v_lshl_or_b32 v4, v9, 4, v4
	s_addc_u32 s1, s21, s1
	v_mov_b32_e32 v7, s7
	v_or_b32_e32 v6, s6, v12
	v_add_u32_e32 v13, 0x200, v4
	v_mad_u64_u32 v[4:5], s[44:45], s8, v2, 0
	s_load_dwordx2 s[20:21], s[0:1], 0x0
	v_cmp_gt_i64_e64 s[0:1], s[36:37], v[6:7]
	v_mov_b32_e32 v6, v5
	v_mad_u64_u32 v[6:7], s[44:45], s9, v2, v[6:7]
	s_lshl_b64 s[42:43], s[42:43], 6
	s_lshl_b64 s[10:11], s[10:11], 1
	v_mov_b32_e32 v5, v6
	s_add_u32 s10, s10, s42
	v_lshlrev_b64 v[4:5], 1, v[4:5]
	s_addc_u32 s11, s11, s43
	v_mov_b32_e32 v6, s11
	v_add_co_u32_e32 v4, vcc, s10, v4
	v_addc_co_u32_e32 v5, vcc, v6, v5, vcc
	v_lshlrev_b32_e32 v6, 1, v9
	v_add_co_u32_e32 v4, vcc, v4, v6
	v_addc_co_u32_e32 v5, vcc, 0, v5, vcc
	s_waitcnt lgkmcnt(0)
	v_mov_b32_e32 v6, s27
	v_add_co_u32_e32 v4, vcc, s26, v4
	v_addc_co_u32_e32 v5, vcc, v6, v5, vcc
	v_mov_b32_e32 v6, s7
	v_add_co_u32_e32 v7, vcc, s6, v12
	v_addc_co_u32_e32 v6, vcc, 0, v6, vcc
	v_add_u32_e32 v15, 0x200, v8
	v_mul_lo_u32 v8, s23, v7
	v_mul_lo_u32 v9, s22, v6
	v_mad_u64_u32 v[6:7], s[10:11], s22, v7, 0
	v_add3_u32 v7, v7, v9, v8
	v_lshlrev_b64 v[6:7], 1, v[6:7]
	s_lshl_b64 s[10:11], s[24:25], 1
	v_lshrrev_b32_e32 v0, 5, v3
	v_mov_b32_e32 v8, s11
	v_add_co_u32_e32 v6, vcc, s10, v6
	v_addc_co_u32_e32 v7, vcc, v7, v8, vcc
	v_lshlrev_b32_e32 v8, 1, v0
	v_add_co_u32_e32 v6, vcc, v6, v8
	v_addc_co_u32_e32 v7, vcc, 0, v7, vcc
	v_lshlrev_b32_e32 v3, 1, v12
	s_lshl_b64 s[8:9], s[8:9], 4
	v_mov_b32_e32 v8, s21
	v_add_co_u32_e32 v6, vcc, s20, v6
	v_mov_b32_e32 v11, 0
	v_lshl_or_b32 v3, v0, 6, v3
	v_lshlrev_b32_e32 v14, 1, v10
	v_addc_co_u32_e32 v7, vcc, v8, v7, vcc
	s_mov_b64 s[10:11], 0
	v_mov_b32_e32 v16, s9
	v_pk_mov_b32 v[8:9], s[34:35], s[34:35] op_sel:[0,1]
	v_mov_b32_e32 v12, 0
	s_branch .LBB171_3
.LBB171_2:                              ;   in Loop: Header=BB171_3 Depth=1
	s_or_b64 exec, exec, s[20:21]
	s_waitcnt vmcnt(0)
	ds_write_b16 v13, v17
	s_waitcnt lgkmcnt(0)
	s_barrier
	ds_read_b128 v[18:21], v15
	ds_read_b128 v[22:25], v15 offset:256
	ds_read_u16 v29, v14
	ds_read_u16 v30, v14 offset:32
	ds_read_u16 v31, v14 offset:64
	;; [unrolled: 1-line block ×7, first 2 shown]
	v_add_co_u32_e32 v4, vcc, s8, v4
	s_waitcnt lgkmcnt(7)
	v_fma_f16 v37, v29, v18, v11
	v_lshrrev_b32_e32 v11, 16, v11
	v_lshrrev_b32_e32 v17, 16, v18
	s_waitcnt lgkmcnt(6)
	v_fma_f16 v11, v30, v18, v11
	v_fma_f16 v29, v29, v22, v12
	v_lshrrev_b32_e32 v12, 16, v12
	v_lshrrev_b32_e32 v18, 16, v22
	v_fma_f16 v12, v30, v22, v12
	s_waitcnt lgkmcnt(5)
	v_fma_f16 v22, v31, v17, v37
	s_waitcnt lgkmcnt(4)
	v_fma_f16 v11, v32, v17, v11
	v_lshrrev_b32_e32 v26, 16, v19
	v_fma_f16 v17, v31, v18, v29
	v_fma_f16 v12, v32, v18, v12
	s_waitcnt lgkmcnt(3)
	v_fma_f16 v18, v33, v19, v22
	s_waitcnt lgkmcnt(2)
	v_fma_f16 v11, v34, v19, v11
	v_lshrrev_b32_e32 v38, 16, v23
	v_fma_f16 v17, v33, v23, v17
	v_fma_f16 v12, v34, v23, v12
	s_waitcnt lgkmcnt(1)
	v_fma_f16 v18, v35, v26, v18
	s_waitcnt lgkmcnt(0)
	v_fma_f16 v11, v36, v26, v11
	ds_read_u16 v19, v14 offset:256
	ds_read_u16 v22, v14 offset:288
	;; [unrolled: 1-line block ×8, first 2 shown]
	v_fma_f16 v17, v35, v38, v17
	v_fma_f16 v12, v36, v38, v12
	v_lshrrev_b32_e32 v27, 16, v20
	v_lshrrev_b32_e32 v39, 16, v24
	s_waitcnt lgkmcnt(7)
	v_fma_f16 v18, v19, v20, v18
	s_waitcnt lgkmcnt(6)
	v_fma_f16 v11, v22, v20, v11
	v_fma_f16 v17, v19, v24, v17
	;; [unrolled: 1-line block ×3, first 2 shown]
	v_addc_co_u32_e32 v5, vcc, v5, v16, vcc
	s_waitcnt lgkmcnt(5)
	v_fma_f16 v18, v23, v27, v18
	s_waitcnt lgkmcnt(4)
	v_fma_f16 v11, v26, v27, v11
	v_fma_f16 v17, v23, v39, v17
	;; [unrolled: 1-line block ×3, first 2 shown]
	s_add_u32 s10, s10, 8
	v_add_co_u32_e32 v6, vcc, 16, v6
	v_lshrrev_b32_e32 v28, 16, v21
	v_lshrrev_b32_e32 v40, 16, v25
	s_waitcnt lgkmcnt(3)
	v_fma_f16 v18, v29, v21, v18
	s_waitcnt lgkmcnt(2)
	v_fma_f16 v11, v30, v21, v11
	v_fma_f16 v17, v29, v25, v17
	;; [unrolled: 1-line block ×3, first 2 shown]
	s_addc_u32 s11, s11, 0
	v_addc_co_u32_e32 v7, vcc, 0, v7, vcc
	s_waitcnt lgkmcnt(1)
	v_fma_f16 v18, v31, v28, v18
	s_waitcnt lgkmcnt(0)
	v_fma_f16 v11, v32, v28, v11
	v_fma_f16 v17, v31, v40, v17
	;; [unrolled: 1-line block ×3, first 2 shown]
	v_cmp_lt_i64_e32 vcc, s[10:11], v[8:9]
	v_pack_b32_f16 v11, v18, v11
	v_pack_b32_f16 v12, v17, v12
	s_barrier
	s_cbranch_vccz .LBB171_7
.LBB171_3:                              ; =>This Inner Loop Header: Depth=1
	v_mov_b32_e32 v17, s11
	v_add_co_u32_e32 v18, vcc, s10, v0
	v_addc_co_u32_e32 v19, vcc, 0, v17, vcc
	v_cmp_gt_i64_e32 vcc, s[34:35], v[18:19]
	s_and_b64 s[22:23], s[0:1], vcc
	v_mov_b32_e32 v17, 0
	s_and_saveexec_b64 s[20:21], s[22:23]
	s_cbranch_execz .LBB171_5
; %bb.4:                                ;   in Loop: Header=BB171_3 Depth=1
	global_load_ushort v17, v[6:7], off
.LBB171_5:                              ;   in Loop: Header=BB171_3 Depth=1
	s_or_b64 exec, exec, s[20:21]
	s_waitcnt vmcnt(0)
	ds_write_b16 v3, v17
	v_mov_b32_e32 v17, s11
	v_add_co_u32_e32 v18, vcc, s10, v2
	v_addc_co_u32_e32 v19, vcc, 0, v17, vcc
	v_cmp_gt_i64_e32 vcc, s[34:35], v[18:19]
	s_and_b64 s[22:23], vcc, s[2:3]
	v_mov_b32_e32 v17, 0
	s_and_saveexec_b64 s[20:21], s[22:23]
	s_cbranch_execz .LBB171_2
; %bb.6:                                ;   in Loop: Header=BB171_3 Depth=1
	global_load_ushort v17, v[4:5], off
	s_branch .LBB171_2
.LBB171_7:
	s_load_dword s20, s[4:5], 0x18
	s_load_dword s21, s[4:5], 0x50
	s_lshl_b64 s[0:1], s[30:31], 1
	v_mov_b32_e32 v2, s41
	v_add_co_u32_e32 v0, vcc, s40, v1
	s_waitcnt lgkmcnt(0)
	s_add_u32 s18, s18, s0
	v_addc_co_u32_e32 v1, vcc, 0, v2, vcc
	v_cmp_neq_f16_e64 s[2:3], s21, 0
	s_addc_u32 s19, s19, s1
	v_cmp_gt_i64_e64 s[0:1], s[38:39], v[0:1]
	s_and_b64 vcc, exec, s[2:3]
	s_cbranch_vccnz .LBB171_20
; %bb.8:
	s_and_saveexec_b64 s[8:9], s[0:1]
	s_cbranch_execz .LBB171_18
; %bb.9:
	v_mov_b32_e32 v2, s7
	v_add_co_u32_e32 v4, vcc, s6, v10
	v_addc_co_u32_e32 v5, vcc, 0, v2, vcc
	v_mul_lo_u32 v6, v1, s28
	v_mul_lo_u32 v7, v0, s29
	v_mad_u64_u32 v[2:3], s[2:3], v0, s28, 0
	v_add3_u32 v3, v3, v7, v6
	v_lshlrev_b64 v[2:3], 1, v[2:3]
	v_mov_b32_e32 v7, s19
	v_add_co_u32_e64 v6, s[2:3], s18, v2
	v_cmp_gt_i64_e32 vcc, s[36:37], v[4:5]
	v_addc_co_u32_e64 v7, s[2:3], v7, v3, s[2:3]
	v_lshlrev_b64 v[2:3], 1, v[4:5]
	s_and_saveexec_b64 s[4:5], vcc
	s_cbranch_execz .LBB171_11
; %bb.10:
	v_add_co_u32_e64 v8, s[2:3], v6, v2
	v_addc_co_u32_e64 v9, s[2:3], v7, v3, s[2:3]
	v_mul_f16_e32 v13, s20, v11
	global_store_short v[8:9], v13, off
.LBB171_11:
	s_or_b64 exec, exec, s[4:5]
	v_add_co_u32_e64 v4, s[2:3], 16, v4
	v_addc_co_u32_e64 v5, s[2:3], 0, v5, s[2:3]
	v_cmp_gt_i64_e64 s[2:3], s[36:37], v[4:5]
	s_and_saveexec_b64 s[10:11], s[2:3]
	s_cbranch_execz .LBB171_13
; %bb.12:
	v_add_co_u32_e64 v4, s[4:5], v6, v2
	v_addc_co_u32_e64 v5, s[4:5], v7, v3, s[4:5]
	v_mul_f16_sdwa v8, v11, s20 dst_sel:DWORD dst_unused:UNUSED_PAD src0_sel:WORD_1 src1_sel:DWORD
	global_store_short v[4:5], v8, off offset:32
.LBB171_13:
	s_or_b64 exec, exec, s[10:11]
	v_add_co_u32_e64 v4, s[4:5], 16, v0
	v_addc_co_u32_e64 v5, s[4:5], 0, v1, s[4:5]
	v_cmp_gt_i64_e64 s[4:5], s[38:39], v[4:5]
	s_and_b64 exec, exec, s[4:5]
	s_cbranch_execz .LBB171_18
; %bb.14:
	s_lshl_b64 s[4:5], s[28:29], 5
	v_mov_b32_e32 v4, s5
	v_add_co_u32_e64 v5, s[4:5], s4, v6
	v_addc_co_u32_e64 v4, s[4:5], v7, v4, s[4:5]
	v_add_co_u32_e64 v2, s[4:5], v5, v2
	v_addc_co_u32_e64 v3, s[4:5], v4, v3, s[4:5]
	s_and_saveexec_b64 s[4:5], vcc
	s_cbranch_execz .LBB171_16
; %bb.15:
	v_mul_f16_e32 v4, s20, v12
	global_store_short v[2:3], v4, off
.LBB171_16:
	s_or_b64 exec, exec, s[4:5]
	s_and_b64 exec, exec, s[2:3]
	s_cbranch_execz .LBB171_18
; %bb.17:
	v_mul_f16_sdwa v4, v12, s20 dst_sel:DWORD dst_unused:UNUSED_PAD src0_sel:WORD_1 src1_sel:DWORD
	global_store_short v[2:3], v4, off offset:32
.LBB171_18:
	s_or_b64 exec, exec, s[8:9]
	s_cbranch_execz .LBB171_21
.LBB171_19:
	s_endpgm
.LBB171_20:
.LBB171_21:
	s_and_saveexec_b64 s[2:3], s[0:1]
	s_cbranch_execz .LBB171_19
; %bb.22:
	s_lshl_b64 s[0:1], s[16:17], 1
	s_add_u32 s2, s12, s0
	v_mov_b32_e32 v2, s7
	v_add_co_u32_e32 v4, vcc, s6, v10
	s_addc_u32 s3, s13, s1
	v_addc_co_u32_e32 v5, vcc, 0, v2, vcc
	v_mul_lo_u32 v6, v1, s14
	v_mul_lo_u32 v7, v0, s15
	v_mad_u64_u32 v[2:3], s[0:1], v0, s14, 0
	v_add3_u32 v3, v3, v7, v6
	v_mul_lo_u32 v6, v1, s28
	v_mul_lo_u32 v7, v0, s29
	v_mad_u64_u32 v[8:9], s[0:1], v0, s28, 0
	v_lshlrev_b64 v[2:3], 1, v[2:3]
	v_add3_u32 v9, v9, v7, v6
	v_mov_b32_e32 v7, s3
	v_add_co_u32_e64 v6, s[0:1], s2, v2
	v_addc_co_u32_e64 v7, s[0:1], v7, v3, s[0:1]
	v_lshlrev_b64 v[2:3], 1, v[8:9]
	v_mov_b32_e32 v9, s19
	v_add_co_u32_e64 v8, s[0:1], s18, v2
	v_cmp_gt_i64_e32 vcc, s[36:37], v[4:5]
	v_addc_co_u32_e64 v9, s[0:1], v9, v3, s[0:1]
	v_lshlrev_b64 v[2:3], 1, v[4:5]
	s_and_saveexec_b64 s[2:3], vcc
	s_cbranch_execz .LBB171_24
; %bb.23:
	v_add_co_u32_e64 v14, s[0:1], v6, v2
	v_addc_co_u32_e64 v15, s[0:1], v7, v3, s[0:1]
	global_load_ushort v10, v[14:15], off
	v_add_co_u32_e64 v14, s[0:1], v8, v2
	v_addc_co_u32_e64 v15, s[0:1], v9, v3, s[0:1]
	s_waitcnt vmcnt(0)
	v_mul_f16_e32 v10, s21, v10
	v_fma_f16 v10, v11, s20, v10
	global_store_short v[14:15], v10, off
.LBB171_24:
	s_or_b64 exec, exec, s[2:3]
	v_add_co_u32_e64 v4, s[0:1], 16, v4
	v_addc_co_u32_e64 v5, s[0:1], 0, v5, s[0:1]
	v_cmp_gt_i64_e64 s[0:1], s[36:37], v[4:5]
	s_and_saveexec_b64 s[4:5], s[0:1]
	s_cbranch_execz .LBB171_26
; %bb.25:
	v_add_co_u32_e64 v4, s[2:3], v6, v2
	v_addc_co_u32_e64 v5, s[2:3], v7, v3, s[2:3]
	global_load_ushort v4, v[4:5], off offset:32
	v_lshrrev_b32_e32 v5, 16, v11
	s_waitcnt vmcnt(0)
	v_mul_f16_e32 v4, s21, v4
	v_fma_f16 v10, v5, s20, v4
	v_add_co_u32_e64 v4, s[2:3], v8, v2
	v_addc_co_u32_e64 v5, s[2:3], v9, v3, s[2:3]
	global_store_short v[4:5], v10, off offset:32
.LBB171_26:
	s_or_b64 exec, exec, s[4:5]
	v_add_co_u32_e64 v0, s[2:3], 16, v0
	v_addc_co_u32_e64 v1, s[2:3], 0, v1, s[2:3]
	v_cmp_gt_i64_e64 s[2:3], s[38:39], v[0:1]
	s_and_b64 exec, exec, s[2:3]
	s_cbranch_execz .LBB171_19
; %bb.27:
	s_lshl_b64 s[2:3], s[14:15], 5
	v_mov_b32_e32 v0, s3
	v_add_co_u32_e64 v1, s[2:3], s2, v6
	v_addc_co_u32_e64 v4, s[2:3], v7, v0, s[2:3]
	s_lshl_b64 s[2:3], s[28:29], 5
	v_mov_b32_e32 v0, s3
	v_add_co_u32_e64 v5, s[2:3], s2, v8
	v_addc_co_u32_e64 v6, s[2:3], v9, v0, s[2:3]
	v_add_co_u32_e64 v0, s[2:3], v1, v2
	v_addc_co_u32_e64 v1, s[2:3], v4, v3, s[2:3]
	;; [unrolled: 2-line block ×3, first 2 shown]
	s_and_saveexec_b64 s[2:3], vcc
	s_cbranch_execz .LBB171_29
; %bb.28:
	global_load_ushort v4, v[0:1], off
	s_waitcnt vmcnt(0)
	v_mul_f16_e32 v4, s21, v4
	v_fma_f16 v4, v12, s20, v4
	global_store_short v[2:3], v4, off
.LBB171_29:
	s_or_b64 exec, exec, s[2:3]
	s_and_b64 exec, exec, s[0:1]
	s_cbranch_execz .LBB171_19
; %bb.30:
	global_load_ushort v0, v[0:1], off offset:32
	v_lshrrev_b32_e32 v1, 16, v12
	s_waitcnt vmcnt(0)
	v_mul_f16_e32 v0, s21, v0
	v_fma_f16 v0, v1, s20, v0
	global_store_short v[2:3], v0, off offset:32
	s_endpgm
	.section	.rodata,"a",@progbits
	.p2align	6, 0x0
	.amdhsa_kernel _ZN12_GLOBAL__N_135rocblas_gemm_batched_general_kernelIDF16_Li16ELi16ELi32ELi32ELi8ELi32ELi8ELi8ELi32ELc67ELc84EKPKDF16_S3_KPDF16_EEvlllT_PT11_llS8_llS6_PT12_llPT13_lli
		.amdhsa_group_segment_fixed_size 1024
		.amdhsa_private_segment_fixed_size 0
		.amdhsa_kernarg_size 140
		.amdhsa_user_sgpr_count 6
		.amdhsa_user_sgpr_private_segment_buffer 1
		.amdhsa_user_sgpr_dispatch_ptr 0
		.amdhsa_user_sgpr_queue_ptr 0
		.amdhsa_user_sgpr_kernarg_segment_ptr 1
		.amdhsa_user_sgpr_dispatch_id 0
		.amdhsa_user_sgpr_flat_scratch_init 0
		.amdhsa_user_sgpr_kernarg_preload_length 0
		.amdhsa_user_sgpr_kernarg_preload_offset 0
		.amdhsa_user_sgpr_private_segment_size 0
		.amdhsa_uses_dynamic_stack 0
		.amdhsa_system_sgpr_private_segment_wavefront_offset 0
		.amdhsa_system_sgpr_workgroup_id_x 1
		.amdhsa_system_sgpr_workgroup_id_y 1
		.amdhsa_system_sgpr_workgroup_id_z 1
		.amdhsa_system_sgpr_workgroup_info 0
		.amdhsa_system_vgpr_workitem_id 1
		.amdhsa_next_free_vgpr 41
		.amdhsa_next_free_sgpr 46
		.amdhsa_accum_offset 44
		.amdhsa_reserve_vcc 1
		.amdhsa_reserve_flat_scratch 0
		.amdhsa_float_round_mode_32 0
		.amdhsa_float_round_mode_16_64 0
		.amdhsa_float_denorm_mode_32 3
		.amdhsa_float_denorm_mode_16_64 3
		.amdhsa_dx10_clamp 1
		.amdhsa_ieee_mode 1
		.amdhsa_fp16_overflow 0
		.amdhsa_tg_split 0
		.amdhsa_exception_fp_ieee_invalid_op 0
		.amdhsa_exception_fp_denorm_src 0
		.amdhsa_exception_fp_ieee_div_zero 0
		.amdhsa_exception_fp_ieee_overflow 0
		.amdhsa_exception_fp_ieee_underflow 0
		.amdhsa_exception_fp_ieee_inexact 0
		.amdhsa_exception_int_div_zero 0
	.end_amdhsa_kernel
	.section	.text._ZN12_GLOBAL__N_135rocblas_gemm_batched_general_kernelIDF16_Li16ELi16ELi32ELi32ELi8ELi32ELi8ELi8ELi32ELc67ELc84EKPKDF16_S3_KPDF16_EEvlllT_PT11_llS8_llS6_PT12_llPT13_lli,"axG",@progbits,_ZN12_GLOBAL__N_135rocblas_gemm_batched_general_kernelIDF16_Li16ELi16ELi32ELi32ELi8ELi32ELi8ELi8ELi32ELc67ELc84EKPKDF16_S3_KPDF16_EEvlllT_PT11_llS8_llS6_PT12_llPT13_lli,comdat
.Lfunc_end171:
	.size	_ZN12_GLOBAL__N_135rocblas_gemm_batched_general_kernelIDF16_Li16ELi16ELi32ELi32ELi8ELi32ELi8ELi8ELi32ELc67ELc84EKPKDF16_S3_KPDF16_EEvlllT_PT11_llS8_llS6_PT12_llPT13_lli, .Lfunc_end171-_ZN12_GLOBAL__N_135rocblas_gemm_batched_general_kernelIDF16_Li16ELi16ELi32ELi32ELi8ELi32ELi8ELi8ELi32ELc67ELc84EKPKDF16_S3_KPDF16_EEvlllT_PT11_llS8_llS6_PT12_llPT13_lli
                                        ; -- End function
	.section	.AMDGPU.csdata,"",@progbits
; Kernel info:
; codeLenInByte = 2132
; NumSgprs: 50
; NumVgprs: 41
; NumAgprs: 0
; TotalNumVgprs: 41
; ScratchSize: 0
; MemoryBound: 0
; FloatMode: 240
; IeeeMode: 1
; LDSByteSize: 1024 bytes/workgroup (compile time only)
; SGPRBlocks: 6
; VGPRBlocks: 5
; NumSGPRsForWavesPerEU: 50
; NumVGPRsForWavesPerEU: 41
; AccumOffset: 44
; Occupancy: 8
; WaveLimiterHint : 1
; COMPUTE_PGM_RSRC2:SCRATCH_EN: 0
; COMPUTE_PGM_RSRC2:USER_SGPR: 6
; COMPUTE_PGM_RSRC2:TRAP_HANDLER: 0
; COMPUTE_PGM_RSRC2:TGID_X_EN: 1
; COMPUTE_PGM_RSRC2:TGID_Y_EN: 1
; COMPUTE_PGM_RSRC2:TGID_Z_EN: 1
; COMPUTE_PGM_RSRC2:TIDIG_COMP_CNT: 1
; COMPUTE_PGM_RSRC3_GFX90A:ACCUM_OFFSET: 10
; COMPUTE_PGM_RSRC3_GFX90A:TG_SPLIT: 0
	.section	.text._ZN12_GLOBAL__N_135rocblas_gemm_batched_general_kernelIDF16_Li16ELi16ELi32ELi32ELi8ELi32ELi8ELi8ELi32ELc78ELc67EKPKDF16_S3_KPDF16_EEvlllT_PT11_llS8_llS6_PT12_llPT13_lli,"axG",@progbits,_ZN12_GLOBAL__N_135rocblas_gemm_batched_general_kernelIDF16_Li16ELi16ELi32ELi32ELi8ELi32ELi8ELi8ELi32ELc78ELc67EKPKDF16_S3_KPDF16_EEvlllT_PT11_llS8_llS6_PT12_llPT13_lli,comdat
	.globl	_ZN12_GLOBAL__N_135rocblas_gemm_batched_general_kernelIDF16_Li16ELi16ELi32ELi32ELi8ELi32ELi8ELi8ELi32ELc78ELc67EKPKDF16_S3_KPDF16_EEvlllT_PT11_llS8_llS6_PT12_llPT13_lli ; -- Begin function _ZN12_GLOBAL__N_135rocblas_gemm_batched_general_kernelIDF16_Li16ELi16ELi32ELi32ELi8ELi32ELi8ELi8ELi32ELc78ELc67EKPKDF16_S3_KPDF16_EEvlllT_PT11_llS8_llS6_PT12_llPT13_lli
	.p2align	8
	.type	_ZN12_GLOBAL__N_135rocblas_gemm_batched_general_kernelIDF16_Li16ELi16ELi32ELi32ELi8ELi32ELi8ELi8ELi32ELc78ELc67EKPKDF16_S3_KPDF16_EEvlllT_PT11_llS8_llS6_PT12_llPT13_lli,@function
_ZN12_GLOBAL__N_135rocblas_gemm_batched_general_kernelIDF16_Li16ELi16ELi32ELi32ELi8ELi32ELi8ELi8ELi32ELc78ELc67EKPKDF16_S3_KPDF16_EEvlllT_PT11_llS8_llS6_PT12_llPT13_lli: ; @_ZN12_GLOBAL__N_135rocblas_gemm_batched_general_kernelIDF16_Li16ELi16ELi32ELi32ELi8ELi32ELi8ELi8ELi32ELc78ELc67EKPKDF16_S3_KPDF16_EEvlllT_PT11_llS8_llS6_PT12_llPT13_lli
; %bb.0:
	s_load_dwordx4 s[36:39], s[4:5], 0x0
	s_load_dwordx2 s[34:35], s[4:5], 0x10
	s_load_dwordx4 s[28:31], s[4:5], 0x78
	s_load_dwordx8 s[12:19], s[4:5], 0x58
	s_mov_b32 s9, 0
	s_lshl_b64 s[0:1], s[8:9], 3
	s_mov_b32 s44, s7
	v_and_b32_e32 v10, 0x3ff, v0
	s_waitcnt lgkmcnt(0)
	s_add_u32 s2, s12, s0
	s_addc_u32 s3, s13, s1
	s_load_dwordx2 s[12:13], s[2:3], 0x0
	s_add_u32 s2, s18, s0
	s_addc_u32 s3, s19, s1
	s_load_dwordx2 s[40:41], s[2:3], 0x0
	s_ashr_i32 s7, s6, 31
	s_ashr_i32 s45, s44, 31
	v_cmp_lt_i64_e64 s[2:3], s[34:35], 1
	v_bfe_u32 v1, v0, 10, 10
	s_lshl_b64 s[18:19], s[6:7], 5
	s_lshl_b64 s[42:43], s[44:45], 5
	s_and_b64 vcc, exec, s[2:3]
	v_mov_b32_e32 v12, 0
	v_mov_b32_e32 v11, 0
	s_cbranch_vccnz .LBB172_7
; %bb.1:
	s_load_dwordx8 s[20:27], s[4:5], 0x20
	s_load_dwordx4 s[8:11], s[4:5], 0x40
	v_lshlrev_b32_e32 v8, 4, v1
	v_add_u32_e32 v3, v8, v10
	v_lshrrev_b32_e32 v9, 3, v3
	s_waitcnt lgkmcnt(0)
	s_add_u32 s2, s26, s0
	v_mov_b32_e32 v5, s43
	v_add_co_u32_e32 v4, vcc, s42, v9
	s_addc_u32 s3, s27, s1
	v_and_b32_e32 v2, 7, v10
	v_addc_co_u32_e32 v5, vcc, 0, v5, vcc
	s_load_dwordx2 s[26:27], s[2:3], 0x0
	v_cmp_gt_i64_e64 s[2:3], s[38:39], v[4:5]
	v_lshlrev_b32_e32 v4, 1, v2
	v_lshrrev_b32_e32 v0, 5, v3
	s_add_u32 s0, s20, s0
	v_and_b32_e32 v3, 31, v3
	v_lshl_or_b32 v4, v9, 4, v4
	s_addc_u32 s1, s21, s1
	v_mov_b32_e32 v7, s19
	v_or_b32_e32 v6, s18, v3
	v_add_u32_e32 v13, 0x200, v4
	v_mad_u64_u32 v[4:5], s[46:47], s8, v2, 0
	s_load_dwordx2 s[20:21], s[0:1], 0x0
	v_cmp_gt_i64_e64 s[0:1], s[36:37], v[6:7]
	v_mov_b32_e32 v6, v5
	v_mad_u64_u32 v[6:7], s[46:47], s9, v2, v[6:7]
	s_lshl_b64 s[44:45], s[44:45], 6
	s_lshl_b64 s[10:11], s[10:11], 1
	v_mov_b32_e32 v5, v6
	s_add_u32 s10, s10, s44
	v_lshlrev_b64 v[4:5], 1, v[4:5]
	s_addc_u32 s11, s11, s45
	v_mov_b32_e32 v6, s11
	v_add_co_u32_e32 v4, vcc, s10, v4
	v_addc_co_u32_e32 v5, vcc, v6, v5, vcc
	v_lshlrev_b32_e32 v6, 1, v9
	v_add_co_u32_e32 v4, vcc, v4, v6
	v_addc_co_u32_e32 v5, vcc, 0, v5, vcc
	s_waitcnt lgkmcnt(0)
	v_mov_b32_e32 v6, s27
	v_add_co_u32_e32 v4, vcc, s26, v4
	v_addc_co_u32_e32 v5, vcc, v6, v5, vcc
	v_mad_u64_u32 v[6:7], s[10:11], s22, v0, 0
	v_add_u32_e32 v15, 0x200, v8
	v_mov_b32_e32 v8, v7
	v_mad_u64_u32 v[8:9], s[10:11], s23, v0, v[8:9]
	s_lshl_b64 s[8:9], s[8:9], 4
	s_lshl_b64 s[6:7], s[6:7], 6
	;; [unrolled: 1-line block ×3, first 2 shown]
	v_mov_b32_e32 v7, v8
	s_add_u32 s6, s10, s6
	v_lshlrev_b64 v[6:7], 1, v[6:7]
	s_addc_u32 s7, s11, s7
	v_mov_b32_e32 v8, s7
	v_add_co_u32_e32 v6, vcc, s6, v6
	v_lshlrev_b32_e32 v12, 1, v3
	v_addc_co_u32_e32 v7, vcc, v8, v7, vcc
	v_add_co_u32_e32 v6, vcc, v6, v12
	v_addc_co_u32_e32 v7, vcc, 0, v7, vcc
	v_mov_b32_e32 v8, s21
	v_add_co_u32_e32 v6, vcc, s20, v6
	s_lshl_b64 s[6:7], s[22:23], 4
	v_mov_b32_e32 v11, 0
	v_lshl_or_b32 v3, v0, 6, v12
	v_lshlrev_b32_e32 v14, 1, v10
	v_addc_co_u32_e32 v7, vcc, v8, v7, vcc
	s_mov_b64 s[10:11], 0
	v_mov_b32_e32 v16, s9
	v_mov_b32_e32 v17, s7
	v_pk_mov_b32 v[8:9], s[34:35], s[34:35] op_sel:[0,1]
	v_mov_b32_e32 v12, 0
	s_branch .LBB172_3
.LBB172_2:                              ;   in Loop: Header=BB172_3 Depth=1
	s_or_b64 exec, exec, s[20:21]
	s_waitcnt vmcnt(0)
	ds_write_b16 v13, v18
	s_waitcnt lgkmcnt(0)
	s_barrier
	ds_read_b128 v[18:21], v15
	ds_read_b128 v[22:25], v15 offset:256
	ds_read_u16 v30, v14
	ds_read_u16 v31, v14 offset:32
	ds_read_u16 v32, v14 offset:64
	;; [unrolled: 1-line block ×7, first 2 shown]
	v_add_co_u32_e32 v4, vcc, s8, v4
	s_waitcnt lgkmcnt(7)
	v_fma_f16 v38, v30, v18, v11
	v_lshrrev_b32_e32 v11, 16, v11
	v_lshrrev_b32_e32 v26, 16, v18
	s_waitcnt lgkmcnt(6)
	v_fma_f16 v11, v31, v18, v11
	v_fma_f16 v30, v30, v22, v12
	v_lshrrev_b32_e32 v12, 16, v12
	v_lshrrev_b32_e32 v18, 16, v22
	v_fma_f16 v12, v31, v22, v12
	s_waitcnt lgkmcnt(5)
	v_fma_f16 v22, v32, v26, v38
	s_waitcnt lgkmcnt(4)
	v_fma_f16 v11, v33, v26, v11
	v_lshrrev_b32_e32 v27, 16, v19
	v_fma_f16 v26, v32, v18, v30
	v_fma_f16 v12, v33, v18, v12
	s_waitcnt lgkmcnt(3)
	v_fma_f16 v18, v34, v19, v22
	s_waitcnt lgkmcnt(2)
	v_fma_f16 v11, v35, v19, v11
	v_lshrrev_b32_e32 v39, 16, v23
	v_fma_f16 v19, v34, v23, v26
	v_fma_f16 v12, v35, v23, v12
	s_waitcnt lgkmcnt(1)
	v_fma_f16 v18, v36, v27, v18
	s_waitcnt lgkmcnt(0)
	v_fma_f16 v11, v37, v27, v11
	ds_read_u16 v22, v14 offset:256
	ds_read_u16 v23, v14 offset:288
	;; [unrolled: 1-line block ×8, first 2 shown]
	v_fma_f16 v19, v36, v39, v19
	v_fma_f16 v12, v37, v39, v12
	v_lshrrev_b32_e32 v28, 16, v20
	v_lshrrev_b32_e32 v40, 16, v24
	s_waitcnt lgkmcnt(7)
	v_fma_f16 v18, v22, v20, v18
	s_waitcnt lgkmcnt(6)
	v_fma_f16 v11, v23, v20, v11
	v_fma_f16 v19, v22, v24, v19
	;; [unrolled: 1-line block ×3, first 2 shown]
	v_addc_co_u32_e32 v5, vcc, v5, v16, vcc
	s_waitcnt lgkmcnt(5)
	v_fma_f16 v18, v26, v28, v18
	s_waitcnt lgkmcnt(4)
	v_fma_f16 v11, v27, v28, v11
	v_fma_f16 v19, v26, v40, v19
	;; [unrolled: 1-line block ×3, first 2 shown]
	s_add_u32 s10, s10, 8
	v_add_co_u32_e32 v6, vcc, s6, v6
	v_lshrrev_b32_e32 v29, 16, v21
	v_lshrrev_b32_e32 v41, 16, v25
	s_waitcnt lgkmcnt(3)
	v_fma_f16 v18, v30, v21, v18
	s_waitcnt lgkmcnt(2)
	v_fma_f16 v11, v31, v21, v11
	v_fma_f16 v19, v30, v25, v19
	;; [unrolled: 1-line block ×3, first 2 shown]
	s_addc_u32 s11, s11, 0
	v_addc_co_u32_e32 v7, vcc, v7, v17, vcc
	s_waitcnt lgkmcnt(1)
	v_fma_f16 v18, v32, v29, v18
	s_waitcnt lgkmcnt(0)
	v_fma_f16 v11, v33, v29, v11
	v_fma_f16 v19, v32, v41, v19
	;; [unrolled: 1-line block ×3, first 2 shown]
	v_cmp_lt_i64_e32 vcc, s[10:11], v[8:9]
	v_pack_b32_f16 v11, v18, v11
	v_pack_b32_f16 v12, v19, v12
	s_barrier
	s_cbranch_vccz .LBB172_7
.LBB172_3:                              ; =>This Inner Loop Header: Depth=1
	v_mov_b32_e32 v19, s11
	v_add_co_u32_e32 v18, vcc, s10, v0
	v_addc_co_u32_e32 v19, vcc, 0, v19, vcc
	v_cmp_gt_i64_e32 vcc, s[34:35], v[18:19]
	s_and_b64 s[22:23], s[0:1], vcc
	v_mov_b32_e32 v18, 0
	s_and_saveexec_b64 s[20:21], s[22:23]
	s_cbranch_execz .LBB172_5
; %bb.4:                                ;   in Loop: Header=BB172_3 Depth=1
	global_load_ushort v18, v[6:7], off
.LBB172_5:                              ;   in Loop: Header=BB172_3 Depth=1
	s_or_b64 exec, exec, s[20:21]
	s_waitcnt vmcnt(0)
	ds_write_b16 v3, v18
	v_mov_b32_e32 v19, s11
	v_add_co_u32_e32 v18, vcc, s10, v2
	v_addc_co_u32_e32 v19, vcc, 0, v19, vcc
	v_cmp_gt_i64_e32 vcc, s[34:35], v[18:19]
	s_and_b64 s[22:23], vcc, s[2:3]
	v_mov_b32_e32 v18, 0
	s_and_saveexec_b64 s[20:21], s[22:23]
	s_cbranch_execz .LBB172_2
; %bb.6:                                ;   in Loop: Header=BB172_3 Depth=1
	global_load_ushort v18, v[4:5], off
	s_branch .LBB172_2
.LBB172_7:
	s_load_dword s10, s[4:5], 0x18
	s_load_dword s11, s[4:5], 0x50
	s_lshl_b64 s[0:1], s[30:31], 1
	v_mov_b32_e32 v2, s43
	v_add_co_u32_e32 v0, vcc, s42, v1
	s_waitcnt lgkmcnt(0)
	s_add_u32 s20, s40, s0
	v_addc_co_u32_e32 v1, vcc, 0, v2, vcc
	v_cmp_neq_f16_e64 s[2:3], s11, 0
	s_addc_u32 s21, s41, s1
	v_cmp_gt_i64_e64 s[0:1], s[38:39], v[0:1]
	s_and_b64 vcc, exec, s[2:3]
	s_cbranch_vccnz .LBB172_20
; %bb.8:
	s_and_saveexec_b64 s[6:7], s[0:1]
	s_cbranch_execz .LBB172_18
; %bb.9:
	v_mov_b32_e32 v2, s19
	v_add_co_u32_e32 v4, vcc, s18, v10
	v_addc_co_u32_e32 v5, vcc, 0, v2, vcc
	v_mul_lo_u32 v6, v1, s28
	v_mul_lo_u32 v7, v0, s29
	v_mad_u64_u32 v[2:3], s[2:3], v0, s28, 0
	v_add3_u32 v3, v3, v7, v6
	v_lshlrev_b64 v[2:3], 1, v[2:3]
	v_mov_b32_e32 v7, s21
	v_add_co_u32_e64 v6, s[2:3], s20, v2
	v_cmp_gt_i64_e32 vcc, s[36:37], v[4:5]
	v_addc_co_u32_e64 v7, s[2:3], v7, v3, s[2:3]
	v_lshlrev_b64 v[2:3], 1, v[4:5]
	s_and_saveexec_b64 s[4:5], vcc
	s_cbranch_execz .LBB172_11
; %bb.10:
	v_add_co_u32_e64 v8, s[2:3], v6, v2
	v_addc_co_u32_e64 v9, s[2:3], v7, v3, s[2:3]
	v_mul_f16_e32 v13, s10, v11
	global_store_short v[8:9], v13, off
.LBB172_11:
	s_or_b64 exec, exec, s[4:5]
	v_add_co_u32_e64 v4, s[2:3], 16, v4
	v_addc_co_u32_e64 v5, s[2:3], 0, v5, s[2:3]
	v_cmp_gt_i64_e64 s[2:3], s[36:37], v[4:5]
	s_and_saveexec_b64 s[8:9], s[2:3]
	s_cbranch_execz .LBB172_13
; %bb.12:
	v_add_co_u32_e64 v4, s[4:5], v6, v2
	v_addc_co_u32_e64 v5, s[4:5], v7, v3, s[4:5]
	v_mul_f16_sdwa v8, v11, s10 dst_sel:DWORD dst_unused:UNUSED_PAD src0_sel:WORD_1 src1_sel:DWORD
	global_store_short v[4:5], v8, off offset:32
.LBB172_13:
	s_or_b64 exec, exec, s[8:9]
	v_add_co_u32_e64 v4, s[4:5], 16, v0
	v_addc_co_u32_e64 v5, s[4:5], 0, v1, s[4:5]
	v_cmp_gt_i64_e64 s[4:5], s[38:39], v[4:5]
	s_and_b64 exec, exec, s[4:5]
	s_cbranch_execz .LBB172_18
; %bb.14:
	s_lshl_b64 s[4:5], s[28:29], 5
	v_mov_b32_e32 v4, s5
	v_add_co_u32_e64 v5, s[4:5], s4, v6
	v_addc_co_u32_e64 v4, s[4:5], v7, v4, s[4:5]
	v_add_co_u32_e64 v2, s[4:5], v5, v2
	v_addc_co_u32_e64 v3, s[4:5], v4, v3, s[4:5]
	s_and_saveexec_b64 s[4:5], vcc
	s_cbranch_execz .LBB172_16
; %bb.15:
	v_mul_f16_e32 v4, s10, v12
	global_store_short v[2:3], v4, off
.LBB172_16:
	s_or_b64 exec, exec, s[4:5]
	s_and_b64 exec, exec, s[2:3]
	s_cbranch_execz .LBB172_18
; %bb.17:
	v_mul_f16_sdwa v4, v12, s10 dst_sel:DWORD dst_unused:UNUSED_PAD src0_sel:WORD_1 src1_sel:DWORD
	global_store_short v[2:3], v4, off offset:32
.LBB172_18:
	s_or_b64 exec, exec, s[6:7]
	s_cbranch_execz .LBB172_21
.LBB172_19:
	s_endpgm
.LBB172_20:
.LBB172_21:
	s_and_saveexec_b64 s[2:3], s[0:1]
	s_cbranch_execz .LBB172_19
; %bb.22:
	s_lshl_b64 s[0:1], s[16:17], 1
	s_add_u32 s2, s12, s0
	v_mov_b32_e32 v2, s19
	v_add_co_u32_e32 v4, vcc, s18, v10
	s_addc_u32 s3, s13, s1
	v_addc_co_u32_e32 v5, vcc, 0, v2, vcc
	v_mul_lo_u32 v6, v1, s14
	v_mul_lo_u32 v7, v0, s15
	v_mad_u64_u32 v[2:3], s[0:1], v0, s14, 0
	v_add3_u32 v3, v3, v7, v6
	v_mul_lo_u32 v6, v1, s28
	v_mul_lo_u32 v7, v0, s29
	v_mad_u64_u32 v[8:9], s[0:1], v0, s28, 0
	v_lshlrev_b64 v[2:3], 1, v[2:3]
	v_add3_u32 v9, v9, v7, v6
	v_mov_b32_e32 v7, s3
	v_add_co_u32_e64 v6, s[0:1], s2, v2
	v_addc_co_u32_e64 v7, s[0:1], v7, v3, s[0:1]
	v_lshlrev_b64 v[2:3], 1, v[8:9]
	v_mov_b32_e32 v9, s21
	v_add_co_u32_e64 v8, s[0:1], s20, v2
	v_cmp_gt_i64_e32 vcc, s[36:37], v[4:5]
	v_addc_co_u32_e64 v9, s[0:1], v9, v3, s[0:1]
	v_lshlrev_b64 v[2:3], 1, v[4:5]
	s_and_saveexec_b64 s[2:3], vcc
	s_cbranch_execz .LBB172_24
; %bb.23:
	v_add_co_u32_e64 v14, s[0:1], v6, v2
	v_addc_co_u32_e64 v15, s[0:1], v7, v3, s[0:1]
	global_load_ushort v10, v[14:15], off
	v_add_co_u32_e64 v14, s[0:1], v8, v2
	v_addc_co_u32_e64 v15, s[0:1], v9, v3, s[0:1]
	s_waitcnt vmcnt(0)
	v_mul_f16_e32 v10, s11, v10
	v_fma_f16 v10, v11, s10, v10
	global_store_short v[14:15], v10, off
.LBB172_24:
	s_or_b64 exec, exec, s[2:3]
	v_add_co_u32_e64 v4, s[0:1], 16, v4
	v_addc_co_u32_e64 v5, s[0:1], 0, v5, s[0:1]
	v_cmp_gt_i64_e64 s[0:1], s[36:37], v[4:5]
	s_and_saveexec_b64 s[4:5], s[0:1]
	s_cbranch_execz .LBB172_26
; %bb.25:
	v_add_co_u32_e64 v4, s[2:3], v6, v2
	v_addc_co_u32_e64 v5, s[2:3], v7, v3, s[2:3]
	global_load_ushort v4, v[4:5], off offset:32
	v_lshrrev_b32_e32 v5, 16, v11
	s_waitcnt vmcnt(0)
	v_mul_f16_e32 v4, s11, v4
	v_fma_f16 v10, v5, s10, v4
	v_add_co_u32_e64 v4, s[2:3], v8, v2
	v_addc_co_u32_e64 v5, s[2:3], v9, v3, s[2:3]
	global_store_short v[4:5], v10, off offset:32
.LBB172_26:
	s_or_b64 exec, exec, s[4:5]
	v_add_co_u32_e64 v0, s[2:3], 16, v0
	v_addc_co_u32_e64 v1, s[2:3], 0, v1, s[2:3]
	v_cmp_gt_i64_e64 s[2:3], s[38:39], v[0:1]
	s_and_b64 exec, exec, s[2:3]
	s_cbranch_execz .LBB172_19
; %bb.27:
	s_lshl_b64 s[2:3], s[14:15], 5
	v_mov_b32_e32 v0, s3
	v_add_co_u32_e64 v1, s[2:3], s2, v6
	v_addc_co_u32_e64 v4, s[2:3], v7, v0, s[2:3]
	s_lshl_b64 s[2:3], s[28:29], 5
	v_mov_b32_e32 v0, s3
	v_add_co_u32_e64 v5, s[2:3], s2, v8
	v_addc_co_u32_e64 v6, s[2:3], v9, v0, s[2:3]
	v_add_co_u32_e64 v0, s[2:3], v1, v2
	v_addc_co_u32_e64 v1, s[2:3], v4, v3, s[2:3]
	;; [unrolled: 2-line block ×3, first 2 shown]
	s_and_saveexec_b64 s[2:3], vcc
	s_cbranch_execz .LBB172_29
; %bb.28:
	global_load_ushort v4, v[0:1], off
	s_waitcnt vmcnt(0)
	v_mul_f16_e32 v4, s11, v4
	v_fma_f16 v4, v12, s10, v4
	global_store_short v[2:3], v4, off
.LBB172_29:
	s_or_b64 exec, exec, s[2:3]
	s_and_b64 exec, exec, s[0:1]
	s_cbranch_execz .LBB172_19
; %bb.30:
	global_load_ushort v0, v[0:1], off offset:32
	v_lshrrev_b32_e32 v1, 16, v12
	s_waitcnt vmcnt(0)
	v_mul_f16_e32 v0, s11, v0
	v_fma_f16 v0, v1, s10, v0
	global_store_short v[2:3], v0, off offset:32
	s_endpgm
	.section	.rodata,"a",@progbits
	.p2align	6, 0x0
	.amdhsa_kernel _ZN12_GLOBAL__N_135rocblas_gemm_batched_general_kernelIDF16_Li16ELi16ELi32ELi32ELi8ELi32ELi8ELi8ELi32ELc78ELc67EKPKDF16_S3_KPDF16_EEvlllT_PT11_llS8_llS6_PT12_llPT13_lli
		.amdhsa_group_segment_fixed_size 1024
		.amdhsa_private_segment_fixed_size 0
		.amdhsa_kernarg_size 140
		.amdhsa_user_sgpr_count 6
		.amdhsa_user_sgpr_private_segment_buffer 1
		.amdhsa_user_sgpr_dispatch_ptr 0
		.amdhsa_user_sgpr_queue_ptr 0
		.amdhsa_user_sgpr_kernarg_segment_ptr 1
		.amdhsa_user_sgpr_dispatch_id 0
		.amdhsa_user_sgpr_flat_scratch_init 0
		.amdhsa_user_sgpr_kernarg_preload_length 0
		.amdhsa_user_sgpr_kernarg_preload_offset 0
		.amdhsa_user_sgpr_private_segment_size 0
		.amdhsa_uses_dynamic_stack 0
		.amdhsa_system_sgpr_private_segment_wavefront_offset 0
		.amdhsa_system_sgpr_workgroup_id_x 1
		.amdhsa_system_sgpr_workgroup_id_y 1
		.amdhsa_system_sgpr_workgroup_id_z 1
		.amdhsa_system_sgpr_workgroup_info 0
		.amdhsa_system_vgpr_workitem_id 1
		.amdhsa_next_free_vgpr 42
		.amdhsa_next_free_sgpr 48
		.amdhsa_accum_offset 44
		.amdhsa_reserve_vcc 1
		.amdhsa_reserve_flat_scratch 0
		.amdhsa_float_round_mode_32 0
		.amdhsa_float_round_mode_16_64 0
		.amdhsa_float_denorm_mode_32 3
		.amdhsa_float_denorm_mode_16_64 3
		.amdhsa_dx10_clamp 1
		.amdhsa_ieee_mode 1
		.amdhsa_fp16_overflow 0
		.amdhsa_tg_split 0
		.amdhsa_exception_fp_ieee_invalid_op 0
		.amdhsa_exception_fp_denorm_src 0
		.amdhsa_exception_fp_ieee_div_zero 0
		.amdhsa_exception_fp_ieee_overflow 0
		.amdhsa_exception_fp_ieee_underflow 0
		.amdhsa_exception_fp_ieee_inexact 0
		.amdhsa_exception_int_div_zero 0
	.end_amdhsa_kernel
	.section	.text._ZN12_GLOBAL__N_135rocblas_gemm_batched_general_kernelIDF16_Li16ELi16ELi32ELi32ELi8ELi32ELi8ELi8ELi32ELc78ELc67EKPKDF16_S3_KPDF16_EEvlllT_PT11_llS8_llS6_PT12_llPT13_lli,"axG",@progbits,_ZN12_GLOBAL__N_135rocblas_gemm_batched_general_kernelIDF16_Li16ELi16ELi32ELi32ELi8ELi32ELi8ELi8ELi32ELc78ELc67EKPKDF16_S3_KPDF16_EEvlllT_PT11_llS8_llS6_PT12_llPT13_lli,comdat
.Lfunc_end172:
	.size	_ZN12_GLOBAL__N_135rocblas_gemm_batched_general_kernelIDF16_Li16ELi16ELi32ELi32ELi8ELi32ELi8ELi8ELi32ELc78ELc67EKPKDF16_S3_KPDF16_EEvlllT_PT11_llS8_llS6_PT12_llPT13_lli, .Lfunc_end172-_ZN12_GLOBAL__N_135rocblas_gemm_batched_general_kernelIDF16_Li16ELi16ELi32ELi32ELi8ELi32ELi8ELi8ELi32ELc78ELc67EKPKDF16_S3_KPDF16_EEvlllT_PT11_llS8_llS6_PT12_llPT13_lli
                                        ; -- End function
	.section	.AMDGPU.csdata,"",@progbits
; Kernel info:
; codeLenInByte = 2128
; NumSgprs: 52
; NumVgprs: 42
; NumAgprs: 0
; TotalNumVgprs: 42
; ScratchSize: 0
; MemoryBound: 0
; FloatMode: 240
; IeeeMode: 1
; LDSByteSize: 1024 bytes/workgroup (compile time only)
; SGPRBlocks: 6
; VGPRBlocks: 5
; NumSGPRsForWavesPerEU: 52
; NumVGPRsForWavesPerEU: 42
; AccumOffset: 44
; Occupancy: 8
; WaveLimiterHint : 1
; COMPUTE_PGM_RSRC2:SCRATCH_EN: 0
; COMPUTE_PGM_RSRC2:USER_SGPR: 6
; COMPUTE_PGM_RSRC2:TRAP_HANDLER: 0
; COMPUTE_PGM_RSRC2:TGID_X_EN: 1
; COMPUTE_PGM_RSRC2:TGID_Y_EN: 1
; COMPUTE_PGM_RSRC2:TGID_Z_EN: 1
; COMPUTE_PGM_RSRC2:TIDIG_COMP_CNT: 1
; COMPUTE_PGM_RSRC3_GFX90A:ACCUM_OFFSET: 10
; COMPUTE_PGM_RSRC3_GFX90A:TG_SPLIT: 0
	.section	.text._ZN12_GLOBAL__N_135rocblas_gemm_batched_general_kernelIDF16_Li16ELi16ELi32ELi32ELi8ELi32ELi8ELi8ELi32ELc84ELc67EKPKDF16_S3_KPDF16_EEvlllT_PT11_llS8_llS6_PT12_llPT13_lli,"axG",@progbits,_ZN12_GLOBAL__N_135rocblas_gemm_batched_general_kernelIDF16_Li16ELi16ELi32ELi32ELi8ELi32ELi8ELi8ELi32ELc84ELc67EKPKDF16_S3_KPDF16_EEvlllT_PT11_llS8_llS6_PT12_llPT13_lli,comdat
	.globl	_ZN12_GLOBAL__N_135rocblas_gemm_batched_general_kernelIDF16_Li16ELi16ELi32ELi32ELi8ELi32ELi8ELi8ELi32ELc84ELc67EKPKDF16_S3_KPDF16_EEvlllT_PT11_llS8_llS6_PT12_llPT13_lli ; -- Begin function _ZN12_GLOBAL__N_135rocblas_gemm_batched_general_kernelIDF16_Li16ELi16ELi32ELi32ELi8ELi32ELi8ELi8ELi32ELc84ELc67EKPKDF16_S3_KPDF16_EEvlllT_PT11_llS8_llS6_PT12_llPT13_lli
	.p2align	8
	.type	_ZN12_GLOBAL__N_135rocblas_gemm_batched_general_kernelIDF16_Li16ELi16ELi32ELi32ELi8ELi32ELi8ELi8ELi32ELc84ELc67EKPKDF16_S3_KPDF16_EEvlllT_PT11_llS8_llS6_PT12_llPT13_lli,@function
_ZN12_GLOBAL__N_135rocblas_gemm_batched_general_kernelIDF16_Li16ELi16ELi32ELi32ELi8ELi32ELi8ELi8ELi32ELc84ELc67EKPKDF16_S3_KPDF16_EEvlllT_PT11_llS8_llS6_PT12_llPT13_lli: ; @_ZN12_GLOBAL__N_135rocblas_gemm_batched_general_kernelIDF16_Li16ELi16ELi32ELi32ELi8ELi32ELi8ELi8ELi32ELc84ELc67EKPKDF16_S3_KPDF16_EEvlllT_PT11_llS8_llS6_PT12_llPT13_lli
; %bb.0:
	s_load_dwordx4 s[36:39], s[4:5], 0x0
	s_load_dwordx2 s[34:35], s[4:5], 0x10
	s_load_dwordx4 s[28:31], s[4:5], 0x78
	s_load_dwordx8 s[12:19], s[4:5], 0x58
	s_mov_b32 s9, 0
	s_lshl_b64 s[0:1], s[8:9], 3
	s_mov_b32 s42, s7
	v_and_b32_e32 v10, 0x3ff, v0
	s_waitcnt lgkmcnt(0)
	s_add_u32 s2, s12, s0
	s_addc_u32 s3, s13, s1
	s_load_dwordx2 s[12:13], s[2:3], 0x0
	s_add_u32 s2, s18, s0
	s_addc_u32 s3, s19, s1
	s_load_dwordx2 s[18:19], s[2:3], 0x0
	s_ashr_i32 s7, s6, 31
	s_ashr_i32 s43, s42, 31
	v_cmp_lt_i64_e64 s[2:3], s[34:35], 1
	v_bfe_u32 v1, v0, 10, 10
	s_lshl_b64 s[6:7], s[6:7], 5
	s_lshl_b64 s[40:41], s[42:43], 5
	s_and_b64 vcc, exec, s[2:3]
	v_mov_b32_e32 v12, 0
	v_mov_b32_e32 v11, 0
	s_cbranch_vccnz .LBB173_7
; %bb.1:
	s_load_dwordx8 s[20:27], s[4:5], 0x20
	s_load_dwordx4 s[8:11], s[4:5], 0x40
	v_lshlrev_b32_e32 v8, 4, v1
	v_add_u32_e32 v3, v8, v10
	v_lshrrev_b32_e32 v9, 3, v3
	s_waitcnt lgkmcnt(0)
	s_add_u32 s2, s26, s0
	v_mov_b32_e32 v5, s41
	v_add_co_u32_e32 v4, vcc, s40, v9
	s_addc_u32 s3, s27, s1
	v_and_b32_e32 v2, 7, v10
	v_addc_co_u32_e32 v5, vcc, 0, v5, vcc
	s_load_dwordx2 s[26:27], s[2:3], 0x0
	v_cmp_gt_i64_e64 s[2:3], s[38:39], v[4:5]
	v_lshlrev_b32_e32 v4, 1, v2
	s_add_u32 s0, s20, s0
	v_and_b32_e32 v12, 31, v3
	v_lshl_or_b32 v4, v9, 4, v4
	s_addc_u32 s1, s21, s1
	v_mov_b32_e32 v7, s7
	v_or_b32_e32 v6, s6, v12
	v_add_u32_e32 v13, 0x200, v4
	v_mad_u64_u32 v[4:5], s[44:45], s8, v2, 0
	s_load_dwordx2 s[20:21], s[0:1], 0x0
	v_cmp_gt_i64_e64 s[0:1], s[36:37], v[6:7]
	v_mov_b32_e32 v6, v5
	v_mad_u64_u32 v[6:7], s[44:45], s9, v2, v[6:7]
	s_lshl_b64 s[42:43], s[42:43], 6
	s_lshl_b64 s[10:11], s[10:11], 1
	v_mov_b32_e32 v5, v6
	s_add_u32 s10, s10, s42
	v_lshlrev_b64 v[4:5], 1, v[4:5]
	s_addc_u32 s11, s11, s43
	v_mov_b32_e32 v6, s11
	v_add_co_u32_e32 v4, vcc, s10, v4
	v_addc_co_u32_e32 v5, vcc, v6, v5, vcc
	v_lshlrev_b32_e32 v6, 1, v9
	v_add_co_u32_e32 v4, vcc, v4, v6
	v_addc_co_u32_e32 v5, vcc, 0, v5, vcc
	s_waitcnt lgkmcnt(0)
	v_mov_b32_e32 v6, s27
	v_add_co_u32_e32 v4, vcc, s26, v4
	v_addc_co_u32_e32 v5, vcc, v6, v5, vcc
	v_mov_b32_e32 v6, s7
	v_add_co_u32_e32 v7, vcc, s6, v12
	v_addc_co_u32_e32 v6, vcc, 0, v6, vcc
	v_add_u32_e32 v15, 0x200, v8
	v_mul_lo_u32 v8, s23, v7
	v_mul_lo_u32 v9, s22, v6
	v_mad_u64_u32 v[6:7], s[10:11], s22, v7, 0
	v_add3_u32 v7, v7, v9, v8
	v_lshlrev_b64 v[6:7], 1, v[6:7]
	s_lshl_b64 s[10:11], s[24:25], 1
	v_lshrrev_b32_e32 v0, 5, v3
	v_mov_b32_e32 v8, s11
	v_add_co_u32_e32 v6, vcc, s10, v6
	v_addc_co_u32_e32 v7, vcc, v7, v8, vcc
	v_lshlrev_b32_e32 v8, 1, v0
	v_add_co_u32_e32 v6, vcc, v6, v8
	v_addc_co_u32_e32 v7, vcc, 0, v7, vcc
	v_lshlrev_b32_e32 v3, 1, v12
	s_lshl_b64 s[8:9], s[8:9], 4
	v_mov_b32_e32 v8, s21
	v_add_co_u32_e32 v6, vcc, s20, v6
	v_mov_b32_e32 v11, 0
	v_lshl_or_b32 v3, v0, 6, v3
	v_lshlrev_b32_e32 v14, 1, v10
	v_addc_co_u32_e32 v7, vcc, v8, v7, vcc
	s_mov_b64 s[10:11], 0
	v_mov_b32_e32 v16, s9
	v_pk_mov_b32 v[8:9], s[34:35], s[34:35] op_sel:[0,1]
	v_mov_b32_e32 v12, 0
	s_branch .LBB173_3
.LBB173_2:                              ;   in Loop: Header=BB173_3 Depth=1
	s_or_b64 exec, exec, s[20:21]
	s_waitcnt vmcnt(0)
	ds_write_b16 v13, v17
	s_waitcnt lgkmcnt(0)
	s_barrier
	ds_read_b128 v[18:21], v15
	ds_read_b128 v[22:25], v15 offset:256
	ds_read_u16 v29, v14
	ds_read_u16 v30, v14 offset:32
	ds_read_u16 v31, v14 offset:64
	;; [unrolled: 1-line block ×7, first 2 shown]
	v_add_co_u32_e32 v4, vcc, s8, v4
	s_waitcnt lgkmcnt(7)
	v_fma_f16 v37, v29, v18, v11
	v_lshrrev_b32_e32 v11, 16, v11
	v_lshrrev_b32_e32 v17, 16, v18
	s_waitcnt lgkmcnt(6)
	v_fma_f16 v11, v30, v18, v11
	v_fma_f16 v29, v29, v22, v12
	v_lshrrev_b32_e32 v12, 16, v12
	v_lshrrev_b32_e32 v18, 16, v22
	v_fma_f16 v12, v30, v22, v12
	s_waitcnt lgkmcnt(5)
	v_fma_f16 v22, v31, v17, v37
	s_waitcnt lgkmcnt(4)
	v_fma_f16 v11, v32, v17, v11
	v_lshrrev_b32_e32 v26, 16, v19
	v_fma_f16 v17, v31, v18, v29
	v_fma_f16 v12, v32, v18, v12
	s_waitcnt lgkmcnt(3)
	v_fma_f16 v18, v33, v19, v22
	s_waitcnt lgkmcnt(2)
	v_fma_f16 v11, v34, v19, v11
	v_lshrrev_b32_e32 v38, 16, v23
	v_fma_f16 v17, v33, v23, v17
	v_fma_f16 v12, v34, v23, v12
	s_waitcnt lgkmcnt(1)
	v_fma_f16 v18, v35, v26, v18
	s_waitcnt lgkmcnt(0)
	v_fma_f16 v11, v36, v26, v11
	ds_read_u16 v19, v14 offset:256
	ds_read_u16 v22, v14 offset:288
	;; [unrolled: 1-line block ×8, first 2 shown]
	v_fma_f16 v17, v35, v38, v17
	v_fma_f16 v12, v36, v38, v12
	v_lshrrev_b32_e32 v27, 16, v20
	v_lshrrev_b32_e32 v39, 16, v24
	s_waitcnt lgkmcnt(7)
	v_fma_f16 v18, v19, v20, v18
	s_waitcnt lgkmcnt(6)
	v_fma_f16 v11, v22, v20, v11
	v_fma_f16 v17, v19, v24, v17
	;; [unrolled: 1-line block ×3, first 2 shown]
	v_addc_co_u32_e32 v5, vcc, v5, v16, vcc
	s_waitcnt lgkmcnt(5)
	v_fma_f16 v18, v23, v27, v18
	s_waitcnt lgkmcnt(4)
	v_fma_f16 v11, v26, v27, v11
	v_fma_f16 v17, v23, v39, v17
	;; [unrolled: 1-line block ×3, first 2 shown]
	s_add_u32 s10, s10, 8
	v_add_co_u32_e32 v6, vcc, 16, v6
	v_lshrrev_b32_e32 v28, 16, v21
	v_lshrrev_b32_e32 v40, 16, v25
	s_waitcnt lgkmcnt(3)
	v_fma_f16 v18, v29, v21, v18
	s_waitcnt lgkmcnt(2)
	v_fma_f16 v11, v30, v21, v11
	v_fma_f16 v17, v29, v25, v17
	;; [unrolled: 1-line block ×3, first 2 shown]
	s_addc_u32 s11, s11, 0
	v_addc_co_u32_e32 v7, vcc, 0, v7, vcc
	s_waitcnt lgkmcnt(1)
	v_fma_f16 v18, v31, v28, v18
	s_waitcnt lgkmcnt(0)
	v_fma_f16 v11, v32, v28, v11
	v_fma_f16 v17, v31, v40, v17
	;; [unrolled: 1-line block ×3, first 2 shown]
	v_cmp_lt_i64_e32 vcc, s[10:11], v[8:9]
	v_pack_b32_f16 v11, v18, v11
	v_pack_b32_f16 v12, v17, v12
	s_barrier
	s_cbranch_vccz .LBB173_7
.LBB173_3:                              ; =>This Inner Loop Header: Depth=1
	v_mov_b32_e32 v17, s11
	v_add_co_u32_e32 v18, vcc, s10, v0
	v_addc_co_u32_e32 v19, vcc, 0, v17, vcc
	v_cmp_gt_i64_e32 vcc, s[34:35], v[18:19]
	s_and_b64 s[22:23], s[0:1], vcc
	v_mov_b32_e32 v17, 0
	s_and_saveexec_b64 s[20:21], s[22:23]
	s_cbranch_execz .LBB173_5
; %bb.4:                                ;   in Loop: Header=BB173_3 Depth=1
	global_load_ushort v17, v[6:7], off
.LBB173_5:                              ;   in Loop: Header=BB173_3 Depth=1
	s_or_b64 exec, exec, s[20:21]
	s_waitcnt vmcnt(0)
	ds_write_b16 v3, v17
	v_mov_b32_e32 v17, s11
	v_add_co_u32_e32 v18, vcc, s10, v2
	v_addc_co_u32_e32 v19, vcc, 0, v17, vcc
	v_cmp_gt_i64_e32 vcc, s[34:35], v[18:19]
	s_and_b64 s[22:23], vcc, s[2:3]
	v_mov_b32_e32 v17, 0
	s_and_saveexec_b64 s[20:21], s[22:23]
	s_cbranch_execz .LBB173_2
; %bb.6:                                ;   in Loop: Header=BB173_3 Depth=1
	global_load_ushort v17, v[4:5], off
	s_branch .LBB173_2
.LBB173_7:
	s_load_dword s20, s[4:5], 0x18
	s_load_dword s21, s[4:5], 0x50
	s_lshl_b64 s[0:1], s[30:31], 1
	v_mov_b32_e32 v2, s41
	v_add_co_u32_e32 v0, vcc, s40, v1
	s_waitcnt lgkmcnt(0)
	s_add_u32 s18, s18, s0
	v_addc_co_u32_e32 v1, vcc, 0, v2, vcc
	v_cmp_neq_f16_e64 s[2:3], s21, 0
	s_addc_u32 s19, s19, s1
	v_cmp_gt_i64_e64 s[0:1], s[38:39], v[0:1]
	s_and_b64 vcc, exec, s[2:3]
	s_cbranch_vccnz .LBB173_20
; %bb.8:
	s_and_saveexec_b64 s[8:9], s[0:1]
	s_cbranch_execz .LBB173_18
; %bb.9:
	v_mov_b32_e32 v2, s7
	v_add_co_u32_e32 v4, vcc, s6, v10
	v_addc_co_u32_e32 v5, vcc, 0, v2, vcc
	v_mul_lo_u32 v6, v1, s28
	v_mul_lo_u32 v7, v0, s29
	v_mad_u64_u32 v[2:3], s[2:3], v0, s28, 0
	v_add3_u32 v3, v3, v7, v6
	v_lshlrev_b64 v[2:3], 1, v[2:3]
	v_mov_b32_e32 v7, s19
	v_add_co_u32_e64 v6, s[2:3], s18, v2
	v_cmp_gt_i64_e32 vcc, s[36:37], v[4:5]
	v_addc_co_u32_e64 v7, s[2:3], v7, v3, s[2:3]
	v_lshlrev_b64 v[2:3], 1, v[4:5]
	s_and_saveexec_b64 s[4:5], vcc
	s_cbranch_execz .LBB173_11
; %bb.10:
	v_add_co_u32_e64 v8, s[2:3], v6, v2
	v_addc_co_u32_e64 v9, s[2:3], v7, v3, s[2:3]
	v_mul_f16_e32 v13, s20, v11
	global_store_short v[8:9], v13, off
.LBB173_11:
	s_or_b64 exec, exec, s[4:5]
	v_add_co_u32_e64 v4, s[2:3], 16, v4
	v_addc_co_u32_e64 v5, s[2:3], 0, v5, s[2:3]
	v_cmp_gt_i64_e64 s[2:3], s[36:37], v[4:5]
	s_and_saveexec_b64 s[10:11], s[2:3]
	s_cbranch_execz .LBB173_13
; %bb.12:
	v_add_co_u32_e64 v4, s[4:5], v6, v2
	v_addc_co_u32_e64 v5, s[4:5], v7, v3, s[4:5]
	v_mul_f16_sdwa v8, v11, s20 dst_sel:DWORD dst_unused:UNUSED_PAD src0_sel:WORD_1 src1_sel:DWORD
	global_store_short v[4:5], v8, off offset:32
.LBB173_13:
	s_or_b64 exec, exec, s[10:11]
	v_add_co_u32_e64 v4, s[4:5], 16, v0
	v_addc_co_u32_e64 v5, s[4:5], 0, v1, s[4:5]
	v_cmp_gt_i64_e64 s[4:5], s[38:39], v[4:5]
	s_and_b64 exec, exec, s[4:5]
	s_cbranch_execz .LBB173_18
; %bb.14:
	s_lshl_b64 s[4:5], s[28:29], 5
	v_mov_b32_e32 v4, s5
	v_add_co_u32_e64 v5, s[4:5], s4, v6
	v_addc_co_u32_e64 v4, s[4:5], v7, v4, s[4:5]
	v_add_co_u32_e64 v2, s[4:5], v5, v2
	v_addc_co_u32_e64 v3, s[4:5], v4, v3, s[4:5]
	s_and_saveexec_b64 s[4:5], vcc
	s_cbranch_execz .LBB173_16
; %bb.15:
	v_mul_f16_e32 v4, s20, v12
	global_store_short v[2:3], v4, off
.LBB173_16:
	s_or_b64 exec, exec, s[4:5]
	s_and_b64 exec, exec, s[2:3]
	s_cbranch_execz .LBB173_18
; %bb.17:
	v_mul_f16_sdwa v4, v12, s20 dst_sel:DWORD dst_unused:UNUSED_PAD src0_sel:WORD_1 src1_sel:DWORD
	global_store_short v[2:3], v4, off offset:32
.LBB173_18:
	s_or_b64 exec, exec, s[8:9]
	s_cbranch_execz .LBB173_21
.LBB173_19:
	s_endpgm
.LBB173_20:
.LBB173_21:
	s_and_saveexec_b64 s[2:3], s[0:1]
	s_cbranch_execz .LBB173_19
; %bb.22:
	s_lshl_b64 s[0:1], s[16:17], 1
	s_add_u32 s2, s12, s0
	v_mov_b32_e32 v2, s7
	v_add_co_u32_e32 v4, vcc, s6, v10
	s_addc_u32 s3, s13, s1
	v_addc_co_u32_e32 v5, vcc, 0, v2, vcc
	v_mul_lo_u32 v6, v1, s14
	v_mul_lo_u32 v7, v0, s15
	v_mad_u64_u32 v[2:3], s[0:1], v0, s14, 0
	v_add3_u32 v3, v3, v7, v6
	v_mul_lo_u32 v6, v1, s28
	v_mul_lo_u32 v7, v0, s29
	v_mad_u64_u32 v[8:9], s[0:1], v0, s28, 0
	v_lshlrev_b64 v[2:3], 1, v[2:3]
	v_add3_u32 v9, v9, v7, v6
	v_mov_b32_e32 v7, s3
	v_add_co_u32_e64 v6, s[0:1], s2, v2
	v_addc_co_u32_e64 v7, s[0:1], v7, v3, s[0:1]
	v_lshlrev_b64 v[2:3], 1, v[8:9]
	v_mov_b32_e32 v9, s19
	v_add_co_u32_e64 v8, s[0:1], s18, v2
	v_cmp_gt_i64_e32 vcc, s[36:37], v[4:5]
	v_addc_co_u32_e64 v9, s[0:1], v9, v3, s[0:1]
	v_lshlrev_b64 v[2:3], 1, v[4:5]
	s_and_saveexec_b64 s[2:3], vcc
	s_cbranch_execz .LBB173_24
; %bb.23:
	v_add_co_u32_e64 v14, s[0:1], v6, v2
	v_addc_co_u32_e64 v15, s[0:1], v7, v3, s[0:1]
	global_load_ushort v10, v[14:15], off
	v_add_co_u32_e64 v14, s[0:1], v8, v2
	v_addc_co_u32_e64 v15, s[0:1], v9, v3, s[0:1]
	s_waitcnt vmcnt(0)
	v_mul_f16_e32 v10, s21, v10
	v_fma_f16 v10, v11, s20, v10
	global_store_short v[14:15], v10, off
.LBB173_24:
	s_or_b64 exec, exec, s[2:3]
	v_add_co_u32_e64 v4, s[0:1], 16, v4
	v_addc_co_u32_e64 v5, s[0:1], 0, v5, s[0:1]
	v_cmp_gt_i64_e64 s[0:1], s[36:37], v[4:5]
	s_and_saveexec_b64 s[4:5], s[0:1]
	s_cbranch_execz .LBB173_26
; %bb.25:
	v_add_co_u32_e64 v4, s[2:3], v6, v2
	v_addc_co_u32_e64 v5, s[2:3], v7, v3, s[2:3]
	global_load_ushort v4, v[4:5], off offset:32
	v_lshrrev_b32_e32 v5, 16, v11
	s_waitcnt vmcnt(0)
	v_mul_f16_e32 v4, s21, v4
	v_fma_f16 v10, v5, s20, v4
	v_add_co_u32_e64 v4, s[2:3], v8, v2
	v_addc_co_u32_e64 v5, s[2:3], v9, v3, s[2:3]
	global_store_short v[4:5], v10, off offset:32
.LBB173_26:
	s_or_b64 exec, exec, s[4:5]
	v_add_co_u32_e64 v0, s[2:3], 16, v0
	v_addc_co_u32_e64 v1, s[2:3], 0, v1, s[2:3]
	v_cmp_gt_i64_e64 s[2:3], s[38:39], v[0:1]
	s_and_b64 exec, exec, s[2:3]
	s_cbranch_execz .LBB173_19
; %bb.27:
	s_lshl_b64 s[2:3], s[14:15], 5
	v_mov_b32_e32 v0, s3
	v_add_co_u32_e64 v1, s[2:3], s2, v6
	v_addc_co_u32_e64 v4, s[2:3], v7, v0, s[2:3]
	s_lshl_b64 s[2:3], s[28:29], 5
	v_mov_b32_e32 v0, s3
	v_add_co_u32_e64 v5, s[2:3], s2, v8
	v_addc_co_u32_e64 v6, s[2:3], v9, v0, s[2:3]
	v_add_co_u32_e64 v0, s[2:3], v1, v2
	v_addc_co_u32_e64 v1, s[2:3], v4, v3, s[2:3]
	;; [unrolled: 2-line block ×3, first 2 shown]
	s_and_saveexec_b64 s[2:3], vcc
	s_cbranch_execz .LBB173_29
; %bb.28:
	global_load_ushort v4, v[0:1], off
	s_waitcnt vmcnt(0)
	v_mul_f16_e32 v4, s21, v4
	v_fma_f16 v4, v12, s20, v4
	global_store_short v[2:3], v4, off
.LBB173_29:
	s_or_b64 exec, exec, s[2:3]
	s_and_b64 exec, exec, s[0:1]
	s_cbranch_execz .LBB173_19
; %bb.30:
	global_load_ushort v0, v[0:1], off offset:32
	v_lshrrev_b32_e32 v1, 16, v12
	s_waitcnt vmcnt(0)
	v_mul_f16_e32 v0, s21, v0
	v_fma_f16 v0, v1, s20, v0
	global_store_short v[2:3], v0, off offset:32
	s_endpgm
	.section	.rodata,"a",@progbits
	.p2align	6, 0x0
	.amdhsa_kernel _ZN12_GLOBAL__N_135rocblas_gemm_batched_general_kernelIDF16_Li16ELi16ELi32ELi32ELi8ELi32ELi8ELi8ELi32ELc84ELc67EKPKDF16_S3_KPDF16_EEvlllT_PT11_llS8_llS6_PT12_llPT13_lli
		.amdhsa_group_segment_fixed_size 1024
		.amdhsa_private_segment_fixed_size 0
		.amdhsa_kernarg_size 140
		.amdhsa_user_sgpr_count 6
		.amdhsa_user_sgpr_private_segment_buffer 1
		.amdhsa_user_sgpr_dispatch_ptr 0
		.amdhsa_user_sgpr_queue_ptr 0
		.amdhsa_user_sgpr_kernarg_segment_ptr 1
		.amdhsa_user_sgpr_dispatch_id 0
		.amdhsa_user_sgpr_flat_scratch_init 0
		.amdhsa_user_sgpr_kernarg_preload_length 0
		.amdhsa_user_sgpr_kernarg_preload_offset 0
		.amdhsa_user_sgpr_private_segment_size 0
		.amdhsa_uses_dynamic_stack 0
		.amdhsa_system_sgpr_private_segment_wavefront_offset 0
		.amdhsa_system_sgpr_workgroup_id_x 1
		.amdhsa_system_sgpr_workgroup_id_y 1
		.amdhsa_system_sgpr_workgroup_id_z 1
		.amdhsa_system_sgpr_workgroup_info 0
		.amdhsa_system_vgpr_workitem_id 1
		.amdhsa_next_free_vgpr 41
		.amdhsa_next_free_sgpr 46
		.amdhsa_accum_offset 44
		.amdhsa_reserve_vcc 1
		.amdhsa_reserve_flat_scratch 0
		.amdhsa_float_round_mode_32 0
		.amdhsa_float_round_mode_16_64 0
		.amdhsa_float_denorm_mode_32 3
		.amdhsa_float_denorm_mode_16_64 3
		.amdhsa_dx10_clamp 1
		.amdhsa_ieee_mode 1
		.amdhsa_fp16_overflow 0
		.amdhsa_tg_split 0
		.amdhsa_exception_fp_ieee_invalid_op 0
		.amdhsa_exception_fp_denorm_src 0
		.amdhsa_exception_fp_ieee_div_zero 0
		.amdhsa_exception_fp_ieee_overflow 0
		.amdhsa_exception_fp_ieee_underflow 0
		.amdhsa_exception_fp_ieee_inexact 0
		.amdhsa_exception_int_div_zero 0
	.end_amdhsa_kernel
	.section	.text._ZN12_GLOBAL__N_135rocblas_gemm_batched_general_kernelIDF16_Li16ELi16ELi32ELi32ELi8ELi32ELi8ELi8ELi32ELc84ELc67EKPKDF16_S3_KPDF16_EEvlllT_PT11_llS8_llS6_PT12_llPT13_lli,"axG",@progbits,_ZN12_GLOBAL__N_135rocblas_gemm_batched_general_kernelIDF16_Li16ELi16ELi32ELi32ELi8ELi32ELi8ELi8ELi32ELc84ELc67EKPKDF16_S3_KPDF16_EEvlllT_PT11_llS8_llS6_PT12_llPT13_lli,comdat
.Lfunc_end173:
	.size	_ZN12_GLOBAL__N_135rocblas_gemm_batched_general_kernelIDF16_Li16ELi16ELi32ELi32ELi8ELi32ELi8ELi8ELi32ELc84ELc67EKPKDF16_S3_KPDF16_EEvlllT_PT11_llS8_llS6_PT12_llPT13_lli, .Lfunc_end173-_ZN12_GLOBAL__N_135rocblas_gemm_batched_general_kernelIDF16_Li16ELi16ELi32ELi32ELi8ELi32ELi8ELi8ELi32ELc84ELc67EKPKDF16_S3_KPDF16_EEvlllT_PT11_llS8_llS6_PT12_llPT13_lli
                                        ; -- End function
	.section	.AMDGPU.csdata,"",@progbits
; Kernel info:
; codeLenInByte = 2132
; NumSgprs: 50
; NumVgprs: 41
; NumAgprs: 0
; TotalNumVgprs: 41
; ScratchSize: 0
; MemoryBound: 0
; FloatMode: 240
; IeeeMode: 1
; LDSByteSize: 1024 bytes/workgroup (compile time only)
; SGPRBlocks: 6
; VGPRBlocks: 5
; NumSGPRsForWavesPerEU: 50
; NumVGPRsForWavesPerEU: 41
; AccumOffset: 44
; Occupancy: 8
; WaveLimiterHint : 1
; COMPUTE_PGM_RSRC2:SCRATCH_EN: 0
; COMPUTE_PGM_RSRC2:USER_SGPR: 6
; COMPUTE_PGM_RSRC2:TRAP_HANDLER: 0
; COMPUTE_PGM_RSRC2:TGID_X_EN: 1
; COMPUTE_PGM_RSRC2:TGID_Y_EN: 1
; COMPUTE_PGM_RSRC2:TGID_Z_EN: 1
; COMPUTE_PGM_RSRC2:TIDIG_COMP_CNT: 1
; COMPUTE_PGM_RSRC3_GFX90A:ACCUM_OFFSET: 10
; COMPUTE_PGM_RSRC3_GFX90A:TG_SPLIT: 0
	.section	.text._ZN12_GLOBAL__N_125rocblas_gemm_scale_kernelILi32ELi32EfPKPfEEviiT1_T2_llli,"axG",@progbits,_ZN12_GLOBAL__N_125rocblas_gemm_scale_kernelILi32ELi32EfPKPfEEviiT1_T2_llli,comdat
	.globl	_ZN12_GLOBAL__N_125rocblas_gemm_scale_kernelILi32ELi32EfPKPfEEviiT1_T2_llli ; -- Begin function _ZN12_GLOBAL__N_125rocblas_gemm_scale_kernelILi32ELi32EfPKPfEEviiT1_T2_llli
	.p2align	8
	.type	_ZN12_GLOBAL__N_125rocblas_gemm_scale_kernelILi32ELi32EfPKPfEEviiT1_T2_llli,@function
_ZN12_GLOBAL__N_125rocblas_gemm_scale_kernelILi32ELi32EfPKPfEEviiT1_T2_llli: ; @_ZN12_GLOBAL__N_125rocblas_gemm_scale_kernelILi32ELi32EfPKPfEEviiT1_T2_llli
; %bb.0:
	s_load_dwordx4 s[0:3], s[4:5], 0x0
	v_and_b32_e32 v1, 0x3ff, v0
	v_bfe_u32 v0, v0, 10, 10
	v_lshl_add_u32 v2, s6, 5, v1
	v_lshl_add_u32 v0, s7, 5, v0
	s_waitcnt lgkmcnt(0)
	v_cmp_gt_u32_e32 vcc, s0, v2
	v_cmp_gt_u32_e64 s[0:1], s1, v0
	s_and_b64 s[0:1], vcc, s[0:1]
	s_and_saveexec_b64 s[6:7], s[0:1]
	s_cbranch_execz .LBB174_4
; %bb.1:
	s_load_dwordx4 s[12:15], s[4:5], 0x10
	s_load_dwordx2 s[6:7], s[4:5], 0x20
	s_mov_b32 s9, 0
	s_lshl_b64 s[0:1], s[8:9], 3
	v_cmp_eq_f32_e64 s[4:5], s2, 0
	s_waitcnt lgkmcnt(0)
	s_add_u32 s0, s12, s0
	s_addc_u32 s1, s13, s1
	s_load_dwordx2 s[0:1], s[0:1], 0x0
	v_mad_u64_u32 v[4:5], s[8:9], v0, s6, 0
	v_mov_b32_e32 v8, v5
	s_lshl_b64 s[8:9], s[14:15], 2
	v_mad_u64_u32 v[0:1], s[6:7], v0, s7, v[8:9]
	s_waitcnt lgkmcnt(0)
	s_add_u32 s0, s0, s8
	v_mov_b32_e32 v5, v0
	v_mov_b32_e32 v3, 0
	;; [unrolled: 1-line block ×3, first 2 shown]
	s_addc_u32 s1, s1, s9
	s_and_b64 vcc, exec, s[4:5]
	v_lshlrev_b64 v[4:5], 2, v[4:5]
	v_lshlrev_b64 v[0:1], 2, v[2:3]
	s_cbranch_vccnz .LBB174_3
; %bb.2:
	v_mov_b32_e32 v2, s1
	v_add_co_u32_e32 v3, vcc, s0, v4
	v_addc_co_u32_e32 v6, vcc, v2, v5, vcc
	v_add_co_u32_e32 v2, vcc, v3, v0
	v_addc_co_u32_e32 v3, vcc, v6, v1, vcc
	global_load_dword v2, v[2:3], off
	s_waitcnt vmcnt(0)
	v_mul_f32_e32 v6, s2, v2
.LBB174_3:
	v_mov_b32_e32 v2, s1
	v_add_co_u32_e32 v3, vcc, s0, v4
	v_addc_co_u32_e32 v2, vcc, v2, v5, vcc
	v_add_co_u32_e32 v0, vcc, v3, v0
	v_addc_co_u32_e32 v1, vcc, v2, v1, vcc
	global_store_dword v[0:1], v6, off
.LBB174_4:
	s_endpgm
	.section	.rodata,"a",@progbits
	.p2align	6, 0x0
	.amdhsa_kernel _ZN12_GLOBAL__N_125rocblas_gemm_scale_kernelILi32ELi32EfPKPfEEviiT1_T2_llli
		.amdhsa_group_segment_fixed_size 0
		.amdhsa_private_segment_fixed_size 0
		.amdhsa_kernarg_size 52
		.amdhsa_user_sgpr_count 6
		.amdhsa_user_sgpr_private_segment_buffer 1
		.amdhsa_user_sgpr_dispatch_ptr 0
		.amdhsa_user_sgpr_queue_ptr 0
		.amdhsa_user_sgpr_kernarg_segment_ptr 1
		.amdhsa_user_sgpr_dispatch_id 0
		.amdhsa_user_sgpr_flat_scratch_init 0
		.amdhsa_user_sgpr_kernarg_preload_length 0
		.amdhsa_user_sgpr_kernarg_preload_offset 0
		.amdhsa_user_sgpr_private_segment_size 0
		.amdhsa_uses_dynamic_stack 0
		.amdhsa_system_sgpr_private_segment_wavefront_offset 0
		.amdhsa_system_sgpr_workgroup_id_x 1
		.amdhsa_system_sgpr_workgroup_id_y 1
		.amdhsa_system_sgpr_workgroup_id_z 1
		.amdhsa_system_sgpr_workgroup_info 0
		.amdhsa_system_vgpr_workitem_id 1
		.amdhsa_next_free_vgpr 10
		.amdhsa_next_free_sgpr 16
		.amdhsa_accum_offset 12
		.amdhsa_reserve_vcc 1
		.amdhsa_reserve_flat_scratch 0
		.amdhsa_float_round_mode_32 0
		.amdhsa_float_round_mode_16_64 0
		.amdhsa_float_denorm_mode_32 3
		.amdhsa_float_denorm_mode_16_64 3
		.amdhsa_dx10_clamp 1
		.amdhsa_ieee_mode 1
		.amdhsa_fp16_overflow 0
		.amdhsa_tg_split 0
		.amdhsa_exception_fp_ieee_invalid_op 0
		.amdhsa_exception_fp_denorm_src 0
		.amdhsa_exception_fp_ieee_div_zero 0
		.amdhsa_exception_fp_ieee_overflow 0
		.amdhsa_exception_fp_ieee_underflow 0
		.amdhsa_exception_fp_ieee_inexact 0
		.amdhsa_exception_int_div_zero 0
	.end_amdhsa_kernel
	.section	.text._ZN12_GLOBAL__N_125rocblas_gemm_scale_kernelILi32ELi32EfPKPfEEviiT1_T2_llli,"axG",@progbits,_ZN12_GLOBAL__N_125rocblas_gemm_scale_kernelILi32ELi32EfPKPfEEviiT1_T2_llli,comdat
.Lfunc_end174:
	.size	_ZN12_GLOBAL__N_125rocblas_gemm_scale_kernelILi32ELi32EfPKPfEEviiT1_T2_llli, .Lfunc_end174-_ZN12_GLOBAL__N_125rocblas_gemm_scale_kernelILi32ELi32EfPKPfEEviiT1_T2_llli
                                        ; -- End function
	.section	.AMDGPU.csdata,"",@progbits
; Kernel info:
; codeLenInByte = 260
; NumSgprs: 20
; NumVgprs: 10
; NumAgprs: 0
; TotalNumVgprs: 10
; ScratchSize: 0
; MemoryBound: 0
; FloatMode: 240
; IeeeMode: 1
; LDSByteSize: 0 bytes/workgroup (compile time only)
; SGPRBlocks: 2
; VGPRBlocks: 1
; NumSGPRsForWavesPerEU: 20
; NumVGPRsForWavesPerEU: 10
; AccumOffset: 12
; Occupancy: 8
; WaveLimiterHint : 1
; COMPUTE_PGM_RSRC2:SCRATCH_EN: 0
; COMPUTE_PGM_RSRC2:USER_SGPR: 6
; COMPUTE_PGM_RSRC2:TRAP_HANDLER: 0
; COMPUTE_PGM_RSRC2:TGID_X_EN: 1
; COMPUTE_PGM_RSRC2:TGID_Y_EN: 1
; COMPUTE_PGM_RSRC2:TGID_Z_EN: 1
; COMPUTE_PGM_RSRC2:TIDIG_COMP_CNT: 1
; COMPUTE_PGM_RSRC3_GFX90A:ACCUM_OFFSET: 2
; COMPUTE_PGM_RSRC3_GFX90A:TG_SPLIT: 0
	.section	.text._ZN12_GLOBAL__N_120gemm_ex_scale_kernelILi32ELi32EfPKPKfPKPfEEviiT1_T2_lllT3_llli,"axG",@progbits,_ZN12_GLOBAL__N_120gemm_ex_scale_kernelILi32ELi32EfPKPKfPKPfEEviiT1_T2_lllT3_llli,comdat
	.globl	_ZN12_GLOBAL__N_120gemm_ex_scale_kernelILi32ELi32EfPKPKfPKPfEEviiT1_T2_lllT3_llli ; -- Begin function _ZN12_GLOBAL__N_120gemm_ex_scale_kernelILi32ELi32EfPKPKfPKPfEEviiT1_T2_lllT3_llli
	.p2align	8
	.type	_ZN12_GLOBAL__N_120gemm_ex_scale_kernelILi32ELi32EfPKPKfPKPfEEviiT1_T2_lllT3_llli,@function
_ZN12_GLOBAL__N_120gemm_ex_scale_kernelILi32ELi32EfPKPKfPKPfEEviiT1_T2_lllT3_llli: ; @_ZN12_GLOBAL__N_120gemm_ex_scale_kernelILi32ELi32EfPKPKfPKPfEEviiT1_T2_lllT3_llli
; %bb.0:
	s_load_dwordx8 s[12:19], s[4:5], 0x0
	s_load_dwordx2 s[10:11], s[4:5], 0x20
	s_mov_b32 s9, 0
	s_waitcnt lgkmcnt(0)
	v_cmp_eq_f32_e64 s[20:21], s14, 0
	s_and_b64 vcc, exec, s[20:21]
	s_cbranch_vccnz .LBB175_2
; %bb.1:
	s_lshl_b64 s[0:1], s[8:9], 3
	s_add_u32 s0, s16, s0
	s_addc_u32 s1, s17, s1
	s_load_dwordx2 s[0:1], s[0:1], 0x0
	s_lshl_b64 s[2:3], s[18:19], 2
	s_waitcnt lgkmcnt(0)
	s_add_u32 s16, s0, s2
	s_addc_u32 s17, s1, s3
	s_branch .LBB175_3
.LBB175_2:
	s_mov_b64 s[16:17], 0
.LBB175_3:
	v_and_b32_e32 v1, 0x3ff, v0
	v_bfe_u32 v0, v0, 10, 10
	v_lshl_add_u32 v2, s6, 5, v1
	v_lshl_add_u32 v0, s7, 5, v0
	v_cmp_gt_u32_e32 vcc, s12, v2
	v_cmp_gt_u32_e64 s[0:1], s13, v0
	s_and_b64 s[0:1], vcc, s[0:1]
	s_and_saveexec_b64 s[2:3], s[0:1]
	s_cbranch_execz .LBB175_9
; %bb.4:
	s_load_dwordx4 s[0:3], s[4:5], 0x30
	s_load_dwordx2 s[6:7], s[4:5], 0x40
	s_lshl_b64 s[4:5], s[8:9], 3
	v_mov_b32_e32 v3, 0
	s_waitcnt lgkmcnt(0)
	s_add_u32 s0, s0, s4
	s_addc_u32 s1, s1, s5
	s_load_dwordx2 s[0:1], s[0:1], 0x0
	s_andn2_b64 vcc, exec, s[20:21]
	s_cbranch_vccnz .LBB175_6
; %bb.5:
	s_mov_b32 s8, 0
	v_mov_b32_e32 v1, s8
	s_cbranch_execz .LBB175_7
	s_branch .LBB175_8
.LBB175_6:
                                        ; implicit-def: $sgpr8
	v_mov_b32_e32 v1, s8
.LBB175_7:
	v_mad_u64_u32 v[4:5], s[4:5], v0, s10, 0
	v_mov_b32_e32 v6, v5
	v_mad_u64_u32 v[6:7], s[4:5], v0, s11, v[6:7]
	v_mov_b32_e32 v5, v6
	v_lshlrev_b64 v[4:5], 2, v[4:5]
	v_mov_b32_e32 v3, 0
	v_mov_b32_e32 v1, s17
	v_add_co_u32_e32 v6, vcc, s16, v4
	v_addc_co_u32_e32 v1, vcc, v1, v5, vcc
	v_lshlrev_b64 v[4:5], 2, v[2:3]
	v_add_co_u32_e32 v4, vcc, v6, v4
	v_addc_co_u32_e32 v5, vcc, v1, v5, vcc
	flat_load_dword v1, v[4:5]
	s_waitcnt vmcnt(0) lgkmcnt(0)
	v_mul_f32_e32 v1, s14, v1
.LBB175_8:
	s_lshl_b64 s[2:3], s[2:3], 2
	s_waitcnt lgkmcnt(0)
	s_add_u32 s2, s0, s2
	s_addc_u32 s3, s1, s3
	v_mad_u64_u32 v[4:5], s[0:1], v0, s6, 0
	v_mov_b32_e32 v6, v5
	v_mad_u64_u32 v[6:7], s[0:1], v0, s7, v[6:7]
	v_mov_b32_e32 v5, v6
	v_lshlrev_b64 v[4:5], 2, v[4:5]
	v_mov_b32_e32 v0, s3
	v_add_co_u32_e32 v4, vcc, s2, v4
	v_addc_co_u32_e32 v0, vcc, v0, v5, vcc
	v_lshlrev_b64 v[2:3], 2, v[2:3]
	v_add_co_u32_e32 v2, vcc, v4, v2
	v_addc_co_u32_e32 v3, vcc, v0, v3, vcc
	global_store_dword v[2:3], v1, off
.LBB175_9:
	s_endpgm
	.section	.rodata,"a",@progbits
	.p2align	6, 0x0
	.amdhsa_kernel _ZN12_GLOBAL__N_120gemm_ex_scale_kernelILi32ELi32EfPKPKfPKPfEEviiT1_T2_lllT3_llli
		.amdhsa_group_segment_fixed_size 0
		.amdhsa_private_segment_fixed_size 0
		.amdhsa_kernarg_size 84
		.amdhsa_user_sgpr_count 6
		.amdhsa_user_sgpr_private_segment_buffer 1
		.amdhsa_user_sgpr_dispatch_ptr 0
		.amdhsa_user_sgpr_queue_ptr 0
		.amdhsa_user_sgpr_kernarg_segment_ptr 1
		.amdhsa_user_sgpr_dispatch_id 0
		.amdhsa_user_sgpr_flat_scratch_init 0
		.amdhsa_user_sgpr_kernarg_preload_length 0
		.amdhsa_user_sgpr_kernarg_preload_offset 0
		.amdhsa_user_sgpr_private_segment_size 0
		.amdhsa_uses_dynamic_stack 0
		.amdhsa_system_sgpr_private_segment_wavefront_offset 0
		.amdhsa_system_sgpr_workgroup_id_x 1
		.amdhsa_system_sgpr_workgroup_id_y 1
		.amdhsa_system_sgpr_workgroup_id_z 1
		.amdhsa_system_sgpr_workgroup_info 0
		.amdhsa_system_vgpr_workitem_id 1
		.amdhsa_next_free_vgpr 8
		.amdhsa_next_free_sgpr 22
		.amdhsa_accum_offset 8
		.amdhsa_reserve_vcc 1
		.amdhsa_reserve_flat_scratch 0
		.amdhsa_float_round_mode_32 0
		.amdhsa_float_round_mode_16_64 0
		.amdhsa_float_denorm_mode_32 3
		.amdhsa_float_denorm_mode_16_64 3
		.amdhsa_dx10_clamp 1
		.amdhsa_ieee_mode 1
		.amdhsa_fp16_overflow 0
		.amdhsa_tg_split 0
		.amdhsa_exception_fp_ieee_invalid_op 0
		.amdhsa_exception_fp_denorm_src 0
		.amdhsa_exception_fp_ieee_div_zero 0
		.amdhsa_exception_fp_ieee_overflow 0
		.amdhsa_exception_fp_ieee_underflow 0
		.amdhsa_exception_fp_ieee_inexact 0
		.amdhsa_exception_int_div_zero 0
	.end_amdhsa_kernel
	.section	.text._ZN12_GLOBAL__N_120gemm_ex_scale_kernelILi32ELi32EfPKPKfPKPfEEviiT1_T2_lllT3_llli,"axG",@progbits,_ZN12_GLOBAL__N_120gemm_ex_scale_kernelILi32ELi32EfPKPKfPKPfEEviiT1_T2_lllT3_llli,comdat
.Lfunc_end175:
	.size	_ZN12_GLOBAL__N_120gemm_ex_scale_kernelILi32ELi32EfPKPKfPKPfEEviiT1_T2_lllT3_llli, .Lfunc_end175-_ZN12_GLOBAL__N_120gemm_ex_scale_kernelILi32ELi32EfPKPKfPKPfEEviiT1_T2_lllT3_llli
                                        ; -- End function
	.section	.AMDGPU.csdata,"",@progbits
; Kernel info:
; codeLenInByte = 380
; NumSgprs: 26
; NumVgprs: 8
; NumAgprs: 0
; TotalNumVgprs: 8
; ScratchSize: 0
; MemoryBound: 0
; FloatMode: 240
; IeeeMode: 1
; LDSByteSize: 0 bytes/workgroup (compile time only)
; SGPRBlocks: 3
; VGPRBlocks: 0
; NumSGPRsForWavesPerEU: 26
; NumVGPRsForWavesPerEU: 8
; AccumOffset: 8
; Occupancy: 8
; WaveLimiterHint : 1
; COMPUTE_PGM_RSRC2:SCRATCH_EN: 0
; COMPUTE_PGM_RSRC2:USER_SGPR: 6
; COMPUTE_PGM_RSRC2:TRAP_HANDLER: 0
; COMPUTE_PGM_RSRC2:TGID_X_EN: 1
; COMPUTE_PGM_RSRC2:TGID_Y_EN: 1
; COMPUTE_PGM_RSRC2:TGID_Z_EN: 1
; COMPUTE_PGM_RSRC2:TIDIG_COMP_CNT: 1
; COMPUTE_PGM_RSRC3_GFX90A:ACCUM_OFFSET: 1
; COMPUTE_PGM_RSRC3_GFX90A:TG_SPLIT: 0
	.section	.text._ZN12_GLOBAL__N_127rocblas_gemm_batched_kernelIfLi16ELi16ELi64ELi64ELi4ELi64ELi4ELi4ELi64ELc78ELc78EKPKfS3_KPfEEvlllT_PT11_llS8_llS6_PT12_llPT13_lli,"axG",@progbits,_ZN12_GLOBAL__N_127rocblas_gemm_batched_kernelIfLi16ELi16ELi64ELi64ELi4ELi64ELi4ELi4ELi64ELc78ELc78EKPKfS3_KPfEEvlllT_PT11_llS8_llS6_PT12_llPT13_lli,comdat
	.globl	_ZN12_GLOBAL__N_127rocblas_gemm_batched_kernelIfLi16ELi16ELi64ELi64ELi4ELi64ELi4ELi4ELi64ELc78ELc78EKPKfS3_KPfEEvlllT_PT11_llS8_llS6_PT12_llPT13_lli ; -- Begin function _ZN12_GLOBAL__N_127rocblas_gemm_batched_kernelIfLi16ELi16ELi64ELi64ELi4ELi64ELi4ELi4ELi64ELc78ELc78EKPKfS3_KPfEEvlllT_PT11_llS8_llS6_PT12_llPT13_lli
	.p2align	8
	.type	_ZN12_GLOBAL__N_127rocblas_gemm_batched_kernelIfLi16ELi16ELi64ELi64ELi4ELi64ELi4ELi4ELi64ELc78ELc78EKPKfS3_KPfEEvlllT_PT11_llS8_llS6_PT12_llPT13_lli,@function
_ZN12_GLOBAL__N_127rocblas_gemm_batched_kernelIfLi16ELi16ELi64ELi64ELi4ELi64ELi4ELi4ELi64ELc78ELc78EKPKfS3_KPfEEvlllT_PT11_llS8_llS6_PT12_llPT13_lli: ; @_ZN12_GLOBAL__N_127rocblas_gemm_batched_kernelIfLi16ELi16ELi64ELi64ELi4ELi64ELi4ELi4ELi64ELc78ELc78EKPKfS3_KPfEEvlllT_PT11_llS8_llS6_PT12_llPT13_lli
; %bb.0:
	s_load_dwordx2 s[30:31], s[4:5], 0x10
	s_load_dwordx4 s[0:3], s[4:5], 0x78
	s_load_dwordx8 s[12:19], s[4:5], 0x58
	s_mov_b32 s9, 0
	s_lshl_b64 s[34:35], s[8:9], 3
	s_mov_b32 s10, s7
	v_bfe_u32 v39, v0, 10, 10
	s_waitcnt lgkmcnt(0)
	s_add_u32 s8, s12, s34
	s_addc_u32 s9, s13, s35
	s_load_dwordx2 s[12:13], s[8:9], 0x0
	s_add_u32 s8, s18, s34
	s_addc_u32 s9, s19, s35
	s_load_dwordx2 s[18:19], s[8:9], 0x0
	s_ashr_i32 s7, s6, 31
	s_ashr_i32 s11, s10, 31
	v_cmp_lt_i64_e64 s[8:9], s[30:31], 1
	v_and_b32_e32 v38, 0x3ff, v0
	s_lshl_b64 s[6:7], s[6:7], 6
	s_lshl_b64 s[28:29], s[10:11], 6
	s_and_b64 vcc, exec, s[8:9]
	s_cbranch_vccnz .LBB176_3
; %bb.1:
	s_load_dwordx8 s[20:27], s[4:5], 0x20
	s_load_dwordx4 s[8:11], s[4:5], 0x40
	v_lshlrev_b32_e32 v0, 4, v39
	v_add_u32_e32 v1, v0, v38
	v_lshrrev_b32_e32 v2, 2, v1
	v_and_b32_e32 v5, 3, v38
	v_and_b32_e32 v6, 63, v1
	s_waitcnt lgkmcnt(0)
	s_add_u32 s20, s20, s34
	v_mov_b32_e32 v3, s29
	v_add_co_u32_e32 v4, vcc, s28, v2
	v_lshrrev_b32_e32 v7, 6, v1
	v_lshlrev_b32_e32 v1, 2, v6
	v_lshlrev_b32_e32 v5, 2, v5
	s_addc_u32 s21, s21, s35
	v_addc_co_u32_e32 v3, vcc, 0, v3, vcc
	v_lshl_or_b32 v40, v7, 8, v1
	v_lshl_or_b32 v1, v2, 4, v5
	s_add_u32 s26, s26, s34
	v_add_u32_e32 v41, 0x400, v1
	v_add_u32_e32 v43, 0x400, v0
	v_mul_lo_u32 v2, s9, v4
	v_mul_lo_u32 v3, s8, v3
	v_mad_u64_u32 v[0:1], s[8:9], s8, v4, 0
	s_addc_u32 s27, s27, s35
	v_add3_u32 v1, v1, v3, v2
	s_load_dwordx2 s[26:27], s[26:27], 0x0
	v_lshlrev_b64 v[0:1], 2, v[0:1]
	s_lshl_b64 s[8:9], s[10:11], 2
	v_mov_b32_e32 v2, s9
	v_add_co_u32_e32 v0, vcc, s8, v0
	v_addc_co_u32_e32 v1, vcc, v1, v2, vcc
	v_add_co_u32_e32 v0, vcc, v0, v5
	v_addc_co_u32_e32 v1, vcc, 0, v1, vcc
	s_waitcnt lgkmcnt(0)
	v_mov_b32_e32 v2, s27
	v_add_co_u32_e32 v8, vcc, s26, v0
	s_load_dwordx2 s[20:21], s[20:21], 0x0
	v_addc_co_u32_e32 v9, vcc, v2, v1, vcc
	v_pk_mov_b32 v[0:1], s[6:7], s[6:7] op_sel:[0,1]
	v_mad_u64_u32 v[0:1], s[10:11], v7, s22, v[0:1]
	v_mov_b32_e32 v2, v1
	v_mad_u64_u32 v[2:3], s[10:11], v7, s23, v[2:3]
	s_lshl_b64 s[8:9], s[24:25], 2
	v_mov_b32_e32 v1, v2
	v_add_co_u32_e32 v0, vcc, v0, v6
	v_addc_co_u32_e32 v1, vcc, 0, v1, vcc
	s_waitcnt lgkmcnt(0)
	s_add_u32 s8, s20, s8
	v_lshlrev_b64 v[0:1], 2, v[0:1]
	s_addc_u32 s9, s21, s9
	v_mov_b32_e32 v2, s9
	v_add_co_u32_e32 v10, vcc, s8, v0
	s_lshl_b64 s[8:9], s[22:23], 4
	v_mov_b32_e32 v30, 0
	v_lshlrev_b32_e32 v42, 2, v38
	v_addc_co_u32_e32 v11, vcc, v2, v1, vcc
	s_mov_b64 s[10:11], 0
	v_mov_b32_e32 v44, s9
	v_pk_mov_b32 v[12:13], s[30:31], s[30:31] op_sel:[0,1]
	v_mov_b32_e32 v31, 0
	v_mov_b32_e32 v32, 0
	;; [unrolled: 1-line block ×15, first 2 shown]
.LBB176_2:                              ; =>This Inner Loop Header: Depth=1
	global_load_dword v14, v[10:11], off
	global_load_dword v15, v[8:9], off
	v_add_co_u32_e32 v8, vcc, 16, v8
	v_addc_co_u32_e32 v9, vcc, 0, v9, vcc
	s_add_u32 s10, s10, 4
	v_add_co_u32_e32 v10, vcc, s8, v10
	v_addc_co_u32_e32 v11, vcc, v11, v44, vcc
	s_addc_u32 s11, s11, 0
	v_cmp_lt_i64_e32 vcc, s[10:11], v[12:13]
	s_and_b64 vcc, exec, vcc
	s_waitcnt vmcnt(1)
	ds_write_b32 v40, v14
	s_waitcnt vmcnt(0)
	ds_write_b32 v41, v15
	s_waitcnt lgkmcnt(0)
	s_barrier
	ds_read2_b32 v[18:19], v42 offset1:16
	ds_read2_b32 v[14:15], v42 offset0:32 offset1:48
	ds_read2_b32 v[20:21], v42 offset0:64 offset1:80
	;; [unrolled: 1-line block ×5, first 2 shown]
	ds_read_b128 v[46:49], v43
	ds_read2_b32 v[22:23], v42 offset0:192 offset1:208
	ds_read2_b32 v[28:29], v42 offset0:224 offset1:240
	ds_read_b128 v[50:53], v43 offset:256
	ds_read_b128 v[54:57], v43 offset:512
	s_waitcnt lgkmcnt(4)
	v_fmac_f32_e32 v37, v18, v46
	v_fmac_f32_e32 v36, v19, v46
	;; [unrolled: 1-line block ×6, first 2 shown]
	v_mov_b32_e32 v58, v15
	v_mov_b32_e32 v59, v17
	;; [unrolled: 1-line block ×3, first 2 shown]
	s_waitcnt lgkmcnt(2)
	v_mov_b32_e32 v61, v29
	v_fmac_f32_e32 v37, v24, v48
	v_fmac_f32_e32 v36, v25, v48
	;; [unrolled: 1-line block ×3, first 2 shown]
	v_pk_mul_f32 v[68:69], v[58:59], v[46:47]
	v_fmac_f32_e32 v37, v22, v49
	v_fmac_f32_e32 v36, v23, v49
	;; [unrolled: 1-line block ×3, first 2 shown]
	v_pk_mul_f32 v[70:71], v[60:61], v[48:49]
	ds_read_b128 v[46:49], v43 offset:768
	s_waitcnt lgkmcnt(2)
	v_fmac_f32_e32 v34, v19, v50
	v_fmac_f32_e32 v33, v14, v50
	;; [unrolled: 1-line block ×4, first 2 shown]
	s_waitcnt lgkmcnt(1)
	v_fmac_f32_e32 v32, v19, v54
	v_fmac_f32_e32 v31, v14, v54
	s_waitcnt lgkmcnt(0)
	v_fmac_f32_e32 v30, v19, v46
	v_mul_f32_e32 v64, v18, v50
	v_mul_f32_e32 v66, v20, v51
	v_pk_mul_f32 v[50:51], v[58:59], v[50:51]
	v_fmac_f32_e32 v34, v25, v52
	v_fmac_f32_e32 v33, v26, v52
	;; [unrolled: 1-line block ×4, first 2 shown]
	v_mul_f32_e32 v74, v18, v54
	v_mul_f32_e32 v76, v20, v55
	v_pk_mul_f32 v[54:55], v[58:59], v[54:55]
	v_mul_f32_e32 v18, v18, v46
	v_fmac_f32_e32 v30, v21, v47
	v_mul_f32_e32 v20, v20, v47
	v_mul_f32_e32 v15, v14, v46
	;; [unrolled: 1-line block ×3, first 2 shown]
	v_pk_mul_f32 v[46:47], v[58:59], v[46:47]
	v_mul_f32_e32 v62, v24, v52
	v_mov_b32_e32 v63, v70
	v_mul_f32_e32 v70, v22, v53
	v_fmac_f32_e32 v34, v23, v53
	v_fmac_f32_e32 v33, v28, v53
	v_pk_mul_f32 v[52:53], v[60:61], v[52:53]
	v_fmac_f32_e32 v32, v25, v56
	v_fmac_f32_e32 v31, v26, v56
	v_mov_b32_e32 v65, v68
	v_mov_b32_e32 v75, v50
	;; [unrolled: 1-line block ×4, first 2 shown]
	v_mul_f32_e32 v72, v24, v56
	v_mov_b32_e32 v73, v52
	v_mul_f32_e32 v52, v22, v57
	v_fmac_f32_e32 v32, v23, v57
	v_fmac_f32_e32 v31, v28, v57
	v_pk_mul_f32 v[56:57], v[60:61], v[56:57]
	v_mov_b32_e32 v67, v69
	v_mov_b32_e32 v77, v51
	;; [unrolled: 1-line block ×4, first 2 shown]
	v_pk_mul_f32 v[46:47], v[60:61], v[48:49]
	v_pk_add_f32 v[6:7], v[6:7], v[64:65]
	v_pk_add_f32 v[4:5], v[4:5], v[74:75]
	;; [unrolled: 1-line block ×4, first 2 shown]
	v_fmac_f32_e32 v30, v25, v48
	v_mul_f32_e32 v24, v24, v48
	v_mul_f32_e32 v27, v26, v48
	v_mov_b32_e32 v25, v56
	v_mov_b32_e32 v26, v46
	v_pk_add_f32 v[6:7], v[6:7], v[66:67]
	v_pk_add_f32 v[4:5], v[4:5], v[76:77]
	;; [unrolled: 1-line block ×4, first 2 shown]
	v_mul_f32_e32 v29, v28, v49
	v_mul_f32_e32 v56, v22, v49
	v_mov_b32_e32 v28, v47
	v_pk_add_f32 v[6:7], v[6:7], v[62:63]
	v_pk_add_f32 v[4:5], v[4:5], v[72:73]
	;; [unrolled: 1-line block ×4, first 2 shown]
	v_fmac_f32_e32 v30, v23, v49
	v_pk_add_f32 v[6:7], v[6:7], v[70:71]
	v_pk_add_f32 v[4:5], v[4:5], v[52:53]
	;; [unrolled: 1-line block ×4, first 2 shown]
	s_barrier
	s_cbranch_vccnz .LBB176_2
	s_branch .LBB176_4
.LBB176_3:
	v_mov_b32_e32 v37, 0
	v_mov_b32_e32 v36, 0
	v_mov_b32_e32 v35, 0
	v_mov_b32_e32 v7, 0
	v_mov_b32_e32 v6, v37
	v_mov_b32_e32 v34, 0
	v_mov_b32_e32 v33, 0
	v_mov_b32_e32 v5, 0
	v_mov_b32_e32 v4, v37
	v_mov_b32_e32 v32, 0
	v_mov_b32_e32 v31, 0
	v_mov_b32_e32 v3, 0
	v_mov_b32_e32 v2, v37
	v_mov_b32_e32 v30, 0
	v_mov_b32_e32 v1, 0
	v_mov_b32_e32 v0, v37
.LBB176_4:
	s_load_dword s8, s[4:5], 0x18
	s_load_dword s9, s[4:5], 0x50
	v_mov_b32_e32 v8, s29
	v_add_co_u32_e32 v10, vcc, s28, v39
	s_lshl_b64 s[2:3], s[2:3], 2
	v_addc_co_u32_e32 v13, vcc, 0, v8, vcc
	s_waitcnt lgkmcnt(0)
	s_add_u32 s4, s18, s2
	v_mov_b32_e32 v9, s7
	v_add_co_u32_e32 v8, vcc, s6, v38
	s_addc_u32 s5, s19, s3
	v_cmp_neq_f32_e64 s[2:3], s9, 0
	v_addc_co_u32_e32 v9, vcc, 0, v9, vcc
	s_and_b64 vcc, exec, s[2:3]
	v_mul_lo_u32 v11, v13, s0
	v_mul_lo_u32 v12, v10, s1
	v_lshlrev_b64 v[8:9], 2, v[8:9]
	s_cbranch_vccnz .LBB176_8
; %bb.5:
	v_mad_u64_u32 v[14:15], s[2:3], v10, s0, 0
	v_add3_u32 v15, v15, v12, v11
	v_lshlrev_b64 v[14:15], 2, v[14:15]
	v_mov_b32_e32 v16, s5
	v_add_co_u32_e32 v14, vcc, s4, v14
	v_addc_co_u32_e32 v15, vcc, v16, v15, vcc
	v_add_co_u32_e32 v14, vcc, v14, v8
	v_mul_f32_e32 v16, s8, v37
	v_addc_co_u32_e32 v15, vcc, v15, v9, vcc
	global_store_dword v[14:15], v16, off
	v_mul_f32_e32 v16, s8, v36
	global_store_dword v[14:15], v16, off offset:64
	v_mul_f32_e32 v16, s8, v35
	global_store_dword v[14:15], v16, off offset:128
	v_mul_f32_e32 v16, s8, v7
	s_lshl_b64 s[2:3], s[0:1], 6
	global_store_dword v[14:15], v16, off offset:192
	v_mov_b32_e32 v17, s3
	v_add_co_u32_e32 v14, vcc, s2, v14
	v_mul_f32_e32 v16, s8, v6
	v_addc_co_u32_e32 v15, vcc, v15, v17, vcc
	global_store_dword v[14:15], v16, off
	v_mul_f32_e32 v16, s8, v34
	global_store_dword v[14:15], v16, off offset:64
	v_mul_f32_e32 v16, s8, v33
	global_store_dword v[14:15], v16, off offset:128
	v_mul_f32_e32 v16, s8, v5
	global_store_dword v[14:15], v16, off offset:192
	v_add_co_u32_e32 v14, vcc, s2, v14
	v_mul_f32_e32 v16, s8, v4
	v_addc_co_u32_e32 v15, vcc, v15, v17, vcc
	global_store_dword v[14:15], v16, off
	v_mul_f32_e32 v16, s8, v32
	global_store_dword v[14:15], v16, off offset:64
	v_mul_f32_e32 v16, s8, v31
	global_store_dword v[14:15], v16, off offset:128
	v_mul_f32_e32 v16, s8, v3
	global_store_dword v[14:15], v16, off offset:192
	;; [unrolled: 10-line block ×3, first 2 shown]
	s_cbranch_execnz .LBB176_7
.LBB176_6:
	s_lshl_b64 s[2:3], s[16:17], 2
	s_add_u32 s6, s12, s2
	s_addc_u32 s7, s13, s3
	v_mul_lo_u32 v13, v13, s14
	v_mul_lo_u32 v16, v10, s15
	v_mad_u64_u32 v[14:15], s[2:3], v10, s14, 0
	v_add3_u32 v15, v15, v16, v13
	v_lshlrev_b64 v[14:15], 2, v[14:15]
	v_mov_b32_e32 v13, s7
	v_add_co_u32_e32 v14, vcc, s6, v14
	v_addc_co_u32_e32 v13, vcc, v13, v15, vcc
	v_add_co_u32_e32 v14, vcc, v14, v8
	v_addc_co_u32_e32 v15, vcc, v13, v9, vcc
	global_load_dword v13, v[14:15], off
	v_mad_u64_u32 v[16:17], s[2:3], v10, s0, 0
	v_add3_u32 v17, v17, v12, v11
	v_lshlrev_b64 v[10:11], 2, v[16:17]
	v_mov_b32_e32 v18, s5
	v_add_co_u32_e32 v10, vcc, s4, v10
	v_addc_co_u32_e32 v11, vcc, v18, v11, vcc
	v_add_co_u32_e32 v8, vcc, v10, v8
	v_addc_co_u32_e32 v9, vcc, v11, v9, vcc
	s_lshl_b64 s[2:3], s[14:15], 6
	s_lshl_b64 s[0:1], s[0:1], 6
	s_waitcnt vmcnt(0)
	v_mul_f32_e32 v10, s9, v13
	v_fmac_f32_e32 v10, s8, v37
	global_store_dword v[8:9], v10, off
	global_load_dword v10, v[14:15], off offset:64
	v_mov_b32_e32 v13, s3
	s_waitcnt vmcnt(0)
	v_mul_f32_e32 v10, s9, v10
	v_fmac_f32_e32 v10, s8, v36
	global_store_dword v[8:9], v10, off offset:64
	global_load_dword v10, v[14:15], off offset:128
	s_waitcnt vmcnt(0)
	v_mul_f32_e32 v10, s9, v10
	v_fmac_f32_e32 v10, s8, v35
	global_store_dword v[8:9], v10, off offset:128
	global_load_dword v12, v[14:15], off offset:192
	v_add_co_u32_e32 v10, vcc, s2, v14
	v_addc_co_u32_e32 v11, vcc, v15, v13, vcc
	s_waitcnt vmcnt(0)
	v_mul_f32_e32 v12, s9, v12
	v_fmac_f32_e32 v12, s8, v7
	global_store_dword v[8:9], v12, off offset:192
	global_load_dword v7, v[10:11], off
	v_mov_b32_e32 v12, s1
	v_add_co_u32_e32 v8, vcc, s0, v8
	v_addc_co_u32_e32 v9, vcc, v9, v12, vcc
	s_waitcnt vmcnt(0)
	v_mul_f32_e32 v7, s9, v7
	v_fmac_f32_e32 v7, s8, v6
	global_store_dword v[8:9], v7, off
	global_load_dword v6, v[10:11], off offset:64
	s_waitcnt vmcnt(0)
	v_mul_f32_e32 v6, s9, v6
	v_fmac_f32_e32 v6, s8, v34
	global_store_dword v[8:9], v6, off offset:64
	global_load_dword v6, v[10:11], off offset:128
	s_waitcnt vmcnt(0)
	v_mul_f32_e32 v6, s9, v6
	v_fmac_f32_e32 v6, s8, v33
	global_store_dword v[8:9], v6, off offset:128
	global_load_dword v14, v[10:11], off offset:192
	v_add_co_u32_e32 v6, vcc, s2, v10
	v_addc_co_u32_e32 v7, vcc, v11, v13, vcc
	s_waitcnt vmcnt(0)
	v_mul_f32_e32 v10, s9, v14
	v_fmac_f32_e32 v10, s8, v5
	global_store_dword v[8:9], v10, off offset:192
	global_load_dword v5, v[6:7], off
	v_add_co_u32_e32 v8, vcc, s0, v8
	v_addc_co_u32_e32 v9, vcc, v9, v12, vcc
	s_waitcnt vmcnt(0)
	v_mul_f32_e32 v5, s9, v5
	v_fmac_f32_e32 v5, s8, v4
	global_store_dword v[8:9], v5, off
	global_load_dword v4, v[6:7], off offset:64
	s_waitcnt vmcnt(0)
	v_mul_f32_e32 v4, s9, v4
	v_fmac_f32_e32 v4, s8, v32
	global_store_dword v[8:9], v4, off offset:64
	global_load_dword v4, v[6:7], off offset:128
	s_waitcnt vmcnt(0)
	v_mul_f32_e32 v4, s9, v4
	v_fmac_f32_e32 v4, s8, v31
	global_store_dword v[8:9], v4, off offset:128
	global_load_dword v10, v[6:7], off offset:192
	v_add_co_u32_e32 v4, vcc, s2, v6
	v_addc_co_u32_e32 v5, vcc, v7, v13, vcc
	s_waitcnt vmcnt(0)
	v_mul_f32_e32 v6, s9, v10
	v_fmac_f32_e32 v6, s8, v3
	global_store_dword v[8:9], v6, off offset:192
	global_load_dword v3, v[4:5], off
	s_waitcnt vmcnt(0)
	v_mul_f32_e32 v6, s9, v3
	v_fmac_f32_e32 v6, s8, v2
	v_add_co_u32_e32 v2, vcc, s0, v8
	v_addc_co_u32_e32 v3, vcc, v9, v12, vcc
	global_store_dword v[2:3], v6, off
	global_load_dword v6, v[4:5], off offset:64
	s_waitcnt vmcnt(0)
	v_mul_f32_e32 v6, s9, v6
	v_fmac_f32_e32 v6, s8, v30
	global_store_dword v[2:3], v6, off offset:64
	global_load_dword v6, v[4:5], off offset:128
	s_waitcnt vmcnt(0)
	v_mul_f32_e32 v6, s9, v6
	v_fmac_f32_e32 v6, s8, v1
	global_store_dword v[2:3], v6, off offset:128
	;; [unrolled: 5-line block ×3, first 2 shown]
.LBB176_7:
	s_endpgm
.LBB176_8:
	s_branch .LBB176_6
	.section	.rodata,"a",@progbits
	.p2align	6, 0x0
	.amdhsa_kernel _ZN12_GLOBAL__N_127rocblas_gemm_batched_kernelIfLi16ELi16ELi64ELi64ELi4ELi64ELi4ELi4ELi64ELc78ELc78EKPKfS3_KPfEEvlllT_PT11_llS8_llS6_PT12_llPT13_lli
		.amdhsa_group_segment_fixed_size 2048
		.amdhsa_private_segment_fixed_size 0
		.amdhsa_kernarg_size 140
		.amdhsa_user_sgpr_count 6
		.amdhsa_user_sgpr_private_segment_buffer 1
		.amdhsa_user_sgpr_dispatch_ptr 0
		.amdhsa_user_sgpr_queue_ptr 0
		.amdhsa_user_sgpr_kernarg_segment_ptr 1
		.amdhsa_user_sgpr_dispatch_id 0
		.amdhsa_user_sgpr_flat_scratch_init 0
		.amdhsa_user_sgpr_kernarg_preload_length 0
		.amdhsa_user_sgpr_kernarg_preload_offset 0
		.amdhsa_user_sgpr_private_segment_size 0
		.amdhsa_uses_dynamic_stack 0
		.amdhsa_system_sgpr_private_segment_wavefront_offset 0
		.amdhsa_system_sgpr_workgroup_id_x 1
		.amdhsa_system_sgpr_workgroup_id_y 1
		.amdhsa_system_sgpr_workgroup_id_z 1
		.amdhsa_system_sgpr_workgroup_info 0
		.amdhsa_system_vgpr_workitem_id 1
		.amdhsa_next_free_vgpr 78
		.amdhsa_next_free_sgpr 36
		.amdhsa_accum_offset 80
		.amdhsa_reserve_vcc 1
		.amdhsa_reserve_flat_scratch 0
		.amdhsa_float_round_mode_32 0
		.amdhsa_float_round_mode_16_64 0
		.amdhsa_float_denorm_mode_32 3
		.amdhsa_float_denorm_mode_16_64 3
		.amdhsa_dx10_clamp 1
		.amdhsa_ieee_mode 1
		.amdhsa_fp16_overflow 0
		.amdhsa_tg_split 0
		.amdhsa_exception_fp_ieee_invalid_op 0
		.amdhsa_exception_fp_denorm_src 0
		.amdhsa_exception_fp_ieee_div_zero 0
		.amdhsa_exception_fp_ieee_overflow 0
		.amdhsa_exception_fp_ieee_underflow 0
		.amdhsa_exception_fp_ieee_inexact 0
		.amdhsa_exception_int_div_zero 0
	.end_amdhsa_kernel
	.section	.text._ZN12_GLOBAL__N_127rocblas_gemm_batched_kernelIfLi16ELi16ELi64ELi64ELi4ELi64ELi4ELi4ELi64ELc78ELc78EKPKfS3_KPfEEvlllT_PT11_llS8_llS6_PT12_llPT13_lli,"axG",@progbits,_ZN12_GLOBAL__N_127rocblas_gemm_batched_kernelIfLi16ELi16ELi64ELi64ELi4ELi64ELi4ELi4ELi64ELc78ELc78EKPKfS3_KPfEEvlllT_PT11_llS8_llS6_PT12_llPT13_lli,comdat
.Lfunc_end176:
	.size	_ZN12_GLOBAL__N_127rocblas_gemm_batched_kernelIfLi16ELi16ELi64ELi64ELi4ELi64ELi4ELi4ELi64ELc78ELc78EKPKfS3_KPfEEvlllT_PT11_llS8_llS6_PT12_llPT13_lli, .Lfunc_end176-_ZN12_GLOBAL__N_127rocblas_gemm_batched_kernelIfLi16ELi16ELi64ELi64ELi4ELi64ELi4ELi4ELi64ELc78ELc78EKPKfS3_KPfEEvlllT_PT11_llS8_llS6_PT12_llPT13_lli
                                        ; -- End function
	.section	.AMDGPU.csdata,"",@progbits
; Kernel info:
; codeLenInByte = 2220
; NumSgprs: 40
; NumVgprs: 78
; NumAgprs: 0
; TotalNumVgprs: 78
; ScratchSize: 0
; MemoryBound: 0
; FloatMode: 240
; IeeeMode: 1
; LDSByteSize: 2048 bytes/workgroup (compile time only)
; SGPRBlocks: 4
; VGPRBlocks: 9
; NumSGPRsForWavesPerEU: 40
; NumVGPRsForWavesPerEU: 78
; AccumOffset: 80
; Occupancy: 6
; WaveLimiterHint : 1
; COMPUTE_PGM_RSRC2:SCRATCH_EN: 0
; COMPUTE_PGM_RSRC2:USER_SGPR: 6
; COMPUTE_PGM_RSRC2:TRAP_HANDLER: 0
; COMPUTE_PGM_RSRC2:TGID_X_EN: 1
; COMPUTE_PGM_RSRC2:TGID_Y_EN: 1
; COMPUTE_PGM_RSRC2:TGID_Z_EN: 1
; COMPUTE_PGM_RSRC2:TIDIG_COMP_CNT: 1
; COMPUTE_PGM_RSRC3_GFX90A:ACCUM_OFFSET: 19
; COMPUTE_PGM_RSRC3_GFX90A:TG_SPLIT: 0
	.section	.text._ZN12_GLOBAL__N_127rocblas_gemm_batched_kernelIfLi16ELi16ELi64ELi64ELi4ELi64ELi4ELi4ELi64ELc84ELc78EKPKfS3_KPfEEvlllT_PT11_llS8_llS6_PT12_llPT13_lli,"axG",@progbits,_ZN12_GLOBAL__N_127rocblas_gemm_batched_kernelIfLi16ELi16ELi64ELi64ELi4ELi64ELi4ELi4ELi64ELc84ELc78EKPKfS3_KPfEEvlllT_PT11_llS8_llS6_PT12_llPT13_lli,comdat
	.globl	_ZN12_GLOBAL__N_127rocblas_gemm_batched_kernelIfLi16ELi16ELi64ELi64ELi4ELi64ELi4ELi4ELi64ELc84ELc78EKPKfS3_KPfEEvlllT_PT11_llS8_llS6_PT12_llPT13_lli ; -- Begin function _ZN12_GLOBAL__N_127rocblas_gemm_batched_kernelIfLi16ELi16ELi64ELi64ELi4ELi64ELi4ELi4ELi64ELc84ELc78EKPKfS3_KPfEEvlllT_PT11_llS8_llS6_PT12_llPT13_lli
	.p2align	8
	.type	_ZN12_GLOBAL__N_127rocblas_gemm_batched_kernelIfLi16ELi16ELi64ELi64ELi4ELi64ELi4ELi4ELi64ELc84ELc78EKPKfS3_KPfEEvlllT_PT11_llS8_llS6_PT12_llPT13_lli,@function
_ZN12_GLOBAL__N_127rocblas_gemm_batched_kernelIfLi16ELi16ELi64ELi64ELi4ELi64ELi4ELi4ELi64ELc84ELc78EKPKfS3_KPfEEvlllT_PT11_llS8_llS6_PT12_llPT13_lli: ; @_ZN12_GLOBAL__N_127rocblas_gemm_batched_kernelIfLi16ELi16ELi64ELi64ELi4ELi64ELi4ELi4ELi64ELc84ELc78EKPKfS3_KPfEEvlllT_PT11_llS8_llS6_PT12_llPT13_lli
; %bb.0:
	s_load_dwordx2 s[30:31], s[4:5], 0x10
	s_load_dwordx4 s[0:3], s[4:5], 0x78
	s_load_dwordx8 s[12:19], s[4:5], 0x58
	s_mov_b32 s9, 0
	s_lshl_b64 s[34:35], s[8:9], 3
	s_mov_b32 s10, s7
	v_bfe_u32 v39, v0, 10, 10
	s_waitcnt lgkmcnt(0)
	s_add_u32 s8, s12, s34
	s_addc_u32 s9, s13, s35
	s_load_dwordx2 s[12:13], s[8:9], 0x0
	s_add_u32 s8, s18, s34
	s_addc_u32 s9, s19, s35
	s_load_dwordx2 s[18:19], s[8:9], 0x0
	s_ashr_i32 s7, s6, 31
	s_ashr_i32 s11, s10, 31
	v_cmp_lt_i64_e64 s[8:9], s[30:31], 1
	v_and_b32_e32 v38, 0x3ff, v0
	s_lshl_b64 s[6:7], s[6:7], 6
	s_lshl_b64 s[28:29], s[10:11], 6
	s_and_b64 vcc, exec, s[8:9]
	s_cbranch_vccnz .LBB177_3
; %bb.1:
	s_load_dwordx8 s[20:27], s[4:5], 0x20
	s_load_dwordx4 s[8:11], s[4:5], 0x40
	v_lshlrev_b32_e32 v0, 4, v39
	v_add_u32_e32 v1, v0, v38
	v_lshrrev_b32_e32 v2, 2, v1
	v_and_b32_e32 v5, 3, v38
	v_and_b32_e32 v6, 63, v1
	s_waitcnt lgkmcnt(0)
	s_add_u32 s20, s20, s34
	v_mov_b32_e32 v3, s29
	v_add_co_u32_e32 v4, vcc, s28, v2
	v_lshrrev_b32_e32 v7, 6, v1
	v_lshlrev_b32_e32 v1, 2, v6
	v_lshlrev_b32_e32 v5, 2, v5
	s_addc_u32 s21, s21, s35
	v_addc_co_u32_e32 v3, vcc, 0, v3, vcc
	v_lshl_or_b32 v40, v7, 8, v1
	v_lshl_or_b32 v1, v2, 4, v5
	s_add_u32 s26, s26, s34
	v_add_u32_e32 v41, 0x400, v1
	v_add_u32_e32 v43, 0x400, v0
	v_mul_lo_u32 v2, s9, v4
	v_mul_lo_u32 v3, s8, v3
	v_mad_u64_u32 v[0:1], s[8:9], s8, v4, 0
	s_addc_u32 s27, s27, s35
	v_add3_u32 v1, v1, v3, v2
	s_load_dwordx2 s[26:27], s[26:27], 0x0
	v_lshlrev_b64 v[0:1], 2, v[0:1]
	s_lshl_b64 s[8:9], s[10:11], 2
	v_mov_b32_e32 v2, s9
	v_add_co_u32_e32 v0, vcc, s8, v0
	v_addc_co_u32_e32 v1, vcc, v1, v2, vcc
	v_add_co_u32_e32 v0, vcc, v0, v5
	v_addc_co_u32_e32 v1, vcc, 0, v1, vcc
	s_waitcnt lgkmcnt(0)
	v_mov_b32_e32 v2, s27
	v_add_co_u32_e32 v8, vcc, s26, v0
	v_addc_co_u32_e32 v9, vcc, v2, v1, vcc
	v_mov_b32_e32 v0, s7
	v_add_co_u32_e32 v1, vcc, s6, v6
	v_addc_co_u32_e32 v0, vcc, 0, v0, vcc
	v_mul_lo_u32 v2, s23, v1
	v_mul_lo_u32 v3, s22, v0
	v_mad_u64_u32 v[0:1], s[8:9], s22, v1, 0
	v_add3_u32 v1, v1, v3, v2
	s_load_dwordx2 s[20:21], s[20:21], 0x0
	v_lshlrev_b64 v[0:1], 2, v[0:1]
	s_lshl_b64 s[8:9], s[24:25], 2
	v_mov_b32_e32 v2, s9
	v_add_co_u32_e32 v0, vcc, s8, v0
	v_addc_co_u32_e32 v1, vcc, v1, v2, vcc
	v_lshlrev_b32_e32 v2, 2, v7
	v_add_co_u32_e32 v0, vcc, v0, v2
	v_addc_co_u32_e32 v1, vcc, 0, v1, vcc
	s_waitcnt lgkmcnt(0)
	v_mov_b32_e32 v2, s21
	v_add_co_u32_e32 v10, vcc, s20, v0
	v_mov_b32_e32 v30, 0
	v_lshlrev_b32_e32 v42, 2, v38
	v_addc_co_u32_e32 v11, vcc, v2, v1, vcc
	s_mov_b64 s[8:9], 0
	v_pk_mov_b32 v[12:13], s[30:31], s[30:31] op_sel:[0,1]
	v_mov_b32_e32 v31, 0
	v_mov_b32_e32 v32, 0
	;; [unrolled: 1-line block ×15, first 2 shown]
.LBB177_2:                              ; =>This Inner Loop Header: Depth=1
	global_load_dword v14, v[10:11], off
	global_load_dword v15, v[8:9], off
	v_add_co_u32_e32 v8, vcc, 16, v8
	v_addc_co_u32_e32 v9, vcc, 0, v9, vcc
	s_add_u32 s8, s8, 4
	v_add_co_u32_e32 v10, vcc, 16, v10
	v_addc_co_u32_e32 v11, vcc, 0, v11, vcc
	s_addc_u32 s9, s9, 0
	v_cmp_lt_i64_e32 vcc, s[8:9], v[12:13]
	s_and_b64 vcc, exec, vcc
	s_waitcnt vmcnt(1)
	ds_write_b32 v40, v14
	s_waitcnt vmcnt(0)
	ds_write_b32 v41, v15
	s_waitcnt lgkmcnt(0)
	s_barrier
	ds_read2_b32 v[18:19], v42 offset1:16
	ds_read2_b32 v[14:15], v42 offset0:32 offset1:48
	ds_read2_b32 v[20:21], v42 offset0:64 offset1:80
	;; [unrolled: 1-line block ×5, first 2 shown]
	ds_read_b128 v[44:47], v43
	ds_read2_b32 v[22:23], v42 offset0:192 offset1:208
	ds_read2_b32 v[26:27], v42 offset0:224 offset1:240
	ds_read_b128 v[48:51], v43 offset:256
	ds_read_b128 v[52:55], v43 offset:512
	s_waitcnt lgkmcnt(4)
	v_fmac_f32_e32 v37, v18, v44
	v_fmac_f32_e32 v36, v19, v44
	;; [unrolled: 1-line block ×6, first 2 shown]
	v_mov_b32_e32 v56, v15
	v_mov_b32_e32 v57, v17
	;; [unrolled: 1-line block ×3, first 2 shown]
	s_waitcnt lgkmcnt(2)
	v_mov_b32_e32 v59, v27
	v_fmac_f32_e32 v37, v24, v46
	v_fmac_f32_e32 v36, v25, v46
	;; [unrolled: 1-line block ×3, first 2 shown]
	v_pk_mul_f32 v[66:67], v[56:57], v[44:45]
	v_pk_mul_f32 v[68:69], v[58:59], v[46:47]
	v_fmac_f32_e32 v37, v22, v47
	v_fmac_f32_e32 v36, v23, v47
	;; [unrolled: 1-line block ×3, first 2 shown]
	ds_read_b128 v[44:47], v43 offset:768
	s_waitcnt lgkmcnt(2)
	v_fmac_f32_e32 v34, v19, v48
	v_fmac_f32_e32 v33, v14, v48
	v_fmac_f32_e32 v34, v21, v49
	v_fmac_f32_e32 v33, v16, v49
	v_mul_f32_e32 v62, v18, v48
	v_mul_f32_e32 v64, v20, v49
	v_pk_mul_f32 v[48:49], v[56:57], v[48:49]
	v_fmac_f32_e32 v34, v25, v50
	v_fmac_f32_e32 v33, v28, v50
	s_waitcnt lgkmcnt(0)
	v_fmac_f32_e32 v30, v19, v44
	v_mul_f32_e32 v60, v24, v50
	v_pk_mul_f32 v[70:71], v[58:59], v[50:51]
	v_mov_b32_e32 v61, v68
	v_mul_f32_e32 v68, v22, v51
	v_fmac_f32_e32 v34, v23, v51
	v_fmac_f32_e32 v33, v26, v51
	v_mov_b32_e32 v63, v66
	v_mov_b32_e32 v65, v67
	v_mul_f32_e32 v50, v18, v52
	v_mov_b32_e32 v51, v48
	v_mul_f32_e32 v48, v20, v53
	v_mul_f32_e32 v18, v18, v44
	v_fmac_f32_e32 v30, v21, v45
	v_mul_f32_e32 v20, v20, v45
	v_pk_mul_f32 v[66:67], v[56:57], v[52:53]
	v_fmac_f32_e32 v31, v14, v52
	v_mul_f32_e32 v15, v14, v44
	v_mul_f32_e32 v17, v16, v45
	v_pk_mul_f32 v[44:45], v[56:57], v[44:45]
	v_fmac_f32_e32 v32, v19, v52
	v_mov_b32_e32 v19, v66
	v_fmac_f32_e32 v31, v16, v53
	v_mov_b32_e32 v14, v44
	;; [unrolled: 2-line block ×4, first 2 shown]
	v_pk_mul_f32 v[44:45], v[58:59], v[46:47]
	v_pk_mul_f32 v[52:53], v[58:59], v[54:55]
	v_pk_add_f32 v[6:7], v[6:7], v[62:63]
	v_pk_add_f32 v[4:5], v[4:5], v[50:51]
	;; [unrolled: 1-line block ×4, first 2 shown]
	v_mul_f32_e32 v29, v28, v46
	v_mov_b32_e32 v28, v44
	v_mov_b32_e32 v44, v45
	v_mul_f32_e32 v45, v26, v47
	v_fmac_f32_e32 v31, v26, v55
	v_mul_f32_e32 v26, v24, v54
	v_fmac_f32_e32 v32, v25, v54
	v_fmac_f32_e32 v30, v25, v46
	v_mul_f32_e32 v24, v24, v46
	v_mov_b32_e32 v27, v70
	v_mov_b32_e32 v25, v52
	v_pk_add_f32 v[6:7], v[6:7], v[64:65]
	v_pk_add_f32 v[4:5], v[4:5], v[48:49]
	;; [unrolled: 1-line block ×4, first 2 shown]
	v_mul_f32_e32 v70, v22, v55
	v_mul_f32_e32 v52, v22, v47
	v_pk_add_f32 v[6:7], v[6:7], v[60:61]
	v_pk_add_f32 v[4:5], v[4:5], v[26:27]
	;; [unrolled: 1-line block ×4, first 2 shown]
	v_fmac_f32_e32 v32, v23, v55
	v_fmac_f32_e32 v30, v23, v47
	v_pk_add_f32 v[6:7], v[6:7], v[68:69]
	v_pk_add_f32 v[4:5], v[4:5], v[70:71]
	v_pk_add_f32 v[2:3], v[2:3], v[52:53]
	v_pk_add_f32 v[0:1], v[0:1], v[44:45]
	s_barrier
	s_cbranch_vccnz .LBB177_2
	s_branch .LBB177_4
.LBB177_3:
	v_mov_b32_e32 v37, 0
	v_mov_b32_e32 v36, 0
	;; [unrolled: 1-line block ×16, first 2 shown]
.LBB177_4:
	s_load_dword s8, s[4:5], 0x18
	s_load_dword s9, s[4:5], 0x50
	v_mov_b32_e32 v8, s29
	v_add_co_u32_e32 v10, vcc, s28, v39
	s_lshl_b64 s[2:3], s[2:3], 2
	v_addc_co_u32_e32 v13, vcc, 0, v8, vcc
	s_waitcnt lgkmcnt(0)
	s_add_u32 s4, s18, s2
	v_mov_b32_e32 v9, s7
	v_add_co_u32_e32 v8, vcc, s6, v38
	s_addc_u32 s5, s19, s3
	v_cmp_neq_f32_e64 s[2:3], s9, 0
	v_addc_co_u32_e32 v9, vcc, 0, v9, vcc
	s_and_b64 vcc, exec, s[2:3]
	v_mul_lo_u32 v11, v13, s0
	v_mul_lo_u32 v12, v10, s1
	v_lshlrev_b64 v[8:9], 2, v[8:9]
	s_cbranch_vccnz .LBB177_8
; %bb.5:
	v_mad_u64_u32 v[14:15], s[2:3], v10, s0, 0
	v_add3_u32 v15, v15, v12, v11
	v_lshlrev_b64 v[14:15], 2, v[14:15]
	v_mov_b32_e32 v16, s5
	v_add_co_u32_e32 v14, vcc, s4, v14
	v_addc_co_u32_e32 v15, vcc, v16, v15, vcc
	v_add_co_u32_e32 v14, vcc, v14, v8
	v_mul_f32_e32 v16, s8, v37
	v_addc_co_u32_e32 v15, vcc, v15, v9, vcc
	global_store_dword v[14:15], v16, off
	v_mul_f32_e32 v16, s8, v36
	global_store_dword v[14:15], v16, off offset:64
	v_mul_f32_e32 v16, s8, v35
	global_store_dword v[14:15], v16, off offset:128
	v_mul_f32_e32 v16, s8, v7
	s_lshl_b64 s[2:3], s[0:1], 6
	global_store_dword v[14:15], v16, off offset:192
	v_mov_b32_e32 v17, s3
	v_add_co_u32_e32 v14, vcc, s2, v14
	v_mul_f32_e32 v16, s8, v6
	v_addc_co_u32_e32 v15, vcc, v15, v17, vcc
	global_store_dword v[14:15], v16, off
	v_mul_f32_e32 v16, s8, v34
	global_store_dword v[14:15], v16, off offset:64
	v_mul_f32_e32 v16, s8, v33
	global_store_dword v[14:15], v16, off offset:128
	v_mul_f32_e32 v16, s8, v5
	global_store_dword v[14:15], v16, off offset:192
	v_add_co_u32_e32 v14, vcc, s2, v14
	v_mul_f32_e32 v16, s8, v4
	v_addc_co_u32_e32 v15, vcc, v15, v17, vcc
	global_store_dword v[14:15], v16, off
	v_mul_f32_e32 v16, s8, v32
	global_store_dword v[14:15], v16, off offset:64
	v_mul_f32_e32 v16, s8, v31
	global_store_dword v[14:15], v16, off offset:128
	v_mul_f32_e32 v16, s8, v3
	global_store_dword v[14:15], v16, off offset:192
	;; [unrolled: 10-line block ×3, first 2 shown]
	s_cbranch_execnz .LBB177_7
.LBB177_6:
	s_lshl_b64 s[2:3], s[16:17], 2
	s_add_u32 s6, s12, s2
	s_addc_u32 s7, s13, s3
	v_mul_lo_u32 v13, v13, s14
	v_mul_lo_u32 v16, v10, s15
	v_mad_u64_u32 v[14:15], s[2:3], v10, s14, 0
	v_add3_u32 v15, v15, v16, v13
	v_lshlrev_b64 v[14:15], 2, v[14:15]
	v_mov_b32_e32 v13, s7
	v_add_co_u32_e32 v14, vcc, s6, v14
	v_addc_co_u32_e32 v13, vcc, v13, v15, vcc
	v_add_co_u32_e32 v14, vcc, v14, v8
	v_addc_co_u32_e32 v15, vcc, v13, v9, vcc
	global_load_dword v13, v[14:15], off
	v_mad_u64_u32 v[16:17], s[2:3], v10, s0, 0
	v_add3_u32 v17, v17, v12, v11
	v_lshlrev_b64 v[10:11], 2, v[16:17]
	v_mov_b32_e32 v18, s5
	v_add_co_u32_e32 v10, vcc, s4, v10
	v_addc_co_u32_e32 v11, vcc, v18, v11, vcc
	v_add_co_u32_e32 v8, vcc, v10, v8
	v_addc_co_u32_e32 v9, vcc, v11, v9, vcc
	s_lshl_b64 s[2:3], s[14:15], 6
	s_lshl_b64 s[0:1], s[0:1], 6
	s_waitcnt vmcnt(0)
	v_mul_f32_e32 v10, s9, v13
	v_fmac_f32_e32 v10, s8, v37
	global_store_dword v[8:9], v10, off
	global_load_dword v10, v[14:15], off offset:64
	v_mov_b32_e32 v13, s3
	s_waitcnt vmcnt(0)
	v_mul_f32_e32 v10, s9, v10
	v_fmac_f32_e32 v10, s8, v36
	global_store_dword v[8:9], v10, off offset:64
	global_load_dword v10, v[14:15], off offset:128
	s_waitcnt vmcnt(0)
	v_mul_f32_e32 v10, s9, v10
	v_fmac_f32_e32 v10, s8, v35
	global_store_dword v[8:9], v10, off offset:128
	global_load_dword v12, v[14:15], off offset:192
	v_add_co_u32_e32 v10, vcc, s2, v14
	v_addc_co_u32_e32 v11, vcc, v15, v13, vcc
	s_waitcnt vmcnt(0)
	v_mul_f32_e32 v12, s9, v12
	v_fmac_f32_e32 v12, s8, v7
	global_store_dword v[8:9], v12, off offset:192
	global_load_dword v7, v[10:11], off
	v_mov_b32_e32 v12, s1
	v_add_co_u32_e32 v8, vcc, s0, v8
	v_addc_co_u32_e32 v9, vcc, v9, v12, vcc
	s_waitcnt vmcnt(0)
	v_mul_f32_e32 v7, s9, v7
	v_fmac_f32_e32 v7, s8, v6
	global_store_dword v[8:9], v7, off
	global_load_dword v6, v[10:11], off offset:64
	s_waitcnt vmcnt(0)
	v_mul_f32_e32 v6, s9, v6
	v_fmac_f32_e32 v6, s8, v34
	global_store_dword v[8:9], v6, off offset:64
	global_load_dword v6, v[10:11], off offset:128
	s_waitcnt vmcnt(0)
	v_mul_f32_e32 v6, s9, v6
	v_fmac_f32_e32 v6, s8, v33
	global_store_dword v[8:9], v6, off offset:128
	global_load_dword v14, v[10:11], off offset:192
	v_add_co_u32_e32 v6, vcc, s2, v10
	v_addc_co_u32_e32 v7, vcc, v11, v13, vcc
	s_waitcnt vmcnt(0)
	v_mul_f32_e32 v10, s9, v14
	v_fmac_f32_e32 v10, s8, v5
	global_store_dword v[8:9], v10, off offset:192
	global_load_dword v5, v[6:7], off
	v_add_co_u32_e32 v8, vcc, s0, v8
	v_addc_co_u32_e32 v9, vcc, v9, v12, vcc
	s_waitcnt vmcnt(0)
	v_mul_f32_e32 v5, s9, v5
	v_fmac_f32_e32 v5, s8, v4
	global_store_dword v[8:9], v5, off
	global_load_dword v4, v[6:7], off offset:64
	s_waitcnt vmcnt(0)
	v_mul_f32_e32 v4, s9, v4
	v_fmac_f32_e32 v4, s8, v32
	global_store_dword v[8:9], v4, off offset:64
	global_load_dword v4, v[6:7], off offset:128
	s_waitcnt vmcnt(0)
	v_mul_f32_e32 v4, s9, v4
	v_fmac_f32_e32 v4, s8, v31
	global_store_dword v[8:9], v4, off offset:128
	global_load_dword v10, v[6:7], off offset:192
	v_add_co_u32_e32 v4, vcc, s2, v6
	v_addc_co_u32_e32 v5, vcc, v7, v13, vcc
	s_waitcnt vmcnt(0)
	v_mul_f32_e32 v6, s9, v10
	v_fmac_f32_e32 v6, s8, v3
	global_store_dword v[8:9], v6, off offset:192
	global_load_dword v3, v[4:5], off
	s_waitcnt vmcnt(0)
	v_mul_f32_e32 v6, s9, v3
	v_fmac_f32_e32 v6, s8, v2
	v_add_co_u32_e32 v2, vcc, s0, v8
	v_addc_co_u32_e32 v3, vcc, v9, v12, vcc
	global_store_dword v[2:3], v6, off
	global_load_dword v6, v[4:5], off offset:64
	s_waitcnt vmcnt(0)
	v_mul_f32_e32 v6, s9, v6
	v_fmac_f32_e32 v6, s8, v30
	global_store_dword v[2:3], v6, off offset:64
	global_load_dword v6, v[4:5], off offset:128
	s_waitcnt vmcnt(0)
	v_mul_f32_e32 v6, s9, v6
	v_fmac_f32_e32 v6, s8, v1
	global_store_dword v[2:3], v6, off offset:128
	;; [unrolled: 5-line block ×3, first 2 shown]
.LBB177_7:
	s_endpgm
.LBB177_8:
	s_branch .LBB177_6
	.section	.rodata,"a",@progbits
	.p2align	6, 0x0
	.amdhsa_kernel _ZN12_GLOBAL__N_127rocblas_gemm_batched_kernelIfLi16ELi16ELi64ELi64ELi4ELi64ELi4ELi4ELi64ELc84ELc78EKPKfS3_KPfEEvlllT_PT11_llS8_llS6_PT12_llPT13_lli
		.amdhsa_group_segment_fixed_size 2048
		.amdhsa_private_segment_fixed_size 0
		.amdhsa_kernarg_size 140
		.amdhsa_user_sgpr_count 6
		.amdhsa_user_sgpr_private_segment_buffer 1
		.amdhsa_user_sgpr_dispatch_ptr 0
		.amdhsa_user_sgpr_queue_ptr 0
		.amdhsa_user_sgpr_kernarg_segment_ptr 1
		.amdhsa_user_sgpr_dispatch_id 0
		.amdhsa_user_sgpr_flat_scratch_init 0
		.amdhsa_user_sgpr_kernarg_preload_length 0
		.amdhsa_user_sgpr_kernarg_preload_offset 0
		.amdhsa_user_sgpr_private_segment_size 0
		.amdhsa_uses_dynamic_stack 0
		.amdhsa_system_sgpr_private_segment_wavefront_offset 0
		.amdhsa_system_sgpr_workgroup_id_x 1
		.amdhsa_system_sgpr_workgroup_id_y 1
		.amdhsa_system_sgpr_workgroup_id_z 1
		.amdhsa_system_sgpr_workgroup_info 0
		.amdhsa_system_vgpr_workitem_id 1
		.amdhsa_next_free_vgpr 72
		.amdhsa_next_free_sgpr 36
		.amdhsa_accum_offset 72
		.amdhsa_reserve_vcc 1
		.amdhsa_reserve_flat_scratch 0
		.amdhsa_float_round_mode_32 0
		.amdhsa_float_round_mode_16_64 0
		.amdhsa_float_denorm_mode_32 3
		.amdhsa_float_denorm_mode_16_64 3
		.amdhsa_dx10_clamp 1
		.amdhsa_ieee_mode 1
		.amdhsa_fp16_overflow 0
		.amdhsa_tg_split 0
		.amdhsa_exception_fp_ieee_invalid_op 0
		.amdhsa_exception_fp_denorm_src 0
		.amdhsa_exception_fp_ieee_div_zero 0
		.amdhsa_exception_fp_ieee_overflow 0
		.amdhsa_exception_fp_ieee_underflow 0
		.amdhsa_exception_fp_ieee_inexact 0
		.amdhsa_exception_int_div_zero 0
	.end_amdhsa_kernel
	.section	.text._ZN12_GLOBAL__N_127rocblas_gemm_batched_kernelIfLi16ELi16ELi64ELi64ELi4ELi64ELi4ELi4ELi64ELc84ELc78EKPKfS3_KPfEEvlllT_PT11_llS8_llS6_PT12_llPT13_lli,"axG",@progbits,_ZN12_GLOBAL__N_127rocblas_gemm_batched_kernelIfLi16ELi16ELi64ELi64ELi4ELi64ELi4ELi4ELi64ELc84ELc78EKPKfS3_KPfEEvlllT_PT11_llS8_llS6_PT12_llPT13_lli,comdat
.Lfunc_end177:
	.size	_ZN12_GLOBAL__N_127rocblas_gemm_batched_kernelIfLi16ELi16ELi64ELi64ELi4ELi64ELi4ELi4ELi64ELc84ELc78EKPKfS3_KPfEEvlllT_PT11_llS8_llS6_PT12_llPT13_lli, .Lfunc_end177-_ZN12_GLOBAL__N_127rocblas_gemm_batched_kernelIfLi16ELi16ELi64ELi64ELi4ELi64ELi4ELi4ELi64ELc84ELc78EKPKfS3_KPfEEvlllT_PT11_llS8_llS6_PT12_llPT13_lli
                                        ; -- End function
	.section	.AMDGPU.csdata,"",@progbits
; Kernel info:
; codeLenInByte = 2224
; NumSgprs: 40
; NumVgprs: 72
; NumAgprs: 0
; TotalNumVgprs: 72
; ScratchSize: 0
; MemoryBound: 0
; FloatMode: 240
; IeeeMode: 1
; LDSByteSize: 2048 bytes/workgroup (compile time only)
; SGPRBlocks: 4
; VGPRBlocks: 8
; NumSGPRsForWavesPerEU: 40
; NumVGPRsForWavesPerEU: 72
; AccumOffset: 72
; Occupancy: 7
; WaveLimiterHint : 1
; COMPUTE_PGM_RSRC2:SCRATCH_EN: 0
; COMPUTE_PGM_RSRC2:USER_SGPR: 6
; COMPUTE_PGM_RSRC2:TRAP_HANDLER: 0
; COMPUTE_PGM_RSRC2:TGID_X_EN: 1
; COMPUTE_PGM_RSRC2:TGID_Y_EN: 1
; COMPUTE_PGM_RSRC2:TGID_Z_EN: 1
; COMPUTE_PGM_RSRC2:TIDIG_COMP_CNT: 1
; COMPUTE_PGM_RSRC3_GFX90A:ACCUM_OFFSET: 17
; COMPUTE_PGM_RSRC3_GFX90A:TG_SPLIT: 0
	.section	.text._ZN12_GLOBAL__N_127rocblas_gemm_batched_kernelIfLi16ELi16ELi64ELi64ELi4ELi64ELi4ELi4ELi64ELc78ELc84EKPKfS3_KPfEEvlllT_PT11_llS8_llS6_PT12_llPT13_lli,"axG",@progbits,_ZN12_GLOBAL__N_127rocblas_gemm_batched_kernelIfLi16ELi16ELi64ELi64ELi4ELi64ELi4ELi4ELi64ELc78ELc84EKPKfS3_KPfEEvlllT_PT11_llS8_llS6_PT12_llPT13_lli,comdat
	.globl	_ZN12_GLOBAL__N_127rocblas_gemm_batched_kernelIfLi16ELi16ELi64ELi64ELi4ELi64ELi4ELi4ELi64ELc78ELc84EKPKfS3_KPfEEvlllT_PT11_llS8_llS6_PT12_llPT13_lli ; -- Begin function _ZN12_GLOBAL__N_127rocblas_gemm_batched_kernelIfLi16ELi16ELi64ELi64ELi4ELi64ELi4ELi4ELi64ELc78ELc84EKPKfS3_KPfEEvlllT_PT11_llS8_llS6_PT12_llPT13_lli
	.p2align	8
	.type	_ZN12_GLOBAL__N_127rocblas_gemm_batched_kernelIfLi16ELi16ELi64ELi64ELi4ELi64ELi4ELi4ELi64ELc78ELc84EKPKfS3_KPfEEvlllT_PT11_llS8_llS6_PT12_llPT13_lli,@function
_ZN12_GLOBAL__N_127rocblas_gemm_batched_kernelIfLi16ELi16ELi64ELi64ELi4ELi64ELi4ELi4ELi64ELc78ELc84EKPKfS3_KPfEEvlllT_PT11_llS8_llS6_PT12_llPT13_lli: ; @_ZN12_GLOBAL__N_127rocblas_gemm_batched_kernelIfLi16ELi16ELi64ELi64ELi4ELi64ELi4ELi4ELi64ELc78ELc84EKPKfS3_KPfEEvlllT_PT11_llS8_llS6_PT12_llPT13_lli
; %bb.0:
	s_load_dwordx2 s[30:31], s[4:5], 0x10
	s_load_dwordx4 s[0:3], s[4:5], 0x78
	s_load_dwordx8 s[12:19], s[4:5], 0x58
	s_mov_b32 s9, 0
	s_lshl_b64 s[34:35], s[8:9], 3
	s_mov_b32 s10, s7
	v_bfe_u32 v35, v0, 10, 10
	s_waitcnt lgkmcnt(0)
	s_add_u32 s8, s12, s34
	s_addc_u32 s9, s13, s35
	s_load_dwordx2 s[12:13], s[8:9], 0x0
	s_add_u32 s8, s18, s34
	s_addc_u32 s9, s19, s35
	s_load_dwordx2 s[18:19], s[8:9], 0x0
	s_ashr_i32 s7, s6, 31
	s_ashr_i32 s11, s10, 31
	v_cmp_lt_i64_e64 s[8:9], s[30:31], 1
	v_and_b32_e32 v33, 0x3ff, v0
	s_lshl_b64 s[6:7], s[6:7], 6
	s_lshl_b64 s[28:29], s[10:11], 6
	s_and_b64 vcc, exec, s[8:9]
	s_cbranch_vccnz .LBB178_3
; %bb.1:
	s_load_dwordx8 s[20:27], s[4:5], 0x20
	s_load_dwordx4 s[8:11], s[4:5], 0x40
	v_lshlrev_b32_e32 v2, 4, v35
	v_add_u32_e32 v3, v2, v33
	v_and_b32_e32 v6, 63, v3
	s_waitcnt lgkmcnt(0)
	s_add_u32 s20, s20, s34
	s_addc_u32 s21, s21, s35
	s_add_u32 s26, s26, s34
	v_lshrrev_b32_e32 v0, 2, v3
	v_and_b32_e32 v4, 3, v33
	v_lshrrev_b32_e32 v7, 6, v3
	v_lshlrev_b32_e32 v3, 2, v6
	s_addc_u32 s27, s27, s35
	v_lshl_or_b32 v36, v7, 8, v3
	v_lshlrev_b32_e32 v3, 2, v4
	s_load_dwordx2 s[26:27], s[26:27], 0x0
	v_mov_b32_e32 v1, 0
	v_lshl_or_b32 v3, v0, 4, v3
	v_add_u32_e32 v37, 0x400, v3
	v_add_u32_e32 v39, 0x400, v2
	v_mad_u64_u32 v[2:3], s[34:35], v4, s8, v[0:1]
	v_mov_b32_e32 v0, v3
	v_mad_u64_u32 v[4:5], s[34:35], v4, s9, v[0:1]
	s_lshl_b64 s[10:11], s[10:11], 2
	v_mov_b32_e32 v3, v4
	v_mov_b32_e32 v0, s29
	v_add_co_u32_e32 v2, vcc, s28, v2
	v_addc_co_u32_e32 v3, vcc, v3, v0, vcc
	s_waitcnt lgkmcnt(0)
	s_add_u32 s10, s26, s10
	v_lshlrev_b64 v[2:3], 2, v[2:3]
	s_addc_u32 s11, s27, s11
	v_mov_b32_e32 v0, s11
	v_add_co_u32_e32 v10, vcc, s10, v2
	s_load_dwordx2 s[20:21], s[20:21], 0x0
	v_addc_co_u32_e32 v11, vcc, v0, v3, vcc
	v_pk_mov_b32 v[2:3], s[6:7], s[6:7] op_sel:[0,1]
	s_lshl_b64 s[10:11], s[24:25], 2
	v_mad_u64_u32 v[2:3], s[24:25], v7, s22, v[2:3]
	v_mov_b32_e32 v0, v3
	v_mad_u64_u32 v[4:5], s[24:25], v7, s23, v[0:1]
	s_lshl_b64 s[8:9], s[8:9], 4
	v_mov_b32_e32 v3, v4
	v_add_co_u32_e32 v2, vcc, v2, v6
	v_addc_co_u32_e32 v3, vcc, 0, v3, vcc
	s_waitcnt lgkmcnt(0)
	s_add_u32 s10, s20, s10
	v_lshlrev_b64 v[2:3], 2, v[2:3]
	s_addc_u32 s11, s21, s11
	v_mov_b32_e32 v0, s11
	v_add_co_u32_e32 v12, vcc, s10, v2
	s_lshl_b64 s[10:11], s[22:23], 4
	v_lshlrev_b32_e32 v38, 2, v33
	v_addc_co_u32_e32 v13, vcc, v0, v3, vcc
	s_mov_b64 s[20:21], 0
	v_mov_b32_e32 v40, s9
	v_mov_b32_e32 v41, s11
	v_pk_mov_b32 v[14:15], s[30:31], s[30:31] op_sel:[0,1]
	v_mov_b32_e32 v0, v1
	v_mov_b32_e32 v28, v1
	;; [unrolled: 1-line block ×15, first 2 shown]
.LBB178_2:                              ; =>This Inner Loop Header: Depth=1
	global_load_dword v16, v[12:13], off
	global_load_dword v17, v[10:11], off
	v_add_co_u32_e32 v10, vcc, s8, v10
	v_addc_co_u32_e32 v11, vcc, v11, v40, vcc
	s_add_u32 s20, s20, 4
	v_add_co_u32_e32 v12, vcc, s10, v12
	v_addc_co_u32_e32 v13, vcc, v13, v41, vcc
	s_addc_u32 s21, s21, 0
	v_cmp_lt_i64_e32 vcc, s[20:21], v[14:15]
	s_and_b64 vcc, exec, vcc
	s_waitcnt vmcnt(1)
	ds_write_b32 v36, v16
	s_waitcnt vmcnt(0)
	ds_write_b32 v37, v17
	s_waitcnt lgkmcnt(0)
	s_barrier
	ds_read2_b32 v[20:21], v38 offset1:16
	ds_read2_b32 v[16:17], v38 offset0:32 offset1:48
	ds_read2_b32 v[22:23], v38 offset0:64 offset1:80
	;; [unrolled: 1-line block ×4, first 2 shown]
	ds_read_b128 v[42:45], v39
	ds_read2_b32 v[50:51], v38 offset0:160 offset1:176
	ds_read2_b32 v[26:27], v38 offset0:192 offset1:208
	;; [unrolled: 1-line block ×3, first 2 shown]
	ds_read_b128 v[46:49], v39 offset:256
	s_waitcnt lgkmcnt(4)
	v_fmac_f32_e32 v34, v20, v42
	v_fmac_f32_e32 v32, v21, v42
	;; [unrolled: 1-line block ×3, first 2 shown]
	s_waitcnt lgkmcnt(3)
	v_mov_b32_e32 v56, v51
	s_waitcnt lgkmcnt(0)
	v_fmac_f32_e32 v30, v21, v46
	v_fmac_f32_e32 v29, v16, v46
	v_mov_b32_e32 v57, v53
	v_fmac_f32_e32 v34, v22, v43
	v_fmac_f32_e32 v32, v23, v43
	;; [unrolled: 1-line block ×5, first 2 shown]
	v_mov_b32_e32 v54, v17
	v_mov_b32_e32 v55, v19
	v_pk_mul_f32 v[66:67], v[56:57], v[44:45]
	v_fmac_f32_e32 v34, v24, v44
	v_fmac_f32_e32 v32, v25, v44
	v_fmac_f32_e32 v31, v50, v44
	v_fmac_f32_e32 v30, v25, v48
	v_fmac_f32_e32 v29, v50, v48
	v_mul_f32_e32 v58, v24, v48
	v_mul_f32_e32 v60, v20, v46
	;; [unrolled: 1-line block ×3, first 2 shown]
	v_pk_mul_f32 v[64:65], v[54:55], v[42:43]
	v_fmac_f32_e32 v34, v26, v45
	v_fmac_f32_e32 v32, v27, v45
	;; [unrolled: 1-line block ×3, first 2 shown]
	v_pk_mul_f32 v[68:69], v[54:55], v[46:47]
	v_pk_mul_f32 v[70:71], v[56:57], v[48:49]
	v_mov_b32_e32 v59, v66
	v_mul_f32_e32 v66, v26, v49
	v_fmac_f32_e32 v30, v27, v49
	v_fmac_f32_e32 v29, v52, v49
	ds_read_b128 v[42:45], v39 offset:512
	ds_read_b128 v[46:49], v39 offset:768
	v_mov_b32_e32 v61, v64
	v_mov_b32_e32 v75, v68
	v_mov_b32_e32 v73, v70
	s_waitcnt lgkmcnt(1)
	v_fmac_f32_e32 v28, v21, v42
	v_fmac_f32_e32 v0, v16, v42
	;; [unrolled: 1-line block ×4, first 2 shown]
	v_mul_f32_e32 v74, v20, v42
	v_mul_f32_e32 v76, v22, v43
	v_pk_mul_f32 v[42:43], v[54:55], v[42:43]
	s_waitcnt lgkmcnt(0)
	v_fmac_f32_e32 v1, v21, v46
	v_fmac_f32_e32 v1, v23, v47
	v_mov_b32_e32 v21, v42
	v_mov_b32_e32 v23, v43
	v_pk_mul_f32 v[42:43], v[54:55], v[46:47]
	v_fmac_f32_e32 v28, v25, v44
	v_fmac_f32_e32 v0, v50, v44
	v_mul_f32_e32 v20, v20, v46
	v_mul_f32_e32 v17, v16, v46
	v_mov_b32_e32 v16, v42
	v_mul_f32_e32 v72, v24, v44
	v_mul_f32_e32 v70, v26, v45
	v_fmac_f32_e32 v28, v27, v45
	v_fmac_f32_e32 v0, v52, v45
	v_pk_mul_f32 v[44:45], v[56:57], v[44:45]
	v_mov_b32_e32 v63, v65
	v_mov_b32_e32 v77, v69
	v_mul_f32_e32 v22, v22, v47
	v_mul_f32_e32 v19, v18, v47
	v_mov_b32_e32 v18, v43
	v_mul_f32_e32 v43, v50, v48
	v_pk_mul_f32 v[50:51], v[56:57], v[48:49]
	v_pk_add_f32 v[8:9], v[8:9], v[60:61]
	v_pk_add_f32 v[6:7], v[6:7], v[74:75]
	;; [unrolled: 1-line block ×4, first 2 shown]
	v_mov_b32_e32 v42, v50
	v_fmac_f32_e32 v1, v25, v48
	v_mul_f32_e32 v24, v24, v48
	v_mov_b32_e32 v25, v44
	v_pk_add_f32 v[8:9], v[8:9], v[62:63]
	v_pk_add_f32 v[6:7], v[6:7], v[76:77]
	;; [unrolled: 1-line block ×4, first 2 shown]
	v_mul_f32_e32 v47, v52, v49
	v_mov_b32_e32 v46, v51
	v_mul_f32_e32 v44, v26, v49
	v_pk_add_f32 v[8:9], v[8:9], v[58:59]
	v_pk_add_f32 v[6:7], v[6:7], v[72:73]
	;; [unrolled: 1-line block ×4, first 2 shown]
	v_fmac_f32_e32 v1, v27, v49
	v_pk_add_f32 v[8:9], v[8:9], v[66:67]
	v_pk_add_f32 v[6:7], v[6:7], v[70:71]
	;; [unrolled: 1-line block ×4, first 2 shown]
	s_barrier
	s_cbranch_vccnz .LBB178_2
	s_branch .LBB178_4
.LBB178_3:
	v_mov_b32_e32 v34, 0
	v_mov_b32_e32 v32, 0
	;; [unrolled: 1-line block ×16, first 2 shown]
.LBB178_4:
	s_load_dword s8, s[4:5], 0x18
	s_load_dword s9, s[4:5], 0x50
	v_mov_b32_e32 v10, s29
	v_add_co_u32_e32 v12, vcc, s28, v35
	s_lshl_b64 s[2:3], s[2:3], 2
	v_addc_co_u32_e32 v15, vcc, 0, v10, vcc
	s_waitcnt lgkmcnt(0)
	s_add_u32 s4, s18, s2
	v_mov_b32_e32 v11, s7
	v_add_co_u32_e32 v10, vcc, s6, v33
	s_addc_u32 s5, s19, s3
	v_cmp_neq_f32_e64 s[2:3], s9, 0
	v_addc_co_u32_e32 v11, vcc, 0, v11, vcc
	s_and_b64 vcc, exec, s[2:3]
	v_mul_lo_u32 v13, v15, s0
	v_mul_lo_u32 v14, v12, s1
	v_lshlrev_b64 v[10:11], 2, v[10:11]
	s_cbranch_vccnz .LBB178_8
; %bb.5:
	v_mad_u64_u32 v[16:17], s[2:3], v12, s0, 0
	v_add3_u32 v17, v17, v14, v13
	v_lshlrev_b64 v[16:17], 2, v[16:17]
	v_mov_b32_e32 v18, s5
	v_add_co_u32_e32 v16, vcc, s4, v16
	v_addc_co_u32_e32 v17, vcc, v18, v17, vcc
	v_add_co_u32_e32 v16, vcc, v16, v10
	v_mul_f32_e32 v18, s8, v34
	v_addc_co_u32_e32 v17, vcc, v17, v11, vcc
	global_store_dword v[16:17], v18, off
	v_mul_f32_e32 v18, s8, v32
	global_store_dword v[16:17], v18, off offset:64
	v_mul_f32_e32 v18, s8, v31
	global_store_dword v[16:17], v18, off offset:128
	v_mul_f32_e32 v18, s8, v9
	s_lshl_b64 s[2:3], s[0:1], 6
	global_store_dword v[16:17], v18, off offset:192
	v_mov_b32_e32 v19, s3
	v_add_co_u32_e32 v16, vcc, s2, v16
	v_mul_f32_e32 v18, s8, v8
	v_addc_co_u32_e32 v17, vcc, v17, v19, vcc
	global_store_dword v[16:17], v18, off
	v_mul_f32_e32 v18, s8, v30
	global_store_dword v[16:17], v18, off offset:64
	v_mul_f32_e32 v18, s8, v29
	global_store_dword v[16:17], v18, off offset:128
	v_mul_f32_e32 v18, s8, v7
	global_store_dword v[16:17], v18, off offset:192
	v_add_co_u32_e32 v16, vcc, s2, v16
	v_mul_f32_e32 v18, s8, v6
	v_addc_co_u32_e32 v17, vcc, v17, v19, vcc
	global_store_dword v[16:17], v18, off
	v_mul_f32_e32 v18, s8, v28
	global_store_dword v[16:17], v18, off offset:64
	v_mul_f32_e32 v18, s8, v0
	global_store_dword v[16:17], v18, off offset:128
	v_mul_f32_e32 v18, s8, v5
	global_store_dword v[16:17], v18, off offset:192
	;; [unrolled: 10-line block ×3, first 2 shown]
	s_cbranch_execnz .LBB178_7
.LBB178_6:
	s_lshl_b64 s[2:3], s[16:17], 2
	s_add_u32 s6, s12, s2
	s_addc_u32 s7, s13, s3
	v_mul_lo_u32 v15, v15, s14
	v_mul_lo_u32 v18, v12, s15
	v_mad_u64_u32 v[16:17], s[2:3], v12, s14, 0
	v_add3_u32 v17, v17, v18, v15
	v_lshlrev_b64 v[16:17], 2, v[16:17]
	v_mov_b32_e32 v15, s7
	v_add_co_u32_e32 v16, vcc, s6, v16
	v_addc_co_u32_e32 v15, vcc, v15, v17, vcc
	v_add_co_u32_e32 v16, vcc, v16, v10
	v_addc_co_u32_e32 v17, vcc, v15, v11, vcc
	global_load_dword v15, v[16:17], off
	v_mad_u64_u32 v[18:19], s[2:3], v12, s0, 0
	v_add3_u32 v19, v19, v14, v13
	v_lshlrev_b64 v[12:13], 2, v[18:19]
	v_mov_b32_e32 v20, s5
	v_add_co_u32_e32 v12, vcc, s4, v12
	v_addc_co_u32_e32 v13, vcc, v20, v13, vcc
	v_add_co_u32_e32 v10, vcc, v12, v10
	v_addc_co_u32_e32 v11, vcc, v13, v11, vcc
	s_lshl_b64 s[2:3], s[14:15], 6
	s_lshl_b64 s[0:1], s[0:1], 6
	s_waitcnt vmcnt(0)
	v_mul_f32_e32 v12, s9, v15
	v_fmac_f32_e32 v12, s8, v34
	global_store_dword v[10:11], v12, off
	global_load_dword v12, v[16:17], off offset:64
	v_mov_b32_e32 v15, s3
	s_waitcnt vmcnt(0)
	v_mul_f32_e32 v12, s9, v12
	v_fmac_f32_e32 v12, s8, v32
	global_store_dword v[10:11], v12, off offset:64
	global_load_dword v12, v[16:17], off offset:128
	s_waitcnt vmcnt(0)
	v_mul_f32_e32 v12, s9, v12
	v_fmac_f32_e32 v12, s8, v31
	global_store_dword v[10:11], v12, off offset:128
	global_load_dword v14, v[16:17], off offset:192
	v_add_co_u32_e32 v12, vcc, s2, v16
	v_addc_co_u32_e32 v13, vcc, v17, v15, vcc
	s_waitcnt vmcnt(0)
	v_mul_f32_e32 v14, s9, v14
	v_fmac_f32_e32 v14, s8, v9
	global_store_dword v[10:11], v14, off offset:192
	global_load_dword v9, v[12:13], off
	v_mov_b32_e32 v14, s1
	v_add_co_u32_e32 v10, vcc, s0, v10
	v_addc_co_u32_e32 v11, vcc, v11, v14, vcc
	s_waitcnt vmcnt(0)
	v_mul_f32_e32 v9, s9, v9
	v_fmac_f32_e32 v9, s8, v8
	global_store_dword v[10:11], v9, off
	global_load_dword v8, v[12:13], off offset:64
	s_waitcnt vmcnt(0)
	v_mul_f32_e32 v8, s9, v8
	v_fmac_f32_e32 v8, s8, v30
	global_store_dword v[10:11], v8, off offset:64
	global_load_dword v8, v[12:13], off offset:128
	s_waitcnt vmcnt(0)
	v_mul_f32_e32 v8, s9, v8
	v_fmac_f32_e32 v8, s8, v29
	global_store_dword v[10:11], v8, off offset:128
	global_load_dword v16, v[12:13], off offset:192
	v_add_co_u32_e32 v8, vcc, s2, v12
	v_addc_co_u32_e32 v9, vcc, v13, v15, vcc
	s_waitcnt vmcnt(0)
	v_mul_f32_e32 v12, s9, v16
	v_fmac_f32_e32 v12, s8, v7
	global_store_dword v[10:11], v12, off offset:192
	global_load_dword v7, v[8:9], off
	v_add_co_u32_e32 v10, vcc, s0, v10
	v_addc_co_u32_e32 v11, vcc, v11, v14, vcc
	s_waitcnt vmcnt(0)
	v_mul_f32_e32 v7, s9, v7
	v_fmac_f32_e32 v7, s8, v6
	global_store_dword v[10:11], v7, off
	global_load_dword v6, v[8:9], off offset:64
	s_waitcnt vmcnt(0)
	v_mul_f32_e32 v6, s9, v6
	v_fmac_f32_e32 v6, s8, v28
	global_store_dword v[10:11], v6, off offset:64
	global_load_dword v6, v[8:9], off offset:128
	s_waitcnt vmcnt(0)
	v_mul_f32_e32 v6, s9, v6
	v_fmac_f32_e32 v6, s8, v0
	global_store_dword v[10:11], v6, off offset:128
	global_load_dword v0, v[8:9], off offset:192
	v_add_co_u32_e32 v6, vcc, s2, v8
	v_addc_co_u32_e32 v7, vcc, v9, v15, vcc
	s_waitcnt vmcnt(0)
	v_mul_f32_e32 v0, s9, v0
	v_fmac_f32_e32 v0, s8, v5
	global_store_dword v[10:11], v0, off offset:192
	global_load_dword v0, v[6:7], off
	s_waitcnt vmcnt(0)
	v_mul_f32_e32 v0, s9, v0
	v_fmac_f32_e32 v0, s8, v4
	v_add_co_u32_e32 v4, vcc, s0, v10
	v_addc_co_u32_e32 v5, vcc, v11, v14, vcc
	global_store_dword v[4:5], v0, off
	global_load_dword v0, v[6:7], off offset:64
	s_waitcnt vmcnt(0)
	v_mul_f32_e32 v0, s9, v0
	v_fmac_f32_e32 v0, s8, v1
	global_store_dword v[4:5], v0, off offset:64
	global_load_dword v0, v[6:7], off offset:128
	s_waitcnt vmcnt(0)
	v_mul_f32_e32 v0, s9, v0
	v_fmac_f32_e32 v0, s8, v3
	global_store_dword v[4:5], v0, off offset:128
	;; [unrolled: 5-line block ×3, first 2 shown]
.LBB178_7:
	s_endpgm
.LBB178_8:
	s_branch .LBB178_6
	.section	.rodata,"a",@progbits
	.p2align	6, 0x0
	.amdhsa_kernel _ZN12_GLOBAL__N_127rocblas_gemm_batched_kernelIfLi16ELi16ELi64ELi64ELi4ELi64ELi4ELi4ELi64ELc78ELc84EKPKfS3_KPfEEvlllT_PT11_llS8_llS6_PT12_llPT13_lli
		.amdhsa_group_segment_fixed_size 2048
		.amdhsa_private_segment_fixed_size 0
		.amdhsa_kernarg_size 140
		.amdhsa_user_sgpr_count 6
		.amdhsa_user_sgpr_private_segment_buffer 1
		.amdhsa_user_sgpr_dispatch_ptr 0
		.amdhsa_user_sgpr_queue_ptr 0
		.amdhsa_user_sgpr_kernarg_segment_ptr 1
		.amdhsa_user_sgpr_dispatch_id 0
		.amdhsa_user_sgpr_flat_scratch_init 0
		.amdhsa_user_sgpr_kernarg_preload_length 0
		.amdhsa_user_sgpr_kernarg_preload_offset 0
		.amdhsa_user_sgpr_private_segment_size 0
		.amdhsa_uses_dynamic_stack 0
		.amdhsa_system_sgpr_private_segment_wavefront_offset 0
		.amdhsa_system_sgpr_workgroup_id_x 1
		.amdhsa_system_sgpr_workgroup_id_y 1
		.amdhsa_system_sgpr_workgroup_id_z 1
		.amdhsa_system_sgpr_workgroup_info 0
		.amdhsa_system_vgpr_workitem_id 1
		.amdhsa_next_free_vgpr 78
		.amdhsa_next_free_sgpr 36
		.amdhsa_accum_offset 80
		.amdhsa_reserve_vcc 1
		.amdhsa_reserve_flat_scratch 0
		.amdhsa_float_round_mode_32 0
		.amdhsa_float_round_mode_16_64 0
		.amdhsa_float_denorm_mode_32 3
		.amdhsa_float_denorm_mode_16_64 3
		.amdhsa_dx10_clamp 1
		.amdhsa_ieee_mode 1
		.amdhsa_fp16_overflow 0
		.amdhsa_tg_split 0
		.amdhsa_exception_fp_ieee_invalid_op 0
		.amdhsa_exception_fp_denorm_src 0
		.amdhsa_exception_fp_ieee_div_zero 0
		.amdhsa_exception_fp_ieee_overflow 0
		.amdhsa_exception_fp_ieee_underflow 0
		.amdhsa_exception_fp_ieee_inexact 0
		.amdhsa_exception_int_div_zero 0
	.end_amdhsa_kernel
	.section	.text._ZN12_GLOBAL__N_127rocblas_gemm_batched_kernelIfLi16ELi16ELi64ELi64ELi4ELi64ELi4ELi4ELi64ELc78ELc84EKPKfS3_KPfEEvlllT_PT11_llS8_llS6_PT12_llPT13_lli,"axG",@progbits,_ZN12_GLOBAL__N_127rocblas_gemm_batched_kernelIfLi16ELi16ELi64ELi64ELi4ELi64ELi4ELi4ELi64ELc78ELc84EKPKfS3_KPfEEvlllT_PT11_llS8_llS6_PT12_llPT13_lli,comdat
.Lfunc_end178:
	.size	_ZN12_GLOBAL__N_127rocblas_gemm_batched_kernelIfLi16ELi16ELi64ELi64ELi4ELi64ELi4ELi4ELi64ELc78ELc84EKPKfS3_KPfEEvlllT_PT11_llS8_llS6_PT12_llPT13_lli, .Lfunc_end178-_ZN12_GLOBAL__N_127rocblas_gemm_batched_kernelIfLi16ELi16ELi64ELi64ELi4ELi64ELi4ELi4ELi64ELc78ELc84EKPKfS3_KPfEEvlllT_PT11_llS8_llS6_PT12_llPT13_lli
                                        ; -- End function
	.section	.AMDGPU.csdata,"",@progbits
; Kernel info:
; codeLenInByte = 2208
; NumSgprs: 40
; NumVgprs: 78
; NumAgprs: 0
; TotalNumVgprs: 78
; ScratchSize: 0
; MemoryBound: 0
; FloatMode: 240
; IeeeMode: 1
; LDSByteSize: 2048 bytes/workgroup (compile time only)
; SGPRBlocks: 4
; VGPRBlocks: 9
; NumSGPRsForWavesPerEU: 40
; NumVGPRsForWavesPerEU: 78
; AccumOffset: 80
; Occupancy: 6
; WaveLimiterHint : 1
; COMPUTE_PGM_RSRC2:SCRATCH_EN: 0
; COMPUTE_PGM_RSRC2:USER_SGPR: 6
; COMPUTE_PGM_RSRC2:TRAP_HANDLER: 0
; COMPUTE_PGM_RSRC2:TGID_X_EN: 1
; COMPUTE_PGM_RSRC2:TGID_Y_EN: 1
; COMPUTE_PGM_RSRC2:TGID_Z_EN: 1
; COMPUTE_PGM_RSRC2:TIDIG_COMP_CNT: 1
; COMPUTE_PGM_RSRC3_GFX90A:ACCUM_OFFSET: 19
; COMPUTE_PGM_RSRC3_GFX90A:TG_SPLIT: 0
	.section	.text._ZN12_GLOBAL__N_127rocblas_gemm_batched_kernelIfLi16ELi16ELi64ELi64ELi4ELi64ELi4ELi4ELi64ELc84ELc84EKPKfS3_KPfEEvlllT_PT11_llS8_llS6_PT12_llPT13_lli,"axG",@progbits,_ZN12_GLOBAL__N_127rocblas_gemm_batched_kernelIfLi16ELi16ELi64ELi64ELi4ELi64ELi4ELi4ELi64ELc84ELc84EKPKfS3_KPfEEvlllT_PT11_llS8_llS6_PT12_llPT13_lli,comdat
	.globl	_ZN12_GLOBAL__N_127rocblas_gemm_batched_kernelIfLi16ELi16ELi64ELi64ELi4ELi64ELi4ELi4ELi64ELc84ELc84EKPKfS3_KPfEEvlllT_PT11_llS8_llS6_PT12_llPT13_lli ; -- Begin function _ZN12_GLOBAL__N_127rocblas_gemm_batched_kernelIfLi16ELi16ELi64ELi64ELi4ELi64ELi4ELi4ELi64ELc84ELc84EKPKfS3_KPfEEvlllT_PT11_llS8_llS6_PT12_llPT13_lli
	.p2align	8
	.type	_ZN12_GLOBAL__N_127rocblas_gemm_batched_kernelIfLi16ELi16ELi64ELi64ELi4ELi64ELi4ELi4ELi64ELc84ELc84EKPKfS3_KPfEEvlllT_PT11_llS8_llS6_PT12_llPT13_lli,@function
_ZN12_GLOBAL__N_127rocblas_gemm_batched_kernelIfLi16ELi16ELi64ELi64ELi4ELi64ELi4ELi4ELi64ELc84ELc84EKPKfS3_KPfEEvlllT_PT11_llS8_llS6_PT12_llPT13_lli: ; @_ZN12_GLOBAL__N_127rocblas_gemm_batched_kernelIfLi16ELi16ELi64ELi64ELi4ELi64ELi4ELi4ELi64ELc84ELc84EKPKfS3_KPfEEvlllT_PT11_llS8_llS6_PT12_llPT13_lli
; %bb.0:
	s_load_dwordx2 s[30:31], s[4:5], 0x10
	s_load_dwordx4 s[0:3], s[4:5], 0x78
	s_load_dwordx8 s[12:19], s[4:5], 0x58
	s_mov_b32 s9, 0
	s_lshl_b64 s[34:35], s[8:9], 3
	s_mov_b32 s10, s7
	v_bfe_u32 v39, v0, 10, 10
	s_waitcnt lgkmcnt(0)
	s_add_u32 s8, s12, s34
	s_addc_u32 s9, s13, s35
	s_load_dwordx2 s[12:13], s[8:9], 0x0
	s_add_u32 s8, s18, s34
	s_addc_u32 s9, s19, s35
	s_load_dwordx2 s[18:19], s[8:9], 0x0
	s_ashr_i32 s7, s6, 31
	s_ashr_i32 s11, s10, 31
	v_cmp_lt_i64_e64 s[8:9], s[30:31], 1
	v_and_b32_e32 v37, 0x3ff, v0
	s_lshl_b64 s[6:7], s[6:7], 6
	s_lshl_b64 s[28:29], s[10:11], 6
	s_and_b64 vcc, exec, s[8:9]
	s_cbranch_vccnz .LBB179_3
; %bb.1:
	s_load_dwordx8 s[20:27], s[4:5], 0x20
	s_load_dwordx4 s[8:11], s[4:5], 0x40
	v_lshlrev_b32_e32 v2, 4, v39
	v_add_u32_e32 v3, v2, v37
	v_and_b32_e32 v6, 63, v3
	s_waitcnt lgkmcnt(0)
	s_add_u32 s20, s20, s34
	s_addc_u32 s21, s21, s35
	s_add_u32 s26, s26, s34
	v_lshrrev_b32_e32 v0, 2, v3
	v_and_b32_e32 v4, 3, v37
	v_lshrrev_b32_e32 v7, 6, v3
	v_lshlrev_b32_e32 v3, 2, v6
	s_addc_u32 s27, s27, s35
	v_lshl_or_b32 v40, v7, 8, v3
	v_lshlrev_b32_e32 v3, 2, v4
	s_load_dwordx2 s[26:27], s[26:27], 0x0
	v_mov_b32_e32 v1, 0
	v_lshl_or_b32 v3, v0, 4, v3
	v_add_u32_e32 v41, 0x400, v3
	v_add_u32_e32 v43, 0x400, v2
	v_mad_u64_u32 v[2:3], s[34:35], v4, s8, v[0:1]
	v_mov_b32_e32 v0, v3
	v_mad_u64_u32 v[4:5], s[34:35], v4, s9, v[0:1]
	s_lshl_b64 s[10:11], s[10:11], 2
	v_mov_b32_e32 v3, v4
	v_mov_b32_e32 v0, s29
	v_add_co_u32_e32 v2, vcc, s28, v2
	v_addc_co_u32_e32 v3, vcc, v3, v0, vcc
	s_waitcnt lgkmcnt(0)
	s_add_u32 s10, s26, s10
	v_lshlrev_b64 v[2:3], 2, v[2:3]
	s_addc_u32 s11, s27, s11
	v_mov_b32_e32 v0, s11
	v_add_co_u32_e32 v10, vcc, s10, v2
	v_addc_co_u32_e32 v11, vcc, v0, v3, vcc
	v_mov_b32_e32 v0, s7
	v_add_co_u32_e32 v2, vcc, s6, v6
	v_addc_co_u32_e32 v0, vcc, 0, v0, vcc
	v_mul_lo_u32 v4, s23, v2
	v_mul_lo_u32 v0, s22, v0
	v_mad_u64_u32 v[2:3], s[10:11], s22, v2, 0
	v_add3_u32 v3, v3, v0, v4
	s_load_dwordx2 s[20:21], s[20:21], 0x0
	v_lshlrev_b64 v[2:3], 2, v[2:3]
	s_lshl_b64 s[10:11], s[24:25], 2
	v_mov_b32_e32 v0, s11
	v_add_co_u32_e32 v2, vcc, s10, v2
	v_addc_co_u32_e32 v0, vcc, v3, v0, vcc
	v_lshlrev_b32_e32 v3, 2, v7
	v_add_co_u32_e32 v2, vcc, v2, v3
	v_addc_co_u32_e32 v0, vcc, 0, v0, vcc
	s_lshl_b64 s[8:9], s[8:9], 4
	s_waitcnt lgkmcnt(0)
	v_mov_b32_e32 v3, s21
	v_add_co_u32_e32 v12, vcc, s20, v2
	v_lshlrev_b32_e32 v42, 2, v37
	v_addc_co_u32_e32 v13, vcc, v3, v0, vcc
	s_mov_b64 s[10:11], 0
	v_mov_b32_e32 v44, s9
	v_pk_mov_b32 v[14:15], s[30:31], s[30:31] op_sel:[0,1]
	v_mov_b32_e32 v0, v1
	v_mov_b32_e32 v32, v1
	;; [unrolled: 1-line block ×15, first 2 shown]
.LBB179_2:                              ; =>This Inner Loop Header: Depth=1
	global_load_dword v16, v[12:13], off
	global_load_dword v17, v[10:11], off
	v_add_co_u32_e32 v10, vcc, s8, v10
	v_addc_co_u32_e32 v11, vcc, v11, v44, vcc
	s_add_u32 s10, s10, 4
	v_add_co_u32_e32 v12, vcc, 16, v12
	v_addc_co_u32_e32 v13, vcc, 0, v13, vcc
	s_addc_u32 s11, s11, 0
	v_cmp_lt_i64_e32 vcc, s[10:11], v[14:15]
	s_and_b64 vcc, exec, vcc
	s_waitcnt vmcnt(1)
	ds_write_b32 v40, v16
	s_waitcnt vmcnt(0)
	ds_write_b32 v41, v17
	s_waitcnt lgkmcnt(0)
	s_barrier
	ds_read2_b32 v[20:21], v42 offset1:16
	ds_read2_b32 v[16:17], v42 offset0:32 offset1:48
	ds_read2_b32 v[22:23], v42 offset0:64 offset1:80
	;; [unrolled: 1-line block ×5, first 2 shown]
	ds_read_b128 v[46:49], v43
	ds_read2_b32 v[24:25], v42 offset0:192 offset1:208
	ds_read2_b32 v[30:31], v42 offset0:224 offset1:240
	ds_read_b128 v[50:53], v43 offset:256
	ds_read_b128 v[54:57], v43 offset:512
	s_waitcnt lgkmcnt(4)
	v_fmac_f32_e32 v38, v20, v46
	v_fmac_f32_e32 v36, v21, v46
	v_fmac_f32_e32 v35, v16, v46
	v_fmac_f32_e32 v38, v22, v47
	v_fmac_f32_e32 v36, v23, v47
	v_fmac_f32_e32 v35, v18, v47
	v_mov_b32_e32 v58, v17
	v_mov_b32_e32 v59, v19
	v_mov_b32_e32 v60, v29
	s_waitcnt lgkmcnt(2)
	v_mov_b32_e32 v61, v31
	v_fmac_f32_e32 v38, v26, v48
	v_fmac_f32_e32 v36, v27, v48
	;; [unrolled: 1-line block ×3, first 2 shown]
	v_pk_mul_f32 v[68:69], v[58:59], v[46:47]
	v_fmac_f32_e32 v38, v24, v49
	v_fmac_f32_e32 v36, v25, v49
	;; [unrolled: 1-line block ×3, first 2 shown]
	v_pk_mul_f32 v[70:71], v[60:61], v[48:49]
	ds_read_b128 v[46:49], v43 offset:768
	s_waitcnt lgkmcnt(2)
	v_fmac_f32_e32 v34, v21, v50
	v_fmac_f32_e32 v33, v16, v50
	;; [unrolled: 1-line block ×4, first 2 shown]
	s_waitcnt lgkmcnt(1)
	v_fmac_f32_e32 v32, v21, v54
	v_fmac_f32_e32 v0, v16, v54
	s_waitcnt lgkmcnt(0)
	v_fmac_f32_e32 v1, v21, v46
	v_mul_f32_e32 v64, v20, v50
	v_mul_f32_e32 v66, v22, v51
	v_pk_mul_f32 v[50:51], v[58:59], v[50:51]
	v_fmac_f32_e32 v34, v27, v52
	v_fmac_f32_e32 v33, v28, v52
	;; [unrolled: 1-line block ×4, first 2 shown]
	v_mul_f32_e32 v74, v20, v54
	v_mul_f32_e32 v76, v22, v55
	v_pk_mul_f32 v[54:55], v[58:59], v[54:55]
	v_mul_f32_e32 v20, v20, v46
	v_fmac_f32_e32 v1, v23, v47
	v_mul_f32_e32 v22, v22, v47
	v_mul_f32_e32 v17, v16, v46
	;; [unrolled: 1-line block ×3, first 2 shown]
	v_pk_mul_f32 v[46:47], v[58:59], v[46:47]
	v_mul_f32_e32 v62, v26, v52
	v_mov_b32_e32 v63, v70
	v_mul_f32_e32 v70, v24, v53
	v_fmac_f32_e32 v34, v25, v53
	v_fmac_f32_e32 v33, v30, v53
	v_pk_mul_f32 v[52:53], v[60:61], v[52:53]
	v_fmac_f32_e32 v32, v27, v56
	v_fmac_f32_e32 v0, v28, v56
	v_mov_b32_e32 v65, v68
	v_mov_b32_e32 v75, v50
	;; [unrolled: 1-line block ×4, first 2 shown]
	v_mul_f32_e32 v72, v26, v56
	v_mov_b32_e32 v73, v52
	v_mul_f32_e32 v52, v24, v57
	v_fmac_f32_e32 v32, v25, v57
	v_fmac_f32_e32 v0, v30, v57
	v_pk_mul_f32 v[56:57], v[60:61], v[56:57]
	v_mov_b32_e32 v67, v69
	v_mov_b32_e32 v77, v51
	;; [unrolled: 1-line block ×4, first 2 shown]
	v_pk_mul_f32 v[46:47], v[60:61], v[48:49]
	v_pk_add_f32 v[8:9], v[8:9], v[64:65]
	v_pk_add_f32 v[6:7], v[6:7], v[74:75]
	;; [unrolled: 1-line block ×4, first 2 shown]
	v_fmac_f32_e32 v1, v27, v48
	v_mul_f32_e32 v26, v26, v48
	v_mul_f32_e32 v29, v28, v48
	v_mov_b32_e32 v27, v56
	v_mov_b32_e32 v28, v46
	v_pk_add_f32 v[8:9], v[8:9], v[66:67]
	v_pk_add_f32 v[6:7], v[6:7], v[76:77]
	v_pk_add_f32 v[4:5], v[4:5], v[22:23]
	v_pk_add_f32 v[2:3], v[2:3], v[18:19]
	v_mul_f32_e32 v31, v30, v49
	v_mul_f32_e32 v56, v24, v49
	v_mov_b32_e32 v30, v47
	v_pk_add_f32 v[8:9], v[8:9], v[62:63]
	v_pk_add_f32 v[6:7], v[6:7], v[72:73]
	;; [unrolled: 1-line block ×4, first 2 shown]
	v_fmac_f32_e32 v1, v25, v49
	v_pk_add_f32 v[8:9], v[8:9], v[70:71]
	v_pk_add_f32 v[6:7], v[6:7], v[52:53]
	;; [unrolled: 1-line block ×4, first 2 shown]
	s_barrier
	s_cbranch_vccnz .LBB179_2
	s_branch .LBB179_4
.LBB179_3:
	v_mov_b32_e32 v38, 0
	v_mov_b32_e32 v36, 0
	;; [unrolled: 1-line block ×16, first 2 shown]
.LBB179_4:
	s_load_dword s8, s[4:5], 0x18
	s_load_dword s9, s[4:5], 0x50
	v_mov_b32_e32 v10, s29
	v_add_co_u32_e32 v12, vcc, s28, v39
	s_lshl_b64 s[2:3], s[2:3], 2
	v_addc_co_u32_e32 v15, vcc, 0, v10, vcc
	s_waitcnt lgkmcnt(0)
	s_add_u32 s4, s18, s2
	v_mov_b32_e32 v11, s7
	v_add_co_u32_e32 v10, vcc, s6, v37
	s_addc_u32 s5, s19, s3
	v_cmp_neq_f32_e64 s[2:3], s9, 0
	v_addc_co_u32_e32 v11, vcc, 0, v11, vcc
	s_and_b64 vcc, exec, s[2:3]
	v_mul_lo_u32 v13, v15, s0
	v_mul_lo_u32 v14, v12, s1
	v_lshlrev_b64 v[10:11], 2, v[10:11]
	s_cbranch_vccnz .LBB179_8
; %bb.5:
	v_mad_u64_u32 v[16:17], s[2:3], v12, s0, 0
	v_add3_u32 v17, v17, v14, v13
	v_lshlrev_b64 v[16:17], 2, v[16:17]
	v_mov_b32_e32 v18, s5
	v_add_co_u32_e32 v16, vcc, s4, v16
	v_addc_co_u32_e32 v17, vcc, v18, v17, vcc
	v_add_co_u32_e32 v16, vcc, v16, v10
	v_mul_f32_e32 v18, s8, v38
	v_addc_co_u32_e32 v17, vcc, v17, v11, vcc
	global_store_dword v[16:17], v18, off
	v_mul_f32_e32 v18, s8, v36
	global_store_dword v[16:17], v18, off offset:64
	v_mul_f32_e32 v18, s8, v35
	global_store_dword v[16:17], v18, off offset:128
	v_mul_f32_e32 v18, s8, v9
	s_lshl_b64 s[2:3], s[0:1], 6
	global_store_dword v[16:17], v18, off offset:192
	v_mov_b32_e32 v19, s3
	v_add_co_u32_e32 v16, vcc, s2, v16
	v_mul_f32_e32 v18, s8, v8
	v_addc_co_u32_e32 v17, vcc, v17, v19, vcc
	global_store_dword v[16:17], v18, off
	v_mul_f32_e32 v18, s8, v34
	global_store_dword v[16:17], v18, off offset:64
	v_mul_f32_e32 v18, s8, v33
	global_store_dword v[16:17], v18, off offset:128
	v_mul_f32_e32 v18, s8, v7
	global_store_dword v[16:17], v18, off offset:192
	v_add_co_u32_e32 v16, vcc, s2, v16
	v_mul_f32_e32 v18, s8, v6
	v_addc_co_u32_e32 v17, vcc, v17, v19, vcc
	global_store_dword v[16:17], v18, off
	v_mul_f32_e32 v18, s8, v32
	global_store_dword v[16:17], v18, off offset:64
	v_mul_f32_e32 v18, s8, v0
	global_store_dword v[16:17], v18, off offset:128
	v_mul_f32_e32 v18, s8, v5
	global_store_dword v[16:17], v18, off offset:192
	v_add_co_u32_e32 v16, vcc, s2, v16
	v_mul_f32_e32 v18, s8, v4
	v_addc_co_u32_e32 v17, vcc, v17, v19, vcc
	global_store_dword v[16:17], v18, off
	v_mul_f32_e32 v18, s8, v1
	global_store_dword v[16:17], v18, off offset:64
	v_mul_f32_e32 v18, s8, v3
	global_store_dword v[16:17], v18, off offset:128
	v_mul_f32_e32 v18, s8, v2
	global_store_dword v[16:17], v18, off offset:192
	s_cbranch_execnz .LBB179_7
.LBB179_6:
	s_lshl_b64 s[2:3], s[16:17], 2
	s_add_u32 s6, s12, s2
	s_addc_u32 s7, s13, s3
	v_mul_lo_u32 v15, v15, s14
	v_mul_lo_u32 v18, v12, s15
	v_mad_u64_u32 v[16:17], s[2:3], v12, s14, 0
	v_add3_u32 v17, v17, v18, v15
	v_lshlrev_b64 v[16:17], 2, v[16:17]
	v_mov_b32_e32 v15, s7
	v_add_co_u32_e32 v16, vcc, s6, v16
	v_addc_co_u32_e32 v15, vcc, v15, v17, vcc
	v_add_co_u32_e32 v16, vcc, v16, v10
	v_addc_co_u32_e32 v17, vcc, v15, v11, vcc
	global_load_dword v15, v[16:17], off
	v_mad_u64_u32 v[18:19], s[2:3], v12, s0, 0
	v_add3_u32 v19, v19, v14, v13
	v_lshlrev_b64 v[12:13], 2, v[18:19]
	v_mov_b32_e32 v20, s5
	v_add_co_u32_e32 v12, vcc, s4, v12
	v_addc_co_u32_e32 v13, vcc, v20, v13, vcc
	v_add_co_u32_e32 v10, vcc, v12, v10
	v_addc_co_u32_e32 v11, vcc, v13, v11, vcc
	s_lshl_b64 s[2:3], s[14:15], 6
	s_lshl_b64 s[0:1], s[0:1], 6
	s_waitcnt vmcnt(0)
	v_mul_f32_e32 v12, s9, v15
	v_fmac_f32_e32 v12, s8, v38
	global_store_dword v[10:11], v12, off
	global_load_dword v12, v[16:17], off offset:64
	v_mov_b32_e32 v15, s3
	s_waitcnt vmcnt(0)
	v_mul_f32_e32 v12, s9, v12
	v_fmac_f32_e32 v12, s8, v36
	global_store_dword v[10:11], v12, off offset:64
	global_load_dword v12, v[16:17], off offset:128
	s_waitcnt vmcnt(0)
	v_mul_f32_e32 v12, s9, v12
	v_fmac_f32_e32 v12, s8, v35
	global_store_dword v[10:11], v12, off offset:128
	global_load_dword v14, v[16:17], off offset:192
	v_add_co_u32_e32 v12, vcc, s2, v16
	v_addc_co_u32_e32 v13, vcc, v17, v15, vcc
	s_waitcnt vmcnt(0)
	v_mul_f32_e32 v14, s9, v14
	v_fmac_f32_e32 v14, s8, v9
	global_store_dword v[10:11], v14, off offset:192
	global_load_dword v9, v[12:13], off
	v_mov_b32_e32 v14, s1
	v_add_co_u32_e32 v10, vcc, s0, v10
	v_addc_co_u32_e32 v11, vcc, v11, v14, vcc
	s_waitcnt vmcnt(0)
	v_mul_f32_e32 v9, s9, v9
	v_fmac_f32_e32 v9, s8, v8
	global_store_dword v[10:11], v9, off
	global_load_dword v8, v[12:13], off offset:64
	s_waitcnt vmcnt(0)
	v_mul_f32_e32 v8, s9, v8
	v_fmac_f32_e32 v8, s8, v34
	global_store_dword v[10:11], v8, off offset:64
	global_load_dword v8, v[12:13], off offset:128
	s_waitcnt vmcnt(0)
	v_mul_f32_e32 v8, s9, v8
	v_fmac_f32_e32 v8, s8, v33
	global_store_dword v[10:11], v8, off offset:128
	global_load_dword v16, v[12:13], off offset:192
	v_add_co_u32_e32 v8, vcc, s2, v12
	v_addc_co_u32_e32 v9, vcc, v13, v15, vcc
	s_waitcnt vmcnt(0)
	v_mul_f32_e32 v12, s9, v16
	v_fmac_f32_e32 v12, s8, v7
	global_store_dword v[10:11], v12, off offset:192
	global_load_dword v7, v[8:9], off
	v_add_co_u32_e32 v10, vcc, s0, v10
	v_addc_co_u32_e32 v11, vcc, v11, v14, vcc
	s_waitcnt vmcnt(0)
	v_mul_f32_e32 v7, s9, v7
	v_fmac_f32_e32 v7, s8, v6
	global_store_dword v[10:11], v7, off
	global_load_dword v6, v[8:9], off offset:64
	s_waitcnt vmcnt(0)
	v_mul_f32_e32 v6, s9, v6
	v_fmac_f32_e32 v6, s8, v32
	global_store_dword v[10:11], v6, off offset:64
	global_load_dword v6, v[8:9], off offset:128
	s_waitcnt vmcnt(0)
	v_mul_f32_e32 v6, s9, v6
	v_fmac_f32_e32 v6, s8, v0
	global_store_dword v[10:11], v6, off offset:128
	global_load_dword v0, v[8:9], off offset:192
	v_add_co_u32_e32 v6, vcc, s2, v8
	v_addc_co_u32_e32 v7, vcc, v9, v15, vcc
	s_waitcnt vmcnt(0)
	v_mul_f32_e32 v0, s9, v0
	v_fmac_f32_e32 v0, s8, v5
	global_store_dword v[10:11], v0, off offset:192
	global_load_dword v0, v[6:7], off
	s_waitcnt vmcnt(0)
	v_mul_f32_e32 v0, s9, v0
	v_fmac_f32_e32 v0, s8, v4
	v_add_co_u32_e32 v4, vcc, s0, v10
	v_addc_co_u32_e32 v5, vcc, v11, v14, vcc
	global_store_dword v[4:5], v0, off
	global_load_dword v0, v[6:7], off offset:64
	s_waitcnt vmcnt(0)
	v_mul_f32_e32 v0, s9, v0
	v_fmac_f32_e32 v0, s8, v1
	global_store_dword v[4:5], v0, off offset:64
	global_load_dword v0, v[6:7], off offset:128
	s_waitcnt vmcnt(0)
	v_mul_f32_e32 v0, s9, v0
	v_fmac_f32_e32 v0, s8, v3
	global_store_dword v[4:5], v0, off offset:128
	;; [unrolled: 5-line block ×3, first 2 shown]
.LBB179_7:
	s_endpgm
.LBB179_8:
	s_branch .LBB179_6
	.section	.rodata,"a",@progbits
	.p2align	6, 0x0
	.amdhsa_kernel _ZN12_GLOBAL__N_127rocblas_gemm_batched_kernelIfLi16ELi16ELi64ELi64ELi4ELi64ELi4ELi4ELi64ELc84ELc84EKPKfS3_KPfEEvlllT_PT11_llS8_llS6_PT12_llPT13_lli
		.amdhsa_group_segment_fixed_size 2048
		.amdhsa_private_segment_fixed_size 0
		.amdhsa_kernarg_size 140
		.amdhsa_user_sgpr_count 6
		.amdhsa_user_sgpr_private_segment_buffer 1
		.amdhsa_user_sgpr_dispatch_ptr 0
		.amdhsa_user_sgpr_queue_ptr 0
		.amdhsa_user_sgpr_kernarg_segment_ptr 1
		.amdhsa_user_sgpr_dispatch_id 0
		.amdhsa_user_sgpr_flat_scratch_init 0
		.amdhsa_user_sgpr_kernarg_preload_length 0
		.amdhsa_user_sgpr_kernarg_preload_offset 0
		.amdhsa_user_sgpr_private_segment_size 0
		.amdhsa_uses_dynamic_stack 0
		.amdhsa_system_sgpr_private_segment_wavefront_offset 0
		.amdhsa_system_sgpr_workgroup_id_x 1
		.amdhsa_system_sgpr_workgroup_id_y 1
		.amdhsa_system_sgpr_workgroup_id_z 1
		.amdhsa_system_sgpr_workgroup_info 0
		.amdhsa_system_vgpr_workitem_id 1
		.amdhsa_next_free_vgpr 78
		.amdhsa_next_free_sgpr 36
		.amdhsa_accum_offset 80
		.amdhsa_reserve_vcc 1
		.amdhsa_reserve_flat_scratch 0
		.amdhsa_float_round_mode_32 0
		.amdhsa_float_round_mode_16_64 0
		.amdhsa_float_denorm_mode_32 3
		.amdhsa_float_denorm_mode_16_64 3
		.amdhsa_dx10_clamp 1
		.amdhsa_ieee_mode 1
		.amdhsa_fp16_overflow 0
		.amdhsa_tg_split 0
		.amdhsa_exception_fp_ieee_invalid_op 0
		.amdhsa_exception_fp_denorm_src 0
		.amdhsa_exception_fp_ieee_div_zero 0
		.amdhsa_exception_fp_ieee_overflow 0
		.amdhsa_exception_fp_ieee_underflow 0
		.amdhsa_exception_fp_ieee_inexact 0
		.amdhsa_exception_int_div_zero 0
	.end_amdhsa_kernel
	.section	.text._ZN12_GLOBAL__N_127rocblas_gemm_batched_kernelIfLi16ELi16ELi64ELi64ELi4ELi64ELi4ELi4ELi64ELc84ELc84EKPKfS3_KPfEEvlllT_PT11_llS8_llS6_PT12_llPT13_lli,"axG",@progbits,_ZN12_GLOBAL__N_127rocblas_gemm_batched_kernelIfLi16ELi16ELi64ELi64ELi4ELi64ELi4ELi4ELi64ELc84ELc84EKPKfS3_KPfEEvlllT_PT11_llS8_llS6_PT12_llPT13_lli,comdat
.Lfunc_end179:
	.size	_ZN12_GLOBAL__N_127rocblas_gemm_batched_kernelIfLi16ELi16ELi64ELi64ELi4ELi64ELi4ELi4ELi64ELc84ELc84EKPKfS3_KPfEEvlllT_PT11_llS8_llS6_PT12_llPT13_lli, .Lfunc_end179-_ZN12_GLOBAL__N_127rocblas_gemm_batched_kernelIfLi16ELi16ELi64ELi64ELi4ELi64ELi4ELi4ELi64ELc84ELc84EKPKfS3_KPfEEvlllT_PT11_llS8_llS6_PT12_llPT13_lli
                                        ; -- End function
	.section	.AMDGPU.csdata,"",@progbits
; Kernel info:
; codeLenInByte = 2220
; NumSgprs: 40
; NumVgprs: 78
; NumAgprs: 0
; TotalNumVgprs: 78
; ScratchSize: 0
; MemoryBound: 0
; FloatMode: 240
; IeeeMode: 1
; LDSByteSize: 2048 bytes/workgroup (compile time only)
; SGPRBlocks: 4
; VGPRBlocks: 9
; NumSGPRsForWavesPerEU: 40
; NumVGPRsForWavesPerEU: 78
; AccumOffset: 80
; Occupancy: 6
; WaveLimiterHint : 1
; COMPUTE_PGM_RSRC2:SCRATCH_EN: 0
; COMPUTE_PGM_RSRC2:USER_SGPR: 6
; COMPUTE_PGM_RSRC2:TRAP_HANDLER: 0
; COMPUTE_PGM_RSRC2:TGID_X_EN: 1
; COMPUTE_PGM_RSRC2:TGID_Y_EN: 1
; COMPUTE_PGM_RSRC2:TGID_Z_EN: 1
; COMPUTE_PGM_RSRC2:TIDIG_COMP_CNT: 1
; COMPUTE_PGM_RSRC3_GFX90A:ACCUM_OFFSET: 19
; COMPUTE_PGM_RSRC3_GFX90A:TG_SPLIT: 0
	.section	.text._ZN12_GLOBAL__N_127rocblas_gemm_batched_kernelIfLi16ELi16ELi64ELi64ELi4ELi64ELi4ELi4ELi64ELc67ELc67EKPKfS3_KPfEEvlllT_PT11_llS8_llS6_PT12_llPT13_lli,"axG",@progbits,_ZN12_GLOBAL__N_127rocblas_gemm_batched_kernelIfLi16ELi16ELi64ELi64ELi4ELi64ELi4ELi4ELi64ELc67ELc67EKPKfS3_KPfEEvlllT_PT11_llS8_llS6_PT12_llPT13_lli,comdat
	.globl	_ZN12_GLOBAL__N_127rocblas_gemm_batched_kernelIfLi16ELi16ELi64ELi64ELi4ELi64ELi4ELi4ELi64ELc67ELc67EKPKfS3_KPfEEvlllT_PT11_llS8_llS6_PT12_llPT13_lli ; -- Begin function _ZN12_GLOBAL__N_127rocblas_gemm_batched_kernelIfLi16ELi16ELi64ELi64ELi4ELi64ELi4ELi4ELi64ELc67ELc67EKPKfS3_KPfEEvlllT_PT11_llS8_llS6_PT12_llPT13_lli
	.p2align	8
	.type	_ZN12_GLOBAL__N_127rocblas_gemm_batched_kernelIfLi16ELi16ELi64ELi64ELi4ELi64ELi4ELi4ELi64ELc67ELc67EKPKfS3_KPfEEvlllT_PT11_llS8_llS6_PT12_llPT13_lli,@function
_ZN12_GLOBAL__N_127rocblas_gemm_batched_kernelIfLi16ELi16ELi64ELi64ELi4ELi64ELi4ELi4ELi64ELc67ELc67EKPKfS3_KPfEEvlllT_PT11_llS8_llS6_PT12_llPT13_lli: ; @_ZN12_GLOBAL__N_127rocblas_gemm_batched_kernelIfLi16ELi16ELi64ELi64ELi4ELi64ELi4ELi4ELi64ELc67ELc67EKPKfS3_KPfEEvlllT_PT11_llS8_llS6_PT12_llPT13_lli
; %bb.0:
	s_load_dwordx2 s[30:31], s[4:5], 0x10
	s_load_dwordx4 s[0:3], s[4:5], 0x78
	s_load_dwordx8 s[12:19], s[4:5], 0x58
	s_mov_b32 s9, 0
	s_lshl_b64 s[34:35], s[8:9], 3
	s_mov_b32 s10, s7
	v_bfe_u32 v39, v0, 10, 10
	s_waitcnt lgkmcnt(0)
	s_add_u32 s8, s12, s34
	s_addc_u32 s9, s13, s35
	s_load_dwordx2 s[12:13], s[8:9], 0x0
	s_add_u32 s8, s18, s34
	s_addc_u32 s9, s19, s35
	s_load_dwordx2 s[18:19], s[8:9], 0x0
	s_ashr_i32 s7, s6, 31
	s_ashr_i32 s11, s10, 31
	v_cmp_lt_i64_e64 s[8:9], s[30:31], 1
	v_and_b32_e32 v37, 0x3ff, v0
	s_lshl_b64 s[6:7], s[6:7], 6
	s_lshl_b64 s[28:29], s[10:11], 6
	s_and_b64 vcc, exec, s[8:9]
	s_cbranch_vccnz .LBB180_3
; %bb.1:
	s_load_dwordx8 s[20:27], s[4:5], 0x20
	s_load_dwordx4 s[8:11], s[4:5], 0x40
	v_lshlrev_b32_e32 v2, 4, v39
	v_add_u32_e32 v3, v2, v37
	v_and_b32_e32 v6, 63, v3
	s_waitcnt lgkmcnt(0)
	s_add_u32 s20, s20, s34
	s_addc_u32 s21, s21, s35
	s_add_u32 s26, s26, s34
	v_lshrrev_b32_e32 v0, 2, v3
	v_and_b32_e32 v4, 3, v37
	v_lshrrev_b32_e32 v7, 6, v3
	v_lshlrev_b32_e32 v3, 2, v6
	s_addc_u32 s27, s27, s35
	v_lshl_or_b32 v40, v7, 8, v3
	v_lshlrev_b32_e32 v3, 2, v4
	s_load_dwordx2 s[26:27], s[26:27], 0x0
	v_mov_b32_e32 v1, 0
	v_lshl_or_b32 v3, v0, 4, v3
	v_add_u32_e32 v41, 0x400, v3
	v_add_u32_e32 v43, 0x400, v2
	v_mad_u64_u32 v[2:3], s[34:35], v4, s8, v[0:1]
	v_mov_b32_e32 v0, v3
	v_mad_u64_u32 v[4:5], s[34:35], v4, s9, v[0:1]
	s_lshl_b64 s[10:11], s[10:11], 2
	v_mov_b32_e32 v3, v4
	v_mov_b32_e32 v0, s29
	v_add_co_u32_e32 v2, vcc, s28, v2
	v_addc_co_u32_e32 v3, vcc, v3, v0, vcc
	s_waitcnt lgkmcnt(0)
	s_add_u32 s10, s26, s10
	v_lshlrev_b64 v[2:3], 2, v[2:3]
	s_addc_u32 s11, s27, s11
	v_mov_b32_e32 v0, s11
	v_add_co_u32_e32 v10, vcc, s10, v2
	v_addc_co_u32_e32 v11, vcc, v0, v3, vcc
	v_mov_b32_e32 v0, s7
	v_add_co_u32_e32 v2, vcc, s6, v6
	v_addc_co_u32_e32 v0, vcc, 0, v0, vcc
	v_mul_lo_u32 v4, s23, v2
	v_mul_lo_u32 v0, s22, v0
	v_mad_u64_u32 v[2:3], s[10:11], s22, v2, 0
	v_add3_u32 v3, v3, v0, v4
	s_load_dwordx2 s[20:21], s[20:21], 0x0
	v_lshlrev_b64 v[2:3], 2, v[2:3]
	s_lshl_b64 s[10:11], s[24:25], 2
	v_mov_b32_e32 v0, s11
	v_add_co_u32_e32 v2, vcc, s10, v2
	v_addc_co_u32_e32 v0, vcc, v3, v0, vcc
	v_lshlrev_b32_e32 v3, 2, v7
	v_add_co_u32_e32 v2, vcc, v2, v3
	v_addc_co_u32_e32 v0, vcc, 0, v0, vcc
	s_lshl_b64 s[8:9], s[8:9], 4
	s_waitcnt lgkmcnt(0)
	v_mov_b32_e32 v3, s21
	v_add_co_u32_e32 v12, vcc, s20, v2
	v_lshlrev_b32_e32 v42, 2, v37
	v_addc_co_u32_e32 v13, vcc, v3, v0, vcc
	s_mov_b64 s[10:11], 0
	v_mov_b32_e32 v44, s9
	v_pk_mov_b32 v[14:15], s[30:31], s[30:31] op_sel:[0,1]
	v_mov_b32_e32 v0, v1
	v_mov_b32_e32 v32, v1
	;; [unrolled: 1-line block ×15, first 2 shown]
.LBB180_2:                              ; =>This Inner Loop Header: Depth=1
	global_load_dword v16, v[12:13], off
	global_load_dword v17, v[10:11], off
	v_add_co_u32_e32 v10, vcc, s8, v10
	v_addc_co_u32_e32 v11, vcc, v11, v44, vcc
	s_add_u32 s10, s10, 4
	v_add_co_u32_e32 v12, vcc, 16, v12
	v_addc_co_u32_e32 v13, vcc, 0, v13, vcc
	s_addc_u32 s11, s11, 0
	v_cmp_lt_i64_e32 vcc, s[10:11], v[14:15]
	s_and_b64 vcc, exec, vcc
	s_waitcnt vmcnt(1)
	ds_write_b32 v40, v16
	s_waitcnt vmcnt(0)
	ds_write_b32 v41, v17
	s_waitcnt lgkmcnt(0)
	s_barrier
	ds_read2_b32 v[20:21], v42 offset1:16
	ds_read2_b32 v[16:17], v42 offset0:32 offset1:48
	ds_read2_b32 v[22:23], v42 offset0:64 offset1:80
	ds_read2_b32 v[18:19], v42 offset0:96 offset1:112
	ds_read2_b32 v[26:27], v42 offset0:128 offset1:144
	ds_read2_b32 v[28:29], v42 offset0:160 offset1:176
	ds_read_b128 v[46:49], v43
	ds_read2_b32 v[24:25], v42 offset0:192 offset1:208
	ds_read2_b32 v[30:31], v42 offset0:224 offset1:240
	ds_read_b128 v[50:53], v43 offset:256
	ds_read_b128 v[54:57], v43 offset:512
	s_waitcnt lgkmcnt(4)
	v_fmac_f32_e32 v38, v20, v46
	v_fmac_f32_e32 v36, v21, v46
	;; [unrolled: 1-line block ×6, first 2 shown]
	v_mov_b32_e32 v58, v17
	v_mov_b32_e32 v59, v19
	;; [unrolled: 1-line block ×3, first 2 shown]
	s_waitcnt lgkmcnt(2)
	v_mov_b32_e32 v61, v31
	v_fmac_f32_e32 v38, v26, v48
	v_fmac_f32_e32 v36, v27, v48
	;; [unrolled: 1-line block ×3, first 2 shown]
	v_pk_mul_f32 v[68:69], v[58:59], v[46:47]
	v_fmac_f32_e32 v38, v24, v49
	v_fmac_f32_e32 v36, v25, v49
	;; [unrolled: 1-line block ×3, first 2 shown]
	v_pk_mul_f32 v[70:71], v[60:61], v[48:49]
	ds_read_b128 v[46:49], v43 offset:768
	s_waitcnt lgkmcnt(2)
	v_fmac_f32_e32 v34, v21, v50
	v_fmac_f32_e32 v33, v16, v50
	;; [unrolled: 1-line block ×4, first 2 shown]
	s_waitcnt lgkmcnt(1)
	v_fmac_f32_e32 v32, v21, v54
	v_fmac_f32_e32 v0, v16, v54
	s_waitcnt lgkmcnt(0)
	v_fmac_f32_e32 v1, v21, v46
	v_mul_f32_e32 v64, v20, v50
	v_mul_f32_e32 v66, v22, v51
	v_pk_mul_f32 v[50:51], v[58:59], v[50:51]
	v_fmac_f32_e32 v34, v27, v52
	v_fmac_f32_e32 v33, v28, v52
	;; [unrolled: 1-line block ×4, first 2 shown]
	v_mul_f32_e32 v74, v20, v54
	v_mul_f32_e32 v76, v22, v55
	v_pk_mul_f32 v[54:55], v[58:59], v[54:55]
	v_mul_f32_e32 v20, v20, v46
	v_fmac_f32_e32 v1, v23, v47
	v_mul_f32_e32 v22, v22, v47
	v_mul_f32_e32 v17, v16, v46
	;; [unrolled: 1-line block ×3, first 2 shown]
	v_pk_mul_f32 v[46:47], v[58:59], v[46:47]
	v_mul_f32_e32 v62, v26, v52
	v_mov_b32_e32 v63, v70
	v_mul_f32_e32 v70, v24, v53
	v_fmac_f32_e32 v34, v25, v53
	v_fmac_f32_e32 v33, v30, v53
	v_pk_mul_f32 v[52:53], v[60:61], v[52:53]
	v_fmac_f32_e32 v32, v27, v56
	v_fmac_f32_e32 v0, v28, v56
	v_mov_b32_e32 v65, v68
	v_mov_b32_e32 v75, v50
	;; [unrolled: 1-line block ×4, first 2 shown]
	v_mul_f32_e32 v72, v26, v56
	v_mov_b32_e32 v73, v52
	v_mul_f32_e32 v52, v24, v57
	v_fmac_f32_e32 v32, v25, v57
	v_fmac_f32_e32 v0, v30, v57
	v_pk_mul_f32 v[56:57], v[60:61], v[56:57]
	v_mov_b32_e32 v67, v69
	v_mov_b32_e32 v77, v51
	;; [unrolled: 1-line block ×4, first 2 shown]
	v_pk_mul_f32 v[46:47], v[60:61], v[48:49]
	v_pk_add_f32 v[8:9], v[8:9], v[64:65]
	v_pk_add_f32 v[6:7], v[6:7], v[74:75]
	v_pk_add_f32 v[4:5], v[4:5], v[20:21]
	v_pk_add_f32 v[2:3], v[2:3], v[16:17]
	v_fmac_f32_e32 v1, v27, v48
	v_mul_f32_e32 v26, v26, v48
	v_mul_f32_e32 v29, v28, v48
	v_mov_b32_e32 v27, v56
	v_mov_b32_e32 v28, v46
	v_pk_add_f32 v[8:9], v[8:9], v[66:67]
	v_pk_add_f32 v[6:7], v[6:7], v[76:77]
	;; [unrolled: 1-line block ×4, first 2 shown]
	v_mul_f32_e32 v31, v30, v49
	v_mul_f32_e32 v56, v24, v49
	v_mov_b32_e32 v30, v47
	v_pk_add_f32 v[8:9], v[8:9], v[62:63]
	v_pk_add_f32 v[6:7], v[6:7], v[72:73]
	;; [unrolled: 1-line block ×4, first 2 shown]
	v_fmac_f32_e32 v1, v25, v49
	v_pk_add_f32 v[8:9], v[8:9], v[70:71]
	v_pk_add_f32 v[6:7], v[6:7], v[52:53]
	;; [unrolled: 1-line block ×4, first 2 shown]
	s_barrier
	s_cbranch_vccnz .LBB180_2
	s_branch .LBB180_4
.LBB180_3:
	v_mov_b32_e32 v38, 0
	v_mov_b32_e32 v36, 0
	;; [unrolled: 1-line block ×16, first 2 shown]
.LBB180_4:
	s_load_dword s8, s[4:5], 0x18
	s_load_dword s9, s[4:5], 0x50
	v_mov_b32_e32 v10, s29
	v_add_co_u32_e32 v12, vcc, s28, v39
	s_lshl_b64 s[2:3], s[2:3], 2
	v_addc_co_u32_e32 v15, vcc, 0, v10, vcc
	s_waitcnt lgkmcnt(0)
	s_add_u32 s4, s18, s2
	v_mov_b32_e32 v11, s7
	v_add_co_u32_e32 v10, vcc, s6, v37
	s_addc_u32 s5, s19, s3
	v_cmp_neq_f32_e64 s[2:3], s9, 0
	v_addc_co_u32_e32 v11, vcc, 0, v11, vcc
	s_and_b64 vcc, exec, s[2:3]
	v_mul_lo_u32 v13, v15, s0
	v_mul_lo_u32 v14, v12, s1
	v_lshlrev_b64 v[10:11], 2, v[10:11]
	s_cbranch_vccnz .LBB180_8
; %bb.5:
	v_mad_u64_u32 v[16:17], s[2:3], v12, s0, 0
	v_add3_u32 v17, v17, v14, v13
	v_lshlrev_b64 v[16:17], 2, v[16:17]
	v_mov_b32_e32 v18, s5
	v_add_co_u32_e32 v16, vcc, s4, v16
	v_addc_co_u32_e32 v17, vcc, v18, v17, vcc
	v_add_co_u32_e32 v16, vcc, v16, v10
	v_mul_f32_e32 v18, s8, v38
	v_addc_co_u32_e32 v17, vcc, v17, v11, vcc
	global_store_dword v[16:17], v18, off
	v_mul_f32_e32 v18, s8, v36
	global_store_dword v[16:17], v18, off offset:64
	v_mul_f32_e32 v18, s8, v35
	global_store_dword v[16:17], v18, off offset:128
	v_mul_f32_e32 v18, s8, v9
	s_lshl_b64 s[2:3], s[0:1], 6
	global_store_dword v[16:17], v18, off offset:192
	v_mov_b32_e32 v19, s3
	v_add_co_u32_e32 v16, vcc, s2, v16
	v_mul_f32_e32 v18, s8, v8
	v_addc_co_u32_e32 v17, vcc, v17, v19, vcc
	global_store_dword v[16:17], v18, off
	v_mul_f32_e32 v18, s8, v34
	global_store_dword v[16:17], v18, off offset:64
	v_mul_f32_e32 v18, s8, v33
	global_store_dword v[16:17], v18, off offset:128
	v_mul_f32_e32 v18, s8, v7
	global_store_dword v[16:17], v18, off offset:192
	v_add_co_u32_e32 v16, vcc, s2, v16
	v_mul_f32_e32 v18, s8, v6
	v_addc_co_u32_e32 v17, vcc, v17, v19, vcc
	global_store_dword v[16:17], v18, off
	v_mul_f32_e32 v18, s8, v32
	global_store_dword v[16:17], v18, off offset:64
	v_mul_f32_e32 v18, s8, v0
	global_store_dword v[16:17], v18, off offset:128
	v_mul_f32_e32 v18, s8, v5
	global_store_dword v[16:17], v18, off offset:192
	;; [unrolled: 10-line block ×3, first 2 shown]
	s_cbranch_execnz .LBB180_7
.LBB180_6:
	s_lshl_b64 s[2:3], s[16:17], 2
	s_add_u32 s6, s12, s2
	s_addc_u32 s7, s13, s3
	v_mul_lo_u32 v15, v15, s14
	v_mul_lo_u32 v18, v12, s15
	v_mad_u64_u32 v[16:17], s[2:3], v12, s14, 0
	v_add3_u32 v17, v17, v18, v15
	v_lshlrev_b64 v[16:17], 2, v[16:17]
	v_mov_b32_e32 v15, s7
	v_add_co_u32_e32 v16, vcc, s6, v16
	v_addc_co_u32_e32 v15, vcc, v15, v17, vcc
	v_add_co_u32_e32 v16, vcc, v16, v10
	v_addc_co_u32_e32 v17, vcc, v15, v11, vcc
	global_load_dword v15, v[16:17], off
	v_mad_u64_u32 v[18:19], s[2:3], v12, s0, 0
	v_add3_u32 v19, v19, v14, v13
	v_lshlrev_b64 v[12:13], 2, v[18:19]
	v_mov_b32_e32 v20, s5
	v_add_co_u32_e32 v12, vcc, s4, v12
	v_addc_co_u32_e32 v13, vcc, v20, v13, vcc
	v_add_co_u32_e32 v10, vcc, v12, v10
	v_addc_co_u32_e32 v11, vcc, v13, v11, vcc
	s_lshl_b64 s[2:3], s[14:15], 6
	s_lshl_b64 s[0:1], s[0:1], 6
	s_waitcnt vmcnt(0)
	v_mul_f32_e32 v12, s9, v15
	v_fmac_f32_e32 v12, s8, v38
	global_store_dword v[10:11], v12, off
	global_load_dword v12, v[16:17], off offset:64
	v_mov_b32_e32 v15, s3
	s_waitcnt vmcnt(0)
	v_mul_f32_e32 v12, s9, v12
	v_fmac_f32_e32 v12, s8, v36
	global_store_dword v[10:11], v12, off offset:64
	global_load_dword v12, v[16:17], off offset:128
	s_waitcnt vmcnt(0)
	v_mul_f32_e32 v12, s9, v12
	v_fmac_f32_e32 v12, s8, v35
	global_store_dword v[10:11], v12, off offset:128
	global_load_dword v14, v[16:17], off offset:192
	v_add_co_u32_e32 v12, vcc, s2, v16
	v_addc_co_u32_e32 v13, vcc, v17, v15, vcc
	s_waitcnt vmcnt(0)
	v_mul_f32_e32 v14, s9, v14
	v_fmac_f32_e32 v14, s8, v9
	global_store_dword v[10:11], v14, off offset:192
	global_load_dword v9, v[12:13], off
	v_mov_b32_e32 v14, s1
	v_add_co_u32_e32 v10, vcc, s0, v10
	v_addc_co_u32_e32 v11, vcc, v11, v14, vcc
	s_waitcnt vmcnt(0)
	v_mul_f32_e32 v9, s9, v9
	v_fmac_f32_e32 v9, s8, v8
	global_store_dword v[10:11], v9, off
	global_load_dword v8, v[12:13], off offset:64
	s_waitcnt vmcnt(0)
	v_mul_f32_e32 v8, s9, v8
	v_fmac_f32_e32 v8, s8, v34
	global_store_dword v[10:11], v8, off offset:64
	global_load_dword v8, v[12:13], off offset:128
	s_waitcnt vmcnt(0)
	v_mul_f32_e32 v8, s9, v8
	v_fmac_f32_e32 v8, s8, v33
	global_store_dword v[10:11], v8, off offset:128
	global_load_dword v16, v[12:13], off offset:192
	v_add_co_u32_e32 v8, vcc, s2, v12
	v_addc_co_u32_e32 v9, vcc, v13, v15, vcc
	s_waitcnt vmcnt(0)
	v_mul_f32_e32 v12, s9, v16
	v_fmac_f32_e32 v12, s8, v7
	global_store_dword v[10:11], v12, off offset:192
	global_load_dword v7, v[8:9], off
	v_add_co_u32_e32 v10, vcc, s0, v10
	v_addc_co_u32_e32 v11, vcc, v11, v14, vcc
	s_waitcnt vmcnt(0)
	v_mul_f32_e32 v7, s9, v7
	v_fmac_f32_e32 v7, s8, v6
	global_store_dword v[10:11], v7, off
	global_load_dword v6, v[8:9], off offset:64
	s_waitcnt vmcnt(0)
	v_mul_f32_e32 v6, s9, v6
	v_fmac_f32_e32 v6, s8, v32
	global_store_dword v[10:11], v6, off offset:64
	global_load_dword v6, v[8:9], off offset:128
	s_waitcnt vmcnt(0)
	v_mul_f32_e32 v6, s9, v6
	v_fmac_f32_e32 v6, s8, v0
	global_store_dword v[10:11], v6, off offset:128
	global_load_dword v0, v[8:9], off offset:192
	v_add_co_u32_e32 v6, vcc, s2, v8
	v_addc_co_u32_e32 v7, vcc, v9, v15, vcc
	s_waitcnt vmcnt(0)
	v_mul_f32_e32 v0, s9, v0
	v_fmac_f32_e32 v0, s8, v5
	global_store_dword v[10:11], v0, off offset:192
	global_load_dword v0, v[6:7], off
	s_waitcnt vmcnt(0)
	v_mul_f32_e32 v0, s9, v0
	v_fmac_f32_e32 v0, s8, v4
	v_add_co_u32_e32 v4, vcc, s0, v10
	v_addc_co_u32_e32 v5, vcc, v11, v14, vcc
	global_store_dword v[4:5], v0, off
	global_load_dword v0, v[6:7], off offset:64
	s_waitcnt vmcnt(0)
	v_mul_f32_e32 v0, s9, v0
	v_fmac_f32_e32 v0, s8, v1
	global_store_dword v[4:5], v0, off offset:64
	global_load_dword v0, v[6:7], off offset:128
	s_waitcnt vmcnt(0)
	v_mul_f32_e32 v0, s9, v0
	v_fmac_f32_e32 v0, s8, v3
	global_store_dword v[4:5], v0, off offset:128
	;; [unrolled: 5-line block ×3, first 2 shown]
.LBB180_7:
	s_endpgm
.LBB180_8:
	s_branch .LBB180_6
	.section	.rodata,"a",@progbits
	.p2align	6, 0x0
	.amdhsa_kernel _ZN12_GLOBAL__N_127rocblas_gemm_batched_kernelIfLi16ELi16ELi64ELi64ELi4ELi64ELi4ELi4ELi64ELc67ELc67EKPKfS3_KPfEEvlllT_PT11_llS8_llS6_PT12_llPT13_lli
		.amdhsa_group_segment_fixed_size 2048
		.amdhsa_private_segment_fixed_size 0
		.amdhsa_kernarg_size 140
		.amdhsa_user_sgpr_count 6
		.amdhsa_user_sgpr_private_segment_buffer 1
		.amdhsa_user_sgpr_dispatch_ptr 0
		.amdhsa_user_sgpr_queue_ptr 0
		.amdhsa_user_sgpr_kernarg_segment_ptr 1
		.amdhsa_user_sgpr_dispatch_id 0
		.amdhsa_user_sgpr_flat_scratch_init 0
		.amdhsa_user_sgpr_kernarg_preload_length 0
		.amdhsa_user_sgpr_kernarg_preload_offset 0
		.amdhsa_user_sgpr_private_segment_size 0
		.amdhsa_uses_dynamic_stack 0
		.amdhsa_system_sgpr_private_segment_wavefront_offset 0
		.amdhsa_system_sgpr_workgroup_id_x 1
		.amdhsa_system_sgpr_workgroup_id_y 1
		.amdhsa_system_sgpr_workgroup_id_z 1
		.amdhsa_system_sgpr_workgroup_info 0
		.amdhsa_system_vgpr_workitem_id 1
		.amdhsa_next_free_vgpr 78
		.amdhsa_next_free_sgpr 36
		.amdhsa_accum_offset 80
		.amdhsa_reserve_vcc 1
		.amdhsa_reserve_flat_scratch 0
		.amdhsa_float_round_mode_32 0
		.amdhsa_float_round_mode_16_64 0
		.amdhsa_float_denorm_mode_32 3
		.amdhsa_float_denorm_mode_16_64 3
		.amdhsa_dx10_clamp 1
		.amdhsa_ieee_mode 1
		.amdhsa_fp16_overflow 0
		.amdhsa_tg_split 0
		.amdhsa_exception_fp_ieee_invalid_op 0
		.amdhsa_exception_fp_denorm_src 0
		.amdhsa_exception_fp_ieee_div_zero 0
		.amdhsa_exception_fp_ieee_overflow 0
		.amdhsa_exception_fp_ieee_underflow 0
		.amdhsa_exception_fp_ieee_inexact 0
		.amdhsa_exception_int_div_zero 0
	.end_amdhsa_kernel
	.section	.text._ZN12_GLOBAL__N_127rocblas_gemm_batched_kernelIfLi16ELi16ELi64ELi64ELi4ELi64ELi4ELi4ELi64ELc67ELc67EKPKfS3_KPfEEvlllT_PT11_llS8_llS6_PT12_llPT13_lli,"axG",@progbits,_ZN12_GLOBAL__N_127rocblas_gemm_batched_kernelIfLi16ELi16ELi64ELi64ELi4ELi64ELi4ELi4ELi64ELc67ELc67EKPKfS3_KPfEEvlllT_PT11_llS8_llS6_PT12_llPT13_lli,comdat
.Lfunc_end180:
	.size	_ZN12_GLOBAL__N_127rocblas_gemm_batched_kernelIfLi16ELi16ELi64ELi64ELi4ELi64ELi4ELi4ELi64ELc67ELc67EKPKfS3_KPfEEvlllT_PT11_llS8_llS6_PT12_llPT13_lli, .Lfunc_end180-_ZN12_GLOBAL__N_127rocblas_gemm_batched_kernelIfLi16ELi16ELi64ELi64ELi4ELi64ELi4ELi4ELi64ELc67ELc67EKPKfS3_KPfEEvlllT_PT11_llS8_llS6_PT12_llPT13_lli
                                        ; -- End function
	.section	.AMDGPU.csdata,"",@progbits
; Kernel info:
; codeLenInByte = 2220
; NumSgprs: 40
; NumVgprs: 78
; NumAgprs: 0
; TotalNumVgprs: 78
; ScratchSize: 0
; MemoryBound: 0
; FloatMode: 240
; IeeeMode: 1
; LDSByteSize: 2048 bytes/workgroup (compile time only)
; SGPRBlocks: 4
; VGPRBlocks: 9
; NumSGPRsForWavesPerEU: 40
; NumVGPRsForWavesPerEU: 78
; AccumOffset: 80
; Occupancy: 6
; WaveLimiterHint : 1
; COMPUTE_PGM_RSRC2:SCRATCH_EN: 0
; COMPUTE_PGM_RSRC2:USER_SGPR: 6
; COMPUTE_PGM_RSRC2:TRAP_HANDLER: 0
; COMPUTE_PGM_RSRC2:TGID_X_EN: 1
; COMPUTE_PGM_RSRC2:TGID_Y_EN: 1
; COMPUTE_PGM_RSRC2:TGID_Z_EN: 1
; COMPUTE_PGM_RSRC2:TIDIG_COMP_CNT: 1
; COMPUTE_PGM_RSRC3_GFX90A:ACCUM_OFFSET: 19
; COMPUTE_PGM_RSRC3_GFX90A:TG_SPLIT: 0
	.section	.text._ZN12_GLOBAL__N_127rocblas_gemm_batched_kernelIfLi16ELi16ELi64ELi64ELi4ELi64ELi4ELi4ELi64ELc67ELc78EKPKfS3_KPfEEvlllT_PT11_llS8_llS6_PT12_llPT13_lli,"axG",@progbits,_ZN12_GLOBAL__N_127rocblas_gemm_batched_kernelIfLi16ELi16ELi64ELi64ELi4ELi64ELi4ELi4ELi64ELc67ELc78EKPKfS3_KPfEEvlllT_PT11_llS8_llS6_PT12_llPT13_lli,comdat
	.globl	_ZN12_GLOBAL__N_127rocblas_gemm_batched_kernelIfLi16ELi16ELi64ELi64ELi4ELi64ELi4ELi4ELi64ELc67ELc78EKPKfS3_KPfEEvlllT_PT11_llS8_llS6_PT12_llPT13_lli ; -- Begin function _ZN12_GLOBAL__N_127rocblas_gemm_batched_kernelIfLi16ELi16ELi64ELi64ELi4ELi64ELi4ELi4ELi64ELc67ELc78EKPKfS3_KPfEEvlllT_PT11_llS8_llS6_PT12_llPT13_lli
	.p2align	8
	.type	_ZN12_GLOBAL__N_127rocblas_gemm_batched_kernelIfLi16ELi16ELi64ELi64ELi4ELi64ELi4ELi4ELi64ELc67ELc78EKPKfS3_KPfEEvlllT_PT11_llS8_llS6_PT12_llPT13_lli,@function
_ZN12_GLOBAL__N_127rocblas_gemm_batched_kernelIfLi16ELi16ELi64ELi64ELi4ELi64ELi4ELi4ELi64ELc67ELc78EKPKfS3_KPfEEvlllT_PT11_llS8_llS6_PT12_llPT13_lli: ; @_ZN12_GLOBAL__N_127rocblas_gemm_batched_kernelIfLi16ELi16ELi64ELi64ELi4ELi64ELi4ELi4ELi64ELc67ELc78EKPKfS3_KPfEEvlllT_PT11_llS8_llS6_PT12_llPT13_lli
; %bb.0:
	s_load_dwordx2 s[30:31], s[4:5], 0x10
	s_load_dwordx4 s[0:3], s[4:5], 0x78
	s_load_dwordx8 s[12:19], s[4:5], 0x58
	s_mov_b32 s9, 0
	s_lshl_b64 s[34:35], s[8:9], 3
	s_mov_b32 s10, s7
	v_bfe_u32 v39, v0, 10, 10
	s_waitcnt lgkmcnt(0)
	s_add_u32 s8, s12, s34
	s_addc_u32 s9, s13, s35
	s_load_dwordx2 s[12:13], s[8:9], 0x0
	s_add_u32 s8, s18, s34
	s_addc_u32 s9, s19, s35
	s_load_dwordx2 s[18:19], s[8:9], 0x0
	s_ashr_i32 s7, s6, 31
	s_ashr_i32 s11, s10, 31
	v_cmp_lt_i64_e64 s[8:9], s[30:31], 1
	v_and_b32_e32 v38, 0x3ff, v0
	s_lshl_b64 s[6:7], s[6:7], 6
	s_lshl_b64 s[28:29], s[10:11], 6
	s_and_b64 vcc, exec, s[8:9]
	s_cbranch_vccnz .LBB181_3
; %bb.1:
	s_load_dwordx8 s[20:27], s[4:5], 0x20
	s_load_dwordx4 s[8:11], s[4:5], 0x40
	v_lshlrev_b32_e32 v0, 4, v39
	v_add_u32_e32 v1, v0, v38
	v_lshrrev_b32_e32 v2, 2, v1
	v_and_b32_e32 v5, 3, v38
	v_and_b32_e32 v6, 63, v1
	s_waitcnt lgkmcnt(0)
	s_add_u32 s20, s20, s34
	v_mov_b32_e32 v3, s29
	v_add_co_u32_e32 v4, vcc, s28, v2
	v_lshrrev_b32_e32 v7, 6, v1
	v_lshlrev_b32_e32 v1, 2, v6
	v_lshlrev_b32_e32 v5, 2, v5
	s_addc_u32 s21, s21, s35
	v_addc_co_u32_e32 v3, vcc, 0, v3, vcc
	v_lshl_or_b32 v40, v7, 8, v1
	v_lshl_or_b32 v1, v2, 4, v5
	s_add_u32 s26, s26, s34
	v_add_u32_e32 v41, 0x400, v1
	v_add_u32_e32 v43, 0x400, v0
	v_mul_lo_u32 v2, s9, v4
	v_mul_lo_u32 v3, s8, v3
	v_mad_u64_u32 v[0:1], s[8:9], s8, v4, 0
	s_addc_u32 s27, s27, s35
	v_add3_u32 v1, v1, v3, v2
	s_load_dwordx2 s[26:27], s[26:27], 0x0
	v_lshlrev_b64 v[0:1], 2, v[0:1]
	s_lshl_b64 s[8:9], s[10:11], 2
	v_mov_b32_e32 v2, s9
	v_add_co_u32_e32 v0, vcc, s8, v0
	v_addc_co_u32_e32 v1, vcc, v1, v2, vcc
	v_add_co_u32_e32 v0, vcc, v0, v5
	v_addc_co_u32_e32 v1, vcc, 0, v1, vcc
	s_waitcnt lgkmcnt(0)
	v_mov_b32_e32 v2, s27
	v_add_co_u32_e32 v8, vcc, s26, v0
	v_addc_co_u32_e32 v9, vcc, v2, v1, vcc
	v_mov_b32_e32 v0, s7
	v_add_co_u32_e32 v1, vcc, s6, v6
	v_addc_co_u32_e32 v0, vcc, 0, v0, vcc
	v_mul_lo_u32 v2, s23, v1
	v_mul_lo_u32 v3, s22, v0
	v_mad_u64_u32 v[0:1], s[8:9], s22, v1, 0
	v_add3_u32 v1, v1, v3, v2
	s_load_dwordx2 s[20:21], s[20:21], 0x0
	v_lshlrev_b64 v[0:1], 2, v[0:1]
	s_lshl_b64 s[8:9], s[24:25], 2
	v_mov_b32_e32 v2, s9
	v_add_co_u32_e32 v0, vcc, s8, v0
	v_addc_co_u32_e32 v1, vcc, v1, v2, vcc
	v_lshlrev_b32_e32 v2, 2, v7
	v_add_co_u32_e32 v0, vcc, v0, v2
	v_addc_co_u32_e32 v1, vcc, 0, v1, vcc
	s_waitcnt lgkmcnt(0)
	v_mov_b32_e32 v2, s21
	v_add_co_u32_e32 v10, vcc, s20, v0
	v_mov_b32_e32 v30, 0
	v_lshlrev_b32_e32 v42, 2, v38
	v_addc_co_u32_e32 v11, vcc, v2, v1, vcc
	s_mov_b64 s[8:9], 0
	v_pk_mov_b32 v[12:13], s[30:31], s[30:31] op_sel:[0,1]
	v_mov_b32_e32 v31, 0
	v_mov_b32_e32 v32, 0
	;; [unrolled: 1-line block ×15, first 2 shown]
.LBB181_2:                              ; =>This Inner Loop Header: Depth=1
	global_load_dword v14, v[10:11], off
	global_load_dword v15, v[8:9], off
	v_add_co_u32_e32 v8, vcc, 16, v8
	v_addc_co_u32_e32 v9, vcc, 0, v9, vcc
	s_add_u32 s8, s8, 4
	v_add_co_u32_e32 v10, vcc, 16, v10
	v_addc_co_u32_e32 v11, vcc, 0, v11, vcc
	s_addc_u32 s9, s9, 0
	v_cmp_lt_i64_e32 vcc, s[8:9], v[12:13]
	s_and_b64 vcc, exec, vcc
	s_waitcnt vmcnt(1)
	ds_write_b32 v40, v14
	s_waitcnt vmcnt(0)
	ds_write_b32 v41, v15
	s_waitcnt lgkmcnt(0)
	s_barrier
	ds_read2_b32 v[18:19], v42 offset1:16
	ds_read2_b32 v[14:15], v42 offset0:32 offset1:48
	ds_read2_b32 v[20:21], v42 offset0:64 offset1:80
	;; [unrolled: 1-line block ×5, first 2 shown]
	ds_read_b128 v[44:47], v43
	ds_read2_b32 v[22:23], v42 offset0:192 offset1:208
	ds_read2_b32 v[26:27], v42 offset0:224 offset1:240
	ds_read_b128 v[48:51], v43 offset:256
	ds_read_b128 v[52:55], v43 offset:512
	s_waitcnt lgkmcnt(4)
	v_fmac_f32_e32 v37, v18, v44
	v_fmac_f32_e32 v36, v19, v44
	;; [unrolled: 1-line block ×6, first 2 shown]
	v_mov_b32_e32 v56, v15
	v_mov_b32_e32 v57, v17
	;; [unrolled: 1-line block ×3, first 2 shown]
	s_waitcnt lgkmcnt(2)
	v_mov_b32_e32 v59, v27
	v_fmac_f32_e32 v37, v24, v46
	v_fmac_f32_e32 v36, v25, v46
	;; [unrolled: 1-line block ×3, first 2 shown]
	v_pk_mul_f32 v[66:67], v[56:57], v[44:45]
	v_pk_mul_f32 v[68:69], v[58:59], v[46:47]
	v_fmac_f32_e32 v37, v22, v47
	v_fmac_f32_e32 v36, v23, v47
	;; [unrolled: 1-line block ×3, first 2 shown]
	ds_read_b128 v[44:47], v43 offset:768
	s_waitcnt lgkmcnt(2)
	v_fmac_f32_e32 v34, v19, v48
	v_fmac_f32_e32 v33, v14, v48
	;; [unrolled: 1-line block ×4, first 2 shown]
	v_mul_f32_e32 v62, v18, v48
	v_mul_f32_e32 v64, v20, v49
	v_pk_mul_f32 v[48:49], v[56:57], v[48:49]
	v_fmac_f32_e32 v34, v25, v50
	v_fmac_f32_e32 v33, v28, v50
	s_waitcnt lgkmcnt(0)
	v_fmac_f32_e32 v30, v19, v44
	v_mul_f32_e32 v60, v24, v50
	v_pk_mul_f32 v[70:71], v[58:59], v[50:51]
	v_mov_b32_e32 v61, v68
	v_mul_f32_e32 v68, v22, v51
	v_fmac_f32_e32 v34, v23, v51
	v_fmac_f32_e32 v33, v26, v51
	v_mov_b32_e32 v63, v66
	v_mov_b32_e32 v65, v67
	v_mul_f32_e32 v50, v18, v52
	v_mov_b32_e32 v51, v48
	v_mul_f32_e32 v48, v20, v53
	v_mul_f32_e32 v18, v18, v44
	v_fmac_f32_e32 v30, v21, v45
	v_mul_f32_e32 v20, v20, v45
	v_pk_mul_f32 v[66:67], v[56:57], v[52:53]
	v_fmac_f32_e32 v31, v14, v52
	v_mul_f32_e32 v15, v14, v44
	v_mul_f32_e32 v17, v16, v45
	v_pk_mul_f32 v[44:45], v[56:57], v[44:45]
	v_fmac_f32_e32 v32, v19, v52
	v_mov_b32_e32 v19, v66
	v_fmac_f32_e32 v31, v16, v53
	v_mov_b32_e32 v14, v44
	;; [unrolled: 2-line block ×4, first 2 shown]
	v_pk_mul_f32 v[44:45], v[58:59], v[46:47]
	v_pk_mul_f32 v[52:53], v[58:59], v[54:55]
	v_pk_add_f32 v[6:7], v[6:7], v[62:63]
	v_pk_add_f32 v[4:5], v[4:5], v[50:51]
	;; [unrolled: 1-line block ×4, first 2 shown]
	v_mul_f32_e32 v29, v28, v46
	v_mov_b32_e32 v28, v44
	v_mov_b32_e32 v44, v45
	v_mul_f32_e32 v45, v26, v47
	v_fmac_f32_e32 v31, v26, v55
	v_mul_f32_e32 v26, v24, v54
	v_fmac_f32_e32 v32, v25, v54
	v_fmac_f32_e32 v30, v25, v46
	v_mul_f32_e32 v24, v24, v46
	v_mov_b32_e32 v27, v70
	v_mov_b32_e32 v25, v52
	v_pk_add_f32 v[6:7], v[6:7], v[64:65]
	v_pk_add_f32 v[4:5], v[4:5], v[48:49]
	;; [unrolled: 1-line block ×4, first 2 shown]
	v_mul_f32_e32 v70, v22, v55
	v_mul_f32_e32 v52, v22, v47
	v_pk_add_f32 v[6:7], v[6:7], v[60:61]
	v_pk_add_f32 v[4:5], v[4:5], v[26:27]
	;; [unrolled: 1-line block ×4, first 2 shown]
	v_fmac_f32_e32 v32, v23, v55
	v_fmac_f32_e32 v30, v23, v47
	v_pk_add_f32 v[6:7], v[6:7], v[68:69]
	v_pk_add_f32 v[4:5], v[4:5], v[70:71]
	;; [unrolled: 1-line block ×4, first 2 shown]
	s_barrier
	s_cbranch_vccnz .LBB181_2
	s_branch .LBB181_4
.LBB181_3:
	v_mov_b32_e32 v37, 0
	v_mov_b32_e32 v36, 0
	;; [unrolled: 1-line block ×16, first 2 shown]
.LBB181_4:
	s_load_dword s8, s[4:5], 0x18
	s_load_dword s9, s[4:5], 0x50
	v_mov_b32_e32 v8, s29
	v_add_co_u32_e32 v10, vcc, s28, v39
	s_lshl_b64 s[2:3], s[2:3], 2
	v_addc_co_u32_e32 v13, vcc, 0, v8, vcc
	s_waitcnt lgkmcnt(0)
	s_add_u32 s4, s18, s2
	v_mov_b32_e32 v9, s7
	v_add_co_u32_e32 v8, vcc, s6, v38
	s_addc_u32 s5, s19, s3
	v_cmp_neq_f32_e64 s[2:3], s9, 0
	v_addc_co_u32_e32 v9, vcc, 0, v9, vcc
	s_and_b64 vcc, exec, s[2:3]
	v_mul_lo_u32 v11, v13, s0
	v_mul_lo_u32 v12, v10, s1
	v_lshlrev_b64 v[8:9], 2, v[8:9]
	s_cbranch_vccnz .LBB181_8
; %bb.5:
	v_mad_u64_u32 v[14:15], s[2:3], v10, s0, 0
	v_add3_u32 v15, v15, v12, v11
	v_lshlrev_b64 v[14:15], 2, v[14:15]
	v_mov_b32_e32 v16, s5
	v_add_co_u32_e32 v14, vcc, s4, v14
	v_addc_co_u32_e32 v15, vcc, v16, v15, vcc
	v_add_co_u32_e32 v14, vcc, v14, v8
	v_mul_f32_e32 v16, s8, v37
	v_addc_co_u32_e32 v15, vcc, v15, v9, vcc
	global_store_dword v[14:15], v16, off
	v_mul_f32_e32 v16, s8, v36
	global_store_dword v[14:15], v16, off offset:64
	v_mul_f32_e32 v16, s8, v35
	global_store_dword v[14:15], v16, off offset:128
	v_mul_f32_e32 v16, s8, v7
	s_lshl_b64 s[2:3], s[0:1], 6
	global_store_dword v[14:15], v16, off offset:192
	v_mov_b32_e32 v17, s3
	v_add_co_u32_e32 v14, vcc, s2, v14
	v_mul_f32_e32 v16, s8, v6
	v_addc_co_u32_e32 v15, vcc, v15, v17, vcc
	global_store_dword v[14:15], v16, off
	v_mul_f32_e32 v16, s8, v34
	global_store_dword v[14:15], v16, off offset:64
	v_mul_f32_e32 v16, s8, v33
	global_store_dword v[14:15], v16, off offset:128
	v_mul_f32_e32 v16, s8, v5
	global_store_dword v[14:15], v16, off offset:192
	v_add_co_u32_e32 v14, vcc, s2, v14
	v_mul_f32_e32 v16, s8, v4
	v_addc_co_u32_e32 v15, vcc, v15, v17, vcc
	global_store_dword v[14:15], v16, off
	v_mul_f32_e32 v16, s8, v32
	global_store_dword v[14:15], v16, off offset:64
	v_mul_f32_e32 v16, s8, v31
	global_store_dword v[14:15], v16, off offset:128
	v_mul_f32_e32 v16, s8, v3
	global_store_dword v[14:15], v16, off offset:192
	;; [unrolled: 10-line block ×3, first 2 shown]
	s_cbranch_execnz .LBB181_7
.LBB181_6:
	s_lshl_b64 s[2:3], s[16:17], 2
	s_add_u32 s6, s12, s2
	s_addc_u32 s7, s13, s3
	v_mul_lo_u32 v13, v13, s14
	v_mul_lo_u32 v16, v10, s15
	v_mad_u64_u32 v[14:15], s[2:3], v10, s14, 0
	v_add3_u32 v15, v15, v16, v13
	v_lshlrev_b64 v[14:15], 2, v[14:15]
	v_mov_b32_e32 v13, s7
	v_add_co_u32_e32 v14, vcc, s6, v14
	v_addc_co_u32_e32 v13, vcc, v13, v15, vcc
	v_add_co_u32_e32 v14, vcc, v14, v8
	v_addc_co_u32_e32 v15, vcc, v13, v9, vcc
	global_load_dword v13, v[14:15], off
	v_mad_u64_u32 v[16:17], s[2:3], v10, s0, 0
	v_add3_u32 v17, v17, v12, v11
	v_lshlrev_b64 v[10:11], 2, v[16:17]
	v_mov_b32_e32 v18, s5
	v_add_co_u32_e32 v10, vcc, s4, v10
	v_addc_co_u32_e32 v11, vcc, v18, v11, vcc
	v_add_co_u32_e32 v8, vcc, v10, v8
	v_addc_co_u32_e32 v9, vcc, v11, v9, vcc
	s_lshl_b64 s[2:3], s[14:15], 6
	s_lshl_b64 s[0:1], s[0:1], 6
	s_waitcnt vmcnt(0)
	v_mul_f32_e32 v10, s9, v13
	v_fmac_f32_e32 v10, s8, v37
	global_store_dword v[8:9], v10, off
	global_load_dword v10, v[14:15], off offset:64
	v_mov_b32_e32 v13, s3
	s_waitcnt vmcnt(0)
	v_mul_f32_e32 v10, s9, v10
	v_fmac_f32_e32 v10, s8, v36
	global_store_dword v[8:9], v10, off offset:64
	global_load_dword v10, v[14:15], off offset:128
	s_waitcnt vmcnt(0)
	v_mul_f32_e32 v10, s9, v10
	v_fmac_f32_e32 v10, s8, v35
	global_store_dword v[8:9], v10, off offset:128
	global_load_dword v12, v[14:15], off offset:192
	v_add_co_u32_e32 v10, vcc, s2, v14
	v_addc_co_u32_e32 v11, vcc, v15, v13, vcc
	s_waitcnt vmcnt(0)
	v_mul_f32_e32 v12, s9, v12
	v_fmac_f32_e32 v12, s8, v7
	global_store_dword v[8:9], v12, off offset:192
	global_load_dword v7, v[10:11], off
	v_mov_b32_e32 v12, s1
	v_add_co_u32_e32 v8, vcc, s0, v8
	v_addc_co_u32_e32 v9, vcc, v9, v12, vcc
	s_waitcnt vmcnt(0)
	v_mul_f32_e32 v7, s9, v7
	v_fmac_f32_e32 v7, s8, v6
	global_store_dword v[8:9], v7, off
	global_load_dword v6, v[10:11], off offset:64
	s_waitcnt vmcnt(0)
	v_mul_f32_e32 v6, s9, v6
	v_fmac_f32_e32 v6, s8, v34
	global_store_dword v[8:9], v6, off offset:64
	global_load_dword v6, v[10:11], off offset:128
	s_waitcnt vmcnt(0)
	v_mul_f32_e32 v6, s9, v6
	v_fmac_f32_e32 v6, s8, v33
	global_store_dword v[8:9], v6, off offset:128
	global_load_dword v14, v[10:11], off offset:192
	v_add_co_u32_e32 v6, vcc, s2, v10
	v_addc_co_u32_e32 v7, vcc, v11, v13, vcc
	s_waitcnt vmcnt(0)
	v_mul_f32_e32 v10, s9, v14
	v_fmac_f32_e32 v10, s8, v5
	global_store_dword v[8:9], v10, off offset:192
	global_load_dword v5, v[6:7], off
	v_add_co_u32_e32 v8, vcc, s0, v8
	v_addc_co_u32_e32 v9, vcc, v9, v12, vcc
	s_waitcnt vmcnt(0)
	v_mul_f32_e32 v5, s9, v5
	v_fmac_f32_e32 v5, s8, v4
	global_store_dword v[8:9], v5, off
	global_load_dword v4, v[6:7], off offset:64
	s_waitcnt vmcnt(0)
	v_mul_f32_e32 v4, s9, v4
	v_fmac_f32_e32 v4, s8, v32
	global_store_dword v[8:9], v4, off offset:64
	global_load_dword v4, v[6:7], off offset:128
	s_waitcnt vmcnt(0)
	v_mul_f32_e32 v4, s9, v4
	v_fmac_f32_e32 v4, s8, v31
	global_store_dword v[8:9], v4, off offset:128
	global_load_dword v10, v[6:7], off offset:192
	v_add_co_u32_e32 v4, vcc, s2, v6
	v_addc_co_u32_e32 v5, vcc, v7, v13, vcc
	s_waitcnt vmcnt(0)
	v_mul_f32_e32 v6, s9, v10
	v_fmac_f32_e32 v6, s8, v3
	global_store_dword v[8:9], v6, off offset:192
	global_load_dword v3, v[4:5], off
	s_waitcnt vmcnt(0)
	v_mul_f32_e32 v6, s9, v3
	v_fmac_f32_e32 v6, s8, v2
	v_add_co_u32_e32 v2, vcc, s0, v8
	v_addc_co_u32_e32 v3, vcc, v9, v12, vcc
	global_store_dword v[2:3], v6, off
	global_load_dword v6, v[4:5], off offset:64
	s_waitcnt vmcnt(0)
	v_mul_f32_e32 v6, s9, v6
	v_fmac_f32_e32 v6, s8, v30
	global_store_dword v[2:3], v6, off offset:64
	global_load_dword v6, v[4:5], off offset:128
	s_waitcnt vmcnt(0)
	v_mul_f32_e32 v6, s9, v6
	v_fmac_f32_e32 v6, s8, v1
	global_store_dword v[2:3], v6, off offset:128
	global_load_dword v1, v[4:5], off offset:192
	s_waitcnt vmcnt(0)
	v_mul_f32_e32 v1, s9, v1
	v_fmac_f32_e32 v1, s8, v0
	global_store_dword v[2:3], v1, off offset:192
.LBB181_7:
	s_endpgm
.LBB181_8:
	s_branch .LBB181_6
	.section	.rodata,"a",@progbits
	.p2align	6, 0x0
	.amdhsa_kernel _ZN12_GLOBAL__N_127rocblas_gemm_batched_kernelIfLi16ELi16ELi64ELi64ELi4ELi64ELi4ELi4ELi64ELc67ELc78EKPKfS3_KPfEEvlllT_PT11_llS8_llS6_PT12_llPT13_lli
		.amdhsa_group_segment_fixed_size 2048
		.amdhsa_private_segment_fixed_size 0
		.amdhsa_kernarg_size 140
		.amdhsa_user_sgpr_count 6
		.amdhsa_user_sgpr_private_segment_buffer 1
		.amdhsa_user_sgpr_dispatch_ptr 0
		.amdhsa_user_sgpr_queue_ptr 0
		.amdhsa_user_sgpr_kernarg_segment_ptr 1
		.amdhsa_user_sgpr_dispatch_id 0
		.amdhsa_user_sgpr_flat_scratch_init 0
		.amdhsa_user_sgpr_kernarg_preload_length 0
		.amdhsa_user_sgpr_kernarg_preload_offset 0
		.amdhsa_user_sgpr_private_segment_size 0
		.amdhsa_uses_dynamic_stack 0
		.amdhsa_system_sgpr_private_segment_wavefront_offset 0
		.amdhsa_system_sgpr_workgroup_id_x 1
		.amdhsa_system_sgpr_workgroup_id_y 1
		.amdhsa_system_sgpr_workgroup_id_z 1
		.amdhsa_system_sgpr_workgroup_info 0
		.amdhsa_system_vgpr_workitem_id 1
		.amdhsa_next_free_vgpr 72
		.amdhsa_next_free_sgpr 36
		.amdhsa_accum_offset 72
		.amdhsa_reserve_vcc 1
		.amdhsa_reserve_flat_scratch 0
		.amdhsa_float_round_mode_32 0
		.amdhsa_float_round_mode_16_64 0
		.amdhsa_float_denorm_mode_32 3
		.amdhsa_float_denorm_mode_16_64 3
		.amdhsa_dx10_clamp 1
		.amdhsa_ieee_mode 1
		.amdhsa_fp16_overflow 0
		.amdhsa_tg_split 0
		.amdhsa_exception_fp_ieee_invalid_op 0
		.amdhsa_exception_fp_denorm_src 0
		.amdhsa_exception_fp_ieee_div_zero 0
		.amdhsa_exception_fp_ieee_overflow 0
		.amdhsa_exception_fp_ieee_underflow 0
		.amdhsa_exception_fp_ieee_inexact 0
		.amdhsa_exception_int_div_zero 0
	.end_amdhsa_kernel
	.section	.text._ZN12_GLOBAL__N_127rocblas_gemm_batched_kernelIfLi16ELi16ELi64ELi64ELi4ELi64ELi4ELi4ELi64ELc67ELc78EKPKfS3_KPfEEvlllT_PT11_llS8_llS6_PT12_llPT13_lli,"axG",@progbits,_ZN12_GLOBAL__N_127rocblas_gemm_batched_kernelIfLi16ELi16ELi64ELi64ELi4ELi64ELi4ELi4ELi64ELc67ELc78EKPKfS3_KPfEEvlllT_PT11_llS8_llS6_PT12_llPT13_lli,comdat
.Lfunc_end181:
	.size	_ZN12_GLOBAL__N_127rocblas_gemm_batched_kernelIfLi16ELi16ELi64ELi64ELi4ELi64ELi4ELi4ELi64ELc67ELc78EKPKfS3_KPfEEvlllT_PT11_llS8_llS6_PT12_llPT13_lli, .Lfunc_end181-_ZN12_GLOBAL__N_127rocblas_gemm_batched_kernelIfLi16ELi16ELi64ELi64ELi4ELi64ELi4ELi4ELi64ELc67ELc78EKPKfS3_KPfEEvlllT_PT11_llS8_llS6_PT12_llPT13_lli
                                        ; -- End function
	.section	.AMDGPU.csdata,"",@progbits
; Kernel info:
; codeLenInByte = 2224
; NumSgprs: 40
; NumVgprs: 72
; NumAgprs: 0
; TotalNumVgprs: 72
; ScratchSize: 0
; MemoryBound: 0
; FloatMode: 240
; IeeeMode: 1
; LDSByteSize: 2048 bytes/workgroup (compile time only)
; SGPRBlocks: 4
; VGPRBlocks: 8
; NumSGPRsForWavesPerEU: 40
; NumVGPRsForWavesPerEU: 72
; AccumOffset: 72
; Occupancy: 7
; WaveLimiterHint : 1
; COMPUTE_PGM_RSRC2:SCRATCH_EN: 0
; COMPUTE_PGM_RSRC2:USER_SGPR: 6
; COMPUTE_PGM_RSRC2:TRAP_HANDLER: 0
; COMPUTE_PGM_RSRC2:TGID_X_EN: 1
; COMPUTE_PGM_RSRC2:TGID_Y_EN: 1
; COMPUTE_PGM_RSRC2:TGID_Z_EN: 1
; COMPUTE_PGM_RSRC2:TIDIG_COMP_CNT: 1
; COMPUTE_PGM_RSRC3_GFX90A:ACCUM_OFFSET: 17
; COMPUTE_PGM_RSRC3_GFX90A:TG_SPLIT: 0
	.section	.text._ZN12_GLOBAL__N_127rocblas_gemm_batched_kernelIfLi16ELi16ELi64ELi64ELi4ELi64ELi4ELi4ELi64ELc67ELc84EKPKfS3_KPfEEvlllT_PT11_llS8_llS6_PT12_llPT13_lli,"axG",@progbits,_ZN12_GLOBAL__N_127rocblas_gemm_batched_kernelIfLi16ELi16ELi64ELi64ELi4ELi64ELi4ELi4ELi64ELc67ELc84EKPKfS3_KPfEEvlllT_PT11_llS8_llS6_PT12_llPT13_lli,comdat
	.globl	_ZN12_GLOBAL__N_127rocblas_gemm_batched_kernelIfLi16ELi16ELi64ELi64ELi4ELi64ELi4ELi4ELi64ELc67ELc84EKPKfS3_KPfEEvlllT_PT11_llS8_llS6_PT12_llPT13_lli ; -- Begin function _ZN12_GLOBAL__N_127rocblas_gemm_batched_kernelIfLi16ELi16ELi64ELi64ELi4ELi64ELi4ELi4ELi64ELc67ELc84EKPKfS3_KPfEEvlllT_PT11_llS8_llS6_PT12_llPT13_lli
	.p2align	8
	.type	_ZN12_GLOBAL__N_127rocblas_gemm_batched_kernelIfLi16ELi16ELi64ELi64ELi4ELi64ELi4ELi4ELi64ELc67ELc84EKPKfS3_KPfEEvlllT_PT11_llS8_llS6_PT12_llPT13_lli,@function
_ZN12_GLOBAL__N_127rocblas_gemm_batched_kernelIfLi16ELi16ELi64ELi64ELi4ELi64ELi4ELi4ELi64ELc67ELc84EKPKfS3_KPfEEvlllT_PT11_llS8_llS6_PT12_llPT13_lli: ; @_ZN12_GLOBAL__N_127rocblas_gemm_batched_kernelIfLi16ELi16ELi64ELi64ELi4ELi64ELi4ELi4ELi64ELc67ELc84EKPKfS3_KPfEEvlllT_PT11_llS8_llS6_PT12_llPT13_lli
; %bb.0:
	s_load_dwordx2 s[30:31], s[4:5], 0x10
	s_load_dwordx4 s[0:3], s[4:5], 0x78
	s_load_dwordx8 s[12:19], s[4:5], 0x58
	s_mov_b32 s9, 0
	s_lshl_b64 s[34:35], s[8:9], 3
	s_mov_b32 s10, s7
	v_bfe_u32 v39, v0, 10, 10
	s_waitcnt lgkmcnt(0)
	s_add_u32 s8, s12, s34
	s_addc_u32 s9, s13, s35
	s_load_dwordx2 s[12:13], s[8:9], 0x0
	s_add_u32 s8, s18, s34
	s_addc_u32 s9, s19, s35
	s_load_dwordx2 s[18:19], s[8:9], 0x0
	s_ashr_i32 s7, s6, 31
	s_ashr_i32 s11, s10, 31
	v_cmp_lt_i64_e64 s[8:9], s[30:31], 1
	v_and_b32_e32 v37, 0x3ff, v0
	s_lshl_b64 s[6:7], s[6:7], 6
	s_lshl_b64 s[28:29], s[10:11], 6
	s_and_b64 vcc, exec, s[8:9]
	s_cbranch_vccnz .LBB182_3
; %bb.1:
	s_load_dwordx8 s[20:27], s[4:5], 0x20
	s_load_dwordx4 s[8:11], s[4:5], 0x40
	v_lshlrev_b32_e32 v2, 4, v39
	v_add_u32_e32 v3, v2, v37
	v_and_b32_e32 v6, 63, v3
	s_waitcnt lgkmcnt(0)
	s_add_u32 s20, s20, s34
	s_addc_u32 s21, s21, s35
	s_add_u32 s26, s26, s34
	v_lshrrev_b32_e32 v0, 2, v3
	v_and_b32_e32 v4, 3, v37
	v_lshrrev_b32_e32 v7, 6, v3
	v_lshlrev_b32_e32 v3, 2, v6
	s_addc_u32 s27, s27, s35
	v_lshl_or_b32 v40, v7, 8, v3
	v_lshlrev_b32_e32 v3, 2, v4
	s_load_dwordx2 s[26:27], s[26:27], 0x0
	v_mov_b32_e32 v1, 0
	v_lshl_or_b32 v3, v0, 4, v3
	v_add_u32_e32 v41, 0x400, v3
	v_add_u32_e32 v43, 0x400, v2
	v_mad_u64_u32 v[2:3], s[34:35], v4, s8, v[0:1]
	v_mov_b32_e32 v0, v3
	v_mad_u64_u32 v[4:5], s[34:35], v4, s9, v[0:1]
	s_lshl_b64 s[10:11], s[10:11], 2
	v_mov_b32_e32 v3, v4
	v_mov_b32_e32 v0, s29
	v_add_co_u32_e32 v2, vcc, s28, v2
	v_addc_co_u32_e32 v3, vcc, v3, v0, vcc
	s_waitcnt lgkmcnt(0)
	s_add_u32 s10, s26, s10
	v_lshlrev_b64 v[2:3], 2, v[2:3]
	s_addc_u32 s11, s27, s11
	v_mov_b32_e32 v0, s11
	v_add_co_u32_e32 v10, vcc, s10, v2
	v_addc_co_u32_e32 v11, vcc, v0, v3, vcc
	v_mov_b32_e32 v0, s7
	v_add_co_u32_e32 v2, vcc, s6, v6
	v_addc_co_u32_e32 v0, vcc, 0, v0, vcc
	v_mul_lo_u32 v4, s23, v2
	v_mul_lo_u32 v0, s22, v0
	v_mad_u64_u32 v[2:3], s[10:11], s22, v2, 0
	v_add3_u32 v3, v3, v0, v4
	s_load_dwordx2 s[20:21], s[20:21], 0x0
	v_lshlrev_b64 v[2:3], 2, v[2:3]
	s_lshl_b64 s[10:11], s[24:25], 2
	v_mov_b32_e32 v0, s11
	v_add_co_u32_e32 v2, vcc, s10, v2
	v_addc_co_u32_e32 v0, vcc, v3, v0, vcc
	v_lshlrev_b32_e32 v3, 2, v7
	v_add_co_u32_e32 v2, vcc, v2, v3
	v_addc_co_u32_e32 v0, vcc, 0, v0, vcc
	s_lshl_b64 s[8:9], s[8:9], 4
	s_waitcnt lgkmcnt(0)
	v_mov_b32_e32 v3, s21
	v_add_co_u32_e32 v12, vcc, s20, v2
	v_lshlrev_b32_e32 v42, 2, v37
	v_addc_co_u32_e32 v13, vcc, v3, v0, vcc
	s_mov_b64 s[10:11], 0
	v_mov_b32_e32 v44, s9
	v_pk_mov_b32 v[14:15], s[30:31], s[30:31] op_sel:[0,1]
	v_mov_b32_e32 v0, v1
	v_mov_b32_e32 v32, v1
	;; [unrolled: 1-line block ×15, first 2 shown]
.LBB182_2:                              ; =>This Inner Loop Header: Depth=1
	global_load_dword v16, v[12:13], off
	global_load_dword v17, v[10:11], off
	v_add_co_u32_e32 v10, vcc, s8, v10
	v_addc_co_u32_e32 v11, vcc, v11, v44, vcc
	s_add_u32 s10, s10, 4
	v_add_co_u32_e32 v12, vcc, 16, v12
	v_addc_co_u32_e32 v13, vcc, 0, v13, vcc
	s_addc_u32 s11, s11, 0
	v_cmp_lt_i64_e32 vcc, s[10:11], v[14:15]
	s_and_b64 vcc, exec, vcc
	s_waitcnt vmcnt(1)
	ds_write_b32 v40, v16
	s_waitcnt vmcnt(0)
	ds_write_b32 v41, v17
	s_waitcnt lgkmcnt(0)
	s_barrier
	ds_read2_b32 v[20:21], v42 offset1:16
	ds_read2_b32 v[16:17], v42 offset0:32 offset1:48
	ds_read2_b32 v[22:23], v42 offset0:64 offset1:80
	;; [unrolled: 1-line block ×5, first 2 shown]
	ds_read_b128 v[46:49], v43
	ds_read2_b32 v[24:25], v42 offset0:192 offset1:208
	ds_read2_b32 v[30:31], v42 offset0:224 offset1:240
	ds_read_b128 v[50:53], v43 offset:256
	ds_read_b128 v[54:57], v43 offset:512
	s_waitcnt lgkmcnt(4)
	v_fmac_f32_e32 v38, v20, v46
	v_fmac_f32_e32 v36, v21, v46
	;; [unrolled: 1-line block ×6, first 2 shown]
	v_mov_b32_e32 v58, v17
	v_mov_b32_e32 v59, v19
	;; [unrolled: 1-line block ×3, first 2 shown]
	s_waitcnt lgkmcnt(2)
	v_mov_b32_e32 v61, v31
	v_fmac_f32_e32 v38, v26, v48
	v_fmac_f32_e32 v36, v27, v48
	;; [unrolled: 1-line block ×3, first 2 shown]
	v_pk_mul_f32 v[68:69], v[58:59], v[46:47]
	v_fmac_f32_e32 v38, v24, v49
	v_fmac_f32_e32 v36, v25, v49
	;; [unrolled: 1-line block ×3, first 2 shown]
	v_pk_mul_f32 v[70:71], v[60:61], v[48:49]
	ds_read_b128 v[46:49], v43 offset:768
	s_waitcnt lgkmcnt(2)
	v_fmac_f32_e32 v34, v21, v50
	v_fmac_f32_e32 v33, v16, v50
	;; [unrolled: 1-line block ×4, first 2 shown]
	s_waitcnt lgkmcnt(1)
	v_fmac_f32_e32 v32, v21, v54
	v_fmac_f32_e32 v0, v16, v54
	s_waitcnt lgkmcnt(0)
	v_fmac_f32_e32 v1, v21, v46
	v_mul_f32_e32 v64, v20, v50
	v_mul_f32_e32 v66, v22, v51
	v_pk_mul_f32 v[50:51], v[58:59], v[50:51]
	v_fmac_f32_e32 v34, v27, v52
	v_fmac_f32_e32 v33, v28, v52
	;; [unrolled: 1-line block ×4, first 2 shown]
	v_mul_f32_e32 v74, v20, v54
	v_mul_f32_e32 v76, v22, v55
	v_pk_mul_f32 v[54:55], v[58:59], v[54:55]
	v_mul_f32_e32 v20, v20, v46
	v_fmac_f32_e32 v1, v23, v47
	v_mul_f32_e32 v22, v22, v47
	v_mul_f32_e32 v17, v16, v46
	;; [unrolled: 1-line block ×3, first 2 shown]
	v_pk_mul_f32 v[46:47], v[58:59], v[46:47]
	v_mul_f32_e32 v62, v26, v52
	v_mov_b32_e32 v63, v70
	v_mul_f32_e32 v70, v24, v53
	v_fmac_f32_e32 v34, v25, v53
	v_fmac_f32_e32 v33, v30, v53
	v_pk_mul_f32 v[52:53], v[60:61], v[52:53]
	v_fmac_f32_e32 v32, v27, v56
	v_fmac_f32_e32 v0, v28, v56
	v_mov_b32_e32 v65, v68
	v_mov_b32_e32 v75, v50
	;; [unrolled: 1-line block ×4, first 2 shown]
	v_mul_f32_e32 v72, v26, v56
	v_mov_b32_e32 v73, v52
	v_mul_f32_e32 v52, v24, v57
	v_fmac_f32_e32 v32, v25, v57
	v_fmac_f32_e32 v0, v30, v57
	v_pk_mul_f32 v[56:57], v[60:61], v[56:57]
	v_mov_b32_e32 v67, v69
	v_mov_b32_e32 v77, v51
	v_mov_b32_e32 v23, v55
	v_mov_b32_e32 v18, v47
	v_pk_mul_f32 v[46:47], v[60:61], v[48:49]
	v_pk_add_f32 v[8:9], v[8:9], v[64:65]
	v_pk_add_f32 v[6:7], v[6:7], v[74:75]
	;; [unrolled: 1-line block ×4, first 2 shown]
	v_fmac_f32_e32 v1, v27, v48
	v_mul_f32_e32 v26, v26, v48
	v_mul_f32_e32 v29, v28, v48
	v_mov_b32_e32 v27, v56
	v_mov_b32_e32 v28, v46
	v_pk_add_f32 v[8:9], v[8:9], v[66:67]
	v_pk_add_f32 v[6:7], v[6:7], v[76:77]
	;; [unrolled: 1-line block ×4, first 2 shown]
	v_mul_f32_e32 v31, v30, v49
	v_mul_f32_e32 v56, v24, v49
	v_mov_b32_e32 v30, v47
	v_pk_add_f32 v[8:9], v[8:9], v[62:63]
	v_pk_add_f32 v[6:7], v[6:7], v[72:73]
	;; [unrolled: 1-line block ×4, first 2 shown]
	v_fmac_f32_e32 v1, v25, v49
	v_pk_add_f32 v[8:9], v[8:9], v[70:71]
	v_pk_add_f32 v[6:7], v[6:7], v[52:53]
	;; [unrolled: 1-line block ×4, first 2 shown]
	s_barrier
	s_cbranch_vccnz .LBB182_2
	s_branch .LBB182_4
.LBB182_3:
	v_mov_b32_e32 v38, 0
	v_mov_b32_e32 v36, 0
	;; [unrolled: 1-line block ×16, first 2 shown]
.LBB182_4:
	s_load_dword s8, s[4:5], 0x18
	s_load_dword s9, s[4:5], 0x50
	v_mov_b32_e32 v10, s29
	v_add_co_u32_e32 v12, vcc, s28, v39
	s_lshl_b64 s[2:3], s[2:3], 2
	v_addc_co_u32_e32 v15, vcc, 0, v10, vcc
	s_waitcnt lgkmcnt(0)
	s_add_u32 s4, s18, s2
	v_mov_b32_e32 v11, s7
	v_add_co_u32_e32 v10, vcc, s6, v37
	s_addc_u32 s5, s19, s3
	v_cmp_neq_f32_e64 s[2:3], s9, 0
	v_addc_co_u32_e32 v11, vcc, 0, v11, vcc
	s_and_b64 vcc, exec, s[2:3]
	v_mul_lo_u32 v13, v15, s0
	v_mul_lo_u32 v14, v12, s1
	v_lshlrev_b64 v[10:11], 2, v[10:11]
	s_cbranch_vccnz .LBB182_8
; %bb.5:
	v_mad_u64_u32 v[16:17], s[2:3], v12, s0, 0
	v_add3_u32 v17, v17, v14, v13
	v_lshlrev_b64 v[16:17], 2, v[16:17]
	v_mov_b32_e32 v18, s5
	v_add_co_u32_e32 v16, vcc, s4, v16
	v_addc_co_u32_e32 v17, vcc, v18, v17, vcc
	v_add_co_u32_e32 v16, vcc, v16, v10
	v_mul_f32_e32 v18, s8, v38
	v_addc_co_u32_e32 v17, vcc, v17, v11, vcc
	global_store_dword v[16:17], v18, off
	v_mul_f32_e32 v18, s8, v36
	global_store_dword v[16:17], v18, off offset:64
	v_mul_f32_e32 v18, s8, v35
	global_store_dword v[16:17], v18, off offset:128
	v_mul_f32_e32 v18, s8, v9
	s_lshl_b64 s[2:3], s[0:1], 6
	global_store_dword v[16:17], v18, off offset:192
	v_mov_b32_e32 v19, s3
	v_add_co_u32_e32 v16, vcc, s2, v16
	v_mul_f32_e32 v18, s8, v8
	v_addc_co_u32_e32 v17, vcc, v17, v19, vcc
	global_store_dword v[16:17], v18, off
	v_mul_f32_e32 v18, s8, v34
	global_store_dword v[16:17], v18, off offset:64
	v_mul_f32_e32 v18, s8, v33
	global_store_dword v[16:17], v18, off offset:128
	v_mul_f32_e32 v18, s8, v7
	global_store_dword v[16:17], v18, off offset:192
	v_add_co_u32_e32 v16, vcc, s2, v16
	v_mul_f32_e32 v18, s8, v6
	v_addc_co_u32_e32 v17, vcc, v17, v19, vcc
	global_store_dword v[16:17], v18, off
	v_mul_f32_e32 v18, s8, v32
	global_store_dword v[16:17], v18, off offset:64
	v_mul_f32_e32 v18, s8, v0
	global_store_dword v[16:17], v18, off offset:128
	v_mul_f32_e32 v18, s8, v5
	global_store_dword v[16:17], v18, off offset:192
	;; [unrolled: 10-line block ×3, first 2 shown]
	s_cbranch_execnz .LBB182_7
.LBB182_6:
	s_lshl_b64 s[2:3], s[16:17], 2
	s_add_u32 s6, s12, s2
	s_addc_u32 s7, s13, s3
	v_mul_lo_u32 v15, v15, s14
	v_mul_lo_u32 v18, v12, s15
	v_mad_u64_u32 v[16:17], s[2:3], v12, s14, 0
	v_add3_u32 v17, v17, v18, v15
	v_lshlrev_b64 v[16:17], 2, v[16:17]
	v_mov_b32_e32 v15, s7
	v_add_co_u32_e32 v16, vcc, s6, v16
	v_addc_co_u32_e32 v15, vcc, v15, v17, vcc
	v_add_co_u32_e32 v16, vcc, v16, v10
	v_addc_co_u32_e32 v17, vcc, v15, v11, vcc
	global_load_dword v15, v[16:17], off
	v_mad_u64_u32 v[18:19], s[2:3], v12, s0, 0
	v_add3_u32 v19, v19, v14, v13
	v_lshlrev_b64 v[12:13], 2, v[18:19]
	v_mov_b32_e32 v20, s5
	v_add_co_u32_e32 v12, vcc, s4, v12
	v_addc_co_u32_e32 v13, vcc, v20, v13, vcc
	v_add_co_u32_e32 v10, vcc, v12, v10
	v_addc_co_u32_e32 v11, vcc, v13, v11, vcc
	s_lshl_b64 s[2:3], s[14:15], 6
	s_lshl_b64 s[0:1], s[0:1], 6
	s_waitcnt vmcnt(0)
	v_mul_f32_e32 v12, s9, v15
	v_fmac_f32_e32 v12, s8, v38
	global_store_dword v[10:11], v12, off
	global_load_dword v12, v[16:17], off offset:64
	v_mov_b32_e32 v15, s3
	s_waitcnt vmcnt(0)
	v_mul_f32_e32 v12, s9, v12
	v_fmac_f32_e32 v12, s8, v36
	global_store_dword v[10:11], v12, off offset:64
	global_load_dword v12, v[16:17], off offset:128
	s_waitcnt vmcnt(0)
	v_mul_f32_e32 v12, s9, v12
	v_fmac_f32_e32 v12, s8, v35
	global_store_dword v[10:11], v12, off offset:128
	global_load_dword v14, v[16:17], off offset:192
	v_add_co_u32_e32 v12, vcc, s2, v16
	v_addc_co_u32_e32 v13, vcc, v17, v15, vcc
	s_waitcnt vmcnt(0)
	v_mul_f32_e32 v14, s9, v14
	v_fmac_f32_e32 v14, s8, v9
	global_store_dword v[10:11], v14, off offset:192
	global_load_dword v9, v[12:13], off
	v_mov_b32_e32 v14, s1
	v_add_co_u32_e32 v10, vcc, s0, v10
	v_addc_co_u32_e32 v11, vcc, v11, v14, vcc
	s_waitcnt vmcnt(0)
	v_mul_f32_e32 v9, s9, v9
	v_fmac_f32_e32 v9, s8, v8
	global_store_dword v[10:11], v9, off
	global_load_dword v8, v[12:13], off offset:64
	s_waitcnt vmcnt(0)
	v_mul_f32_e32 v8, s9, v8
	v_fmac_f32_e32 v8, s8, v34
	global_store_dword v[10:11], v8, off offset:64
	global_load_dword v8, v[12:13], off offset:128
	s_waitcnt vmcnt(0)
	v_mul_f32_e32 v8, s9, v8
	v_fmac_f32_e32 v8, s8, v33
	global_store_dword v[10:11], v8, off offset:128
	global_load_dword v16, v[12:13], off offset:192
	v_add_co_u32_e32 v8, vcc, s2, v12
	v_addc_co_u32_e32 v9, vcc, v13, v15, vcc
	s_waitcnt vmcnt(0)
	v_mul_f32_e32 v12, s9, v16
	v_fmac_f32_e32 v12, s8, v7
	global_store_dword v[10:11], v12, off offset:192
	global_load_dword v7, v[8:9], off
	v_add_co_u32_e32 v10, vcc, s0, v10
	v_addc_co_u32_e32 v11, vcc, v11, v14, vcc
	s_waitcnt vmcnt(0)
	v_mul_f32_e32 v7, s9, v7
	v_fmac_f32_e32 v7, s8, v6
	global_store_dword v[10:11], v7, off
	global_load_dword v6, v[8:9], off offset:64
	s_waitcnt vmcnt(0)
	v_mul_f32_e32 v6, s9, v6
	v_fmac_f32_e32 v6, s8, v32
	global_store_dword v[10:11], v6, off offset:64
	global_load_dword v6, v[8:9], off offset:128
	s_waitcnt vmcnt(0)
	v_mul_f32_e32 v6, s9, v6
	v_fmac_f32_e32 v6, s8, v0
	global_store_dword v[10:11], v6, off offset:128
	global_load_dword v0, v[8:9], off offset:192
	v_add_co_u32_e32 v6, vcc, s2, v8
	v_addc_co_u32_e32 v7, vcc, v9, v15, vcc
	s_waitcnt vmcnt(0)
	v_mul_f32_e32 v0, s9, v0
	v_fmac_f32_e32 v0, s8, v5
	global_store_dword v[10:11], v0, off offset:192
	global_load_dword v0, v[6:7], off
	s_waitcnt vmcnt(0)
	v_mul_f32_e32 v0, s9, v0
	v_fmac_f32_e32 v0, s8, v4
	v_add_co_u32_e32 v4, vcc, s0, v10
	v_addc_co_u32_e32 v5, vcc, v11, v14, vcc
	global_store_dword v[4:5], v0, off
	global_load_dword v0, v[6:7], off offset:64
	s_waitcnt vmcnt(0)
	v_mul_f32_e32 v0, s9, v0
	v_fmac_f32_e32 v0, s8, v1
	global_store_dword v[4:5], v0, off offset:64
	global_load_dword v0, v[6:7], off offset:128
	s_waitcnt vmcnt(0)
	v_mul_f32_e32 v0, s9, v0
	v_fmac_f32_e32 v0, s8, v3
	global_store_dword v[4:5], v0, off offset:128
	;; [unrolled: 5-line block ×3, first 2 shown]
.LBB182_7:
	s_endpgm
.LBB182_8:
	s_branch .LBB182_6
	.section	.rodata,"a",@progbits
	.p2align	6, 0x0
	.amdhsa_kernel _ZN12_GLOBAL__N_127rocblas_gemm_batched_kernelIfLi16ELi16ELi64ELi64ELi4ELi64ELi4ELi4ELi64ELc67ELc84EKPKfS3_KPfEEvlllT_PT11_llS8_llS6_PT12_llPT13_lli
		.amdhsa_group_segment_fixed_size 2048
		.amdhsa_private_segment_fixed_size 0
		.amdhsa_kernarg_size 140
		.amdhsa_user_sgpr_count 6
		.amdhsa_user_sgpr_private_segment_buffer 1
		.amdhsa_user_sgpr_dispatch_ptr 0
		.amdhsa_user_sgpr_queue_ptr 0
		.amdhsa_user_sgpr_kernarg_segment_ptr 1
		.amdhsa_user_sgpr_dispatch_id 0
		.amdhsa_user_sgpr_flat_scratch_init 0
		.amdhsa_user_sgpr_kernarg_preload_length 0
		.amdhsa_user_sgpr_kernarg_preload_offset 0
		.amdhsa_user_sgpr_private_segment_size 0
		.amdhsa_uses_dynamic_stack 0
		.amdhsa_system_sgpr_private_segment_wavefront_offset 0
		.amdhsa_system_sgpr_workgroup_id_x 1
		.amdhsa_system_sgpr_workgroup_id_y 1
		.amdhsa_system_sgpr_workgroup_id_z 1
		.amdhsa_system_sgpr_workgroup_info 0
		.amdhsa_system_vgpr_workitem_id 1
		.amdhsa_next_free_vgpr 78
		.amdhsa_next_free_sgpr 36
		.amdhsa_accum_offset 80
		.amdhsa_reserve_vcc 1
		.amdhsa_reserve_flat_scratch 0
		.amdhsa_float_round_mode_32 0
		.amdhsa_float_round_mode_16_64 0
		.amdhsa_float_denorm_mode_32 3
		.amdhsa_float_denorm_mode_16_64 3
		.amdhsa_dx10_clamp 1
		.amdhsa_ieee_mode 1
		.amdhsa_fp16_overflow 0
		.amdhsa_tg_split 0
		.amdhsa_exception_fp_ieee_invalid_op 0
		.amdhsa_exception_fp_denorm_src 0
		.amdhsa_exception_fp_ieee_div_zero 0
		.amdhsa_exception_fp_ieee_overflow 0
		.amdhsa_exception_fp_ieee_underflow 0
		.amdhsa_exception_fp_ieee_inexact 0
		.amdhsa_exception_int_div_zero 0
	.end_amdhsa_kernel
	.section	.text._ZN12_GLOBAL__N_127rocblas_gemm_batched_kernelIfLi16ELi16ELi64ELi64ELi4ELi64ELi4ELi4ELi64ELc67ELc84EKPKfS3_KPfEEvlllT_PT11_llS8_llS6_PT12_llPT13_lli,"axG",@progbits,_ZN12_GLOBAL__N_127rocblas_gemm_batched_kernelIfLi16ELi16ELi64ELi64ELi4ELi64ELi4ELi4ELi64ELc67ELc84EKPKfS3_KPfEEvlllT_PT11_llS8_llS6_PT12_llPT13_lli,comdat
.Lfunc_end182:
	.size	_ZN12_GLOBAL__N_127rocblas_gemm_batched_kernelIfLi16ELi16ELi64ELi64ELi4ELi64ELi4ELi4ELi64ELc67ELc84EKPKfS3_KPfEEvlllT_PT11_llS8_llS6_PT12_llPT13_lli, .Lfunc_end182-_ZN12_GLOBAL__N_127rocblas_gemm_batched_kernelIfLi16ELi16ELi64ELi64ELi4ELi64ELi4ELi4ELi64ELc67ELc84EKPKfS3_KPfEEvlllT_PT11_llS8_llS6_PT12_llPT13_lli
                                        ; -- End function
	.section	.AMDGPU.csdata,"",@progbits
; Kernel info:
; codeLenInByte = 2220
; NumSgprs: 40
; NumVgprs: 78
; NumAgprs: 0
; TotalNumVgprs: 78
; ScratchSize: 0
; MemoryBound: 0
; FloatMode: 240
; IeeeMode: 1
; LDSByteSize: 2048 bytes/workgroup (compile time only)
; SGPRBlocks: 4
; VGPRBlocks: 9
; NumSGPRsForWavesPerEU: 40
; NumVGPRsForWavesPerEU: 78
; AccumOffset: 80
; Occupancy: 6
; WaveLimiterHint : 1
; COMPUTE_PGM_RSRC2:SCRATCH_EN: 0
; COMPUTE_PGM_RSRC2:USER_SGPR: 6
; COMPUTE_PGM_RSRC2:TRAP_HANDLER: 0
; COMPUTE_PGM_RSRC2:TGID_X_EN: 1
; COMPUTE_PGM_RSRC2:TGID_Y_EN: 1
; COMPUTE_PGM_RSRC2:TGID_Z_EN: 1
; COMPUTE_PGM_RSRC2:TIDIG_COMP_CNT: 1
; COMPUTE_PGM_RSRC3_GFX90A:ACCUM_OFFSET: 19
; COMPUTE_PGM_RSRC3_GFX90A:TG_SPLIT: 0
	.section	.text._ZN12_GLOBAL__N_127rocblas_gemm_batched_kernelIfLi16ELi16ELi64ELi64ELi4ELi64ELi4ELi4ELi64ELc78ELc67EKPKfS3_KPfEEvlllT_PT11_llS8_llS6_PT12_llPT13_lli,"axG",@progbits,_ZN12_GLOBAL__N_127rocblas_gemm_batched_kernelIfLi16ELi16ELi64ELi64ELi4ELi64ELi4ELi4ELi64ELc78ELc67EKPKfS3_KPfEEvlllT_PT11_llS8_llS6_PT12_llPT13_lli,comdat
	.globl	_ZN12_GLOBAL__N_127rocblas_gemm_batched_kernelIfLi16ELi16ELi64ELi64ELi4ELi64ELi4ELi4ELi64ELc78ELc67EKPKfS3_KPfEEvlllT_PT11_llS8_llS6_PT12_llPT13_lli ; -- Begin function _ZN12_GLOBAL__N_127rocblas_gemm_batched_kernelIfLi16ELi16ELi64ELi64ELi4ELi64ELi4ELi4ELi64ELc78ELc67EKPKfS3_KPfEEvlllT_PT11_llS8_llS6_PT12_llPT13_lli
	.p2align	8
	.type	_ZN12_GLOBAL__N_127rocblas_gemm_batched_kernelIfLi16ELi16ELi64ELi64ELi4ELi64ELi4ELi4ELi64ELc78ELc67EKPKfS3_KPfEEvlllT_PT11_llS8_llS6_PT12_llPT13_lli,@function
_ZN12_GLOBAL__N_127rocblas_gemm_batched_kernelIfLi16ELi16ELi64ELi64ELi4ELi64ELi4ELi4ELi64ELc78ELc67EKPKfS3_KPfEEvlllT_PT11_llS8_llS6_PT12_llPT13_lli: ; @_ZN12_GLOBAL__N_127rocblas_gemm_batched_kernelIfLi16ELi16ELi64ELi64ELi4ELi64ELi4ELi4ELi64ELc78ELc67EKPKfS3_KPfEEvlllT_PT11_llS8_llS6_PT12_llPT13_lli
; %bb.0:
	s_load_dwordx2 s[30:31], s[4:5], 0x10
	s_load_dwordx4 s[0:3], s[4:5], 0x78
	s_load_dwordx8 s[12:19], s[4:5], 0x58
	s_mov_b32 s9, 0
	s_lshl_b64 s[34:35], s[8:9], 3
	s_mov_b32 s10, s7
	v_bfe_u32 v35, v0, 10, 10
	s_waitcnt lgkmcnt(0)
	s_add_u32 s8, s12, s34
	s_addc_u32 s9, s13, s35
	s_load_dwordx2 s[12:13], s[8:9], 0x0
	s_add_u32 s8, s18, s34
	s_addc_u32 s9, s19, s35
	s_load_dwordx2 s[18:19], s[8:9], 0x0
	s_ashr_i32 s7, s6, 31
	s_ashr_i32 s11, s10, 31
	v_cmp_lt_i64_e64 s[8:9], s[30:31], 1
	v_and_b32_e32 v33, 0x3ff, v0
	s_lshl_b64 s[6:7], s[6:7], 6
	s_lshl_b64 s[28:29], s[10:11], 6
	s_and_b64 vcc, exec, s[8:9]
	s_cbranch_vccnz .LBB183_3
; %bb.1:
	s_load_dwordx8 s[20:27], s[4:5], 0x20
	s_load_dwordx4 s[8:11], s[4:5], 0x40
	v_lshlrev_b32_e32 v2, 4, v35
	v_add_u32_e32 v3, v2, v33
	v_and_b32_e32 v6, 63, v3
	s_waitcnt lgkmcnt(0)
	s_add_u32 s20, s20, s34
	s_addc_u32 s21, s21, s35
	s_add_u32 s26, s26, s34
	v_lshrrev_b32_e32 v0, 2, v3
	v_and_b32_e32 v4, 3, v33
	v_lshrrev_b32_e32 v7, 6, v3
	v_lshlrev_b32_e32 v3, 2, v6
	s_addc_u32 s27, s27, s35
	v_lshl_or_b32 v36, v7, 8, v3
	v_lshlrev_b32_e32 v3, 2, v4
	s_load_dwordx2 s[26:27], s[26:27], 0x0
	v_mov_b32_e32 v1, 0
	v_lshl_or_b32 v3, v0, 4, v3
	v_add_u32_e32 v37, 0x400, v3
	v_add_u32_e32 v39, 0x400, v2
	v_mad_u64_u32 v[2:3], s[34:35], v4, s8, v[0:1]
	v_mov_b32_e32 v0, v3
	v_mad_u64_u32 v[4:5], s[34:35], v4, s9, v[0:1]
	s_lshl_b64 s[10:11], s[10:11], 2
	v_mov_b32_e32 v3, v4
	v_mov_b32_e32 v0, s29
	v_add_co_u32_e32 v2, vcc, s28, v2
	v_addc_co_u32_e32 v3, vcc, v3, v0, vcc
	s_waitcnt lgkmcnt(0)
	s_add_u32 s10, s26, s10
	v_lshlrev_b64 v[2:3], 2, v[2:3]
	s_addc_u32 s11, s27, s11
	v_mov_b32_e32 v0, s11
	v_add_co_u32_e32 v10, vcc, s10, v2
	s_load_dwordx2 s[20:21], s[20:21], 0x0
	v_addc_co_u32_e32 v11, vcc, v0, v3, vcc
	v_pk_mov_b32 v[2:3], s[6:7], s[6:7] op_sel:[0,1]
	s_lshl_b64 s[10:11], s[24:25], 2
	v_mad_u64_u32 v[2:3], s[24:25], v7, s22, v[2:3]
	v_mov_b32_e32 v0, v3
	v_mad_u64_u32 v[4:5], s[24:25], v7, s23, v[0:1]
	s_lshl_b64 s[8:9], s[8:9], 4
	v_mov_b32_e32 v3, v4
	v_add_co_u32_e32 v2, vcc, v2, v6
	v_addc_co_u32_e32 v3, vcc, 0, v3, vcc
	s_waitcnt lgkmcnt(0)
	s_add_u32 s10, s20, s10
	v_lshlrev_b64 v[2:3], 2, v[2:3]
	s_addc_u32 s11, s21, s11
	v_mov_b32_e32 v0, s11
	v_add_co_u32_e32 v12, vcc, s10, v2
	s_lshl_b64 s[10:11], s[22:23], 4
	v_lshlrev_b32_e32 v38, 2, v33
	v_addc_co_u32_e32 v13, vcc, v0, v3, vcc
	s_mov_b64 s[20:21], 0
	v_mov_b32_e32 v40, s9
	v_mov_b32_e32 v41, s11
	v_pk_mov_b32 v[14:15], s[30:31], s[30:31] op_sel:[0,1]
	v_mov_b32_e32 v0, v1
	v_mov_b32_e32 v28, v1
	;; [unrolled: 1-line block ×15, first 2 shown]
.LBB183_2:                              ; =>This Inner Loop Header: Depth=1
	global_load_dword v16, v[12:13], off
	global_load_dword v17, v[10:11], off
	v_add_co_u32_e32 v10, vcc, s8, v10
	v_addc_co_u32_e32 v11, vcc, v11, v40, vcc
	s_add_u32 s20, s20, 4
	v_add_co_u32_e32 v12, vcc, s10, v12
	v_addc_co_u32_e32 v13, vcc, v13, v41, vcc
	s_addc_u32 s21, s21, 0
	v_cmp_lt_i64_e32 vcc, s[20:21], v[14:15]
	s_and_b64 vcc, exec, vcc
	s_waitcnt vmcnt(1)
	ds_write_b32 v36, v16
	s_waitcnt vmcnt(0)
	ds_write_b32 v37, v17
	s_waitcnt lgkmcnt(0)
	s_barrier
	ds_read2_b32 v[20:21], v38 offset1:16
	ds_read2_b32 v[16:17], v38 offset0:32 offset1:48
	ds_read2_b32 v[22:23], v38 offset0:64 offset1:80
	;; [unrolled: 1-line block ×4, first 2 shown]
	ds_read_b128 v[42:45], v39
	ds_read2_b32 v[50:51], v38 offset0:160 offset1:176
	ds_read2_b32 v[26:27], v38 offset0:192 offset1:208
	;; [unrolled: 1-line block ×3, first 2 shown]
	ds_read_b128 v[46:49], v39 offset:256
	s_waitcnt lgkmcnt(4)
	v_fmac_f32_e32 v34, v20, v42
	v_fmac_f32_e32 v32, v21, v42
	;; [unrolled: 1-line block ×3, first 2 shown]
	s_waitcnt lgkmcnt(3)
	v_mov_b32_e32 v56, v51
	s_waitcnt lgkmcnt(0)
	v_fmac_f32_e32 v30, v21, v46
	v_fmac_f32_e32 v29, v16, v46
	v_mov_b32_e32 v57, v53
	v_fmac_f32_e32 v34, v22, v43
	v_fmac_f32_e32 v32, v23, v43
	;; [unrolled: 1-line block ×5, first 2 shown]
	v_mov_b32_e32 v54, v17
	v_mov_b32_e32 v55, v19
	v_pk_mul_f32 v[66:67], v[56:57], v[44:45]
	v_fmac_f32_e32 v34, v24, v44
	v_fmac_f32_e32 v32, v25, v44
	;; [unrolled: 1-line block ×5, first 2 shown]
	v_mul_f32_e32 v58, v24, v48
	v_mul_f32_e32 v60, v20, v46
	;; [unrolled: 1-line block ×3, first 2 shown]
	v_pk_mul_f32 v[64:65], v[54:55], v[42:43]
	v_fmac_f32_e32 v34, v26, v45
	v_fmac_f32_e32 v32, v27, v45
	;; [unrolled: 1-line block ×3, first 2 shown]
	v_pk_mul_f32 v[68:69], v[54:55], v[46:47]
	v_pk_mul_f32 v[70:71], v[56:57], v[48:49]
	v_mov_b32_e32 v59, v66
	v_mul_f32_e32 v66, v26, v49
	v_fmac_f32_e32 v30, v27, v49
	v_fmac_f32_e32 v29, v52, v49
	ds_read_b128 v[42:45], v39 offset:512
	ds_read_b128 v[46:49], v39 offset:768
	v_mov_b32_e32 v61, v64
	v_mov_b32_e32 v75, v68
	;; [unrolled: 1-line block ×3, first 2 shown]
	s_waitcnt lgkmcnt(1)
	v_fmac_f32_e32 v28, v21, v42
	v_fmac_f32_e32 v0, v16, v42
	;; [unrolled: 1-line block ×4, first 2 shown]
	v_mul_f32_e32 v74, v20, v42
	v_mul_f32_e32 v76, v22, v43
	v_pk_mul_f32 v[42:43], v[54:55], v[42:43]
	s_waitcnt lgkmcnt(0)
	v_fmac_f32_e32 v1, v21, v46
	v_fmac_f32_e32 v1, v23, v47
	v_mov_b32_e32 v21, v42
	v_mov_b32_e32 v23, v43
	v_pk_mul_f32 v[42:43], v[54:55], v[46:47]
	v_fmac_f32_e32 v28, v25, v44
	v_fmac_f32_e32 v0, v50, v44
	v_mul_f32_e32 v20, v20, v46
	v_mul_f32_e32 v17, v16, v46
	v_mov_b32_e32 v16, v42
	v_mul_f32_e32 v72, v24, v44
	v_mul_f32_e32 v70, v26, v45
	v_fmac_f32_e32 v28, v27, v45
	v_fmac_f32_e32 v0, v52, v45
	v_pk_mul_f32 v[44:45], v[56:57], v[44:45]
	v_mov_b32_e32 v63, v65
	v_mov_b32_e32 v77, v69
	v_mul_f32_e32 v22, v22, v47
	v_mul_f32_e32 v19, v18, v47
	v_mov_b32_e32 v18, v43
	v_mul_f32_e32 v43, v50, v48
	v_pk_mul_f32 v[50:51], v[56:57], v[48:49]
	v_pk_add_f32 v[8:9], v[8:9], v[60:61]
	v_pk_add_f32 v[6:7], v[6:7], v[74:75]
	;; [unrolled: 1-line block ×4, first 2 shown]
	v_mov_b32_e32 v42, v50
	v_fmac_f32_e32 v1, v25, v48
	v_mul_f32_e32 v24, v24, v48
	v_mov_b32_e32 v25, v44
	v_pk_add_f32 v[8:9], v[8:9], v[62:63]
	v_pk_add_f32 v[6:7], v[6:7], v[76:77]
	;; [unrolled: 1-line block ×4, first 2 shown]
	v_mul_f32_e32 v47, v52, v49
	v_mov_b32_e32 v46, v51
	v_mul_f32_e32 v44, v26, v49
	v_pk_add_f32 v[8:9], v[8:9], v[58:59]
	v_pk_add_f32 v[6:7], v[6:7], v[72:73]
	;; [unrolled: 1-line block ×4, first 2 shown]
	v_fmac_f32_e32 v1, v27, v49
	v_pk_add_f32 v[8:9], v[8:9], v[66:67]
	v_pk_add_f32 v[6:7], v[6:7], v[70:71]
	;; [unrolled: 1-line block ×4, first 2 shown]
	s_barrier
	s_cbranch_vccnz .LBB183_2
	s_branch .LBB183_4
.LBB183_3:
	v_mov_b32_e32 v34, 0
	v_mov_b32_e32 v32, 0
	;; [unrolled: 1-line block ×16, first 2 shown]
.LBB183_4:
	s_load_dword s8, s[4:5], 0x18
	s_load_dword s9, s[4:5], 0x50
	v_mov_b32_e32 v10, s29
	v_add_co_u32_e32 v12, vcc, s28, v35
	s_lshl_b64 s[2:3], s[2:3], 2
	v_addc_co_u32_e32 v15, vcc, 0, v10, vcc
	s_waitcnt lgkmcnt(0)
	s_add_u32 s4, s18, s2
	v_mov_b32_e32 v11, s7
	v_add_co_u32_e32 v10, vcc, s6, v33
	s_addc_u32 s5, s19, s3
	v_cmp_neq_f32_e64 s[2:3], s9, 0
	v_addc_co_u32_e32 v11, vcc, 0, v11, vcc
	s_and_b64 vcc, exec, s[2:3]
	v_mul_lo_u32 v13, v15, s0
	v_mul_lo_u32 v14, v12, s1
	v_lshlrev_b64 v[10:11], 2, v[10:11]
	s_cbranch_vccnz .LBB183_8
; %bb.5:
	v_mad_u64_u32 v[16:17], s[2:3], v12, s0, 0
	v_add3_u32 v17, v17, v14, v13
	v_lshlrev_b64 v[16:17], 2, v[16:17]
	v_mov_b32_e32 v18, s5
	v_add_co_u32_e32 v16, vcc, s4, v16
	v_addc_co_u32_e32 v17, vcc, v18, v17, vcc
	v_add_co_u32_e32 v16, vcc, v16, v10
	v_mul_f32_e32 v18, s8, v34
	v_addc_co_u32_e32 v17, vcc, v17, v11, vcc
	global_store_dword v[16:17], v18, off
	v_mul_f32_e32 v18, s8, v32
	global_store_dword v[16:17], v18, off offset:64
	v_mul_f32_e32 v18, s8, v31
	global_store_dword v[16:17], v18, off offset:128
	v_mul_f32_e32 v18, s8, v9
	s_lshl_b64 s[2:3], s[0:1], 6
	global_store_dword v[16:17], v18, off offset:192
	v_mov_b32_e32 v19, s3
	v_add_co_u32_e32 v16, vcc, s2, v16
	v_mul_f32_e32 v18, s8, v8
	v_addc_co_u32_e32 v17, vcc, v17, v19, vcc
	global_store_dword v[16:17], v18, off
	v_mul_f32_e32 v18, s8, v30
	global_store_dword v[16:17], v18, off offset:64
	v_mul_f32_e32 v18, s8, v29
	global_store_dword v[16:17], v18, off offset:128
	v_mul_f32_e32 v18, s8, v7
	global_store_dword v[16:17], v18, off offset:192
	v_add_co_u32_e32 v16, vcc, s2, v16
	v_mul_f32_e32 v18, s8, v6
	v_addc_co_u32_e32 v17, vcc, v17, v19, vcc
	global_store_dword v[16:17], v18, off
	v_mul_f32_e32 v18, s8, v28
	global_store_dword v[16:17], v18, off offset:64
	v_mul_f32_e32 v18, s8, v0
	global_store_dword v[16:17], v18, off offset:128
	v_mul_f32_e32 v18, s8, v5
	global_store_dword v[16:17], v18, off offset:192
	;; [unrolled: 10-line block ×3, first 2 shown]
	s_cbranch_execnz .LBB183_7
.LBB183_6:
	s_lshl_b64 s[2:3], s[16:17], 2
	s_add_u32 s6, s12, s2
	s_addc_u32 s7, s13, s3
	v_mul_lo_u32 v15, v15, s14
	v_mul_lo_u32 v18, v12, s15
	v_mad_u64_u32 v[16:17], s[2:3], v12, s14, 0
	v_add3_u32 v17, v17, v18, v15
	v_lshlrev_b64 v[16:17], 2, v[16:17]
	v_mov_b32_e32 v15, s7
	v_add_co_u32_e32 v16, vcc, s6, v16
	v_addc_co_u32_e32 v15, vcc, v15, v17, vcc
	v_add_co_u32_e32 v16, vcc, v16, v10
	v_addc_co_u32_e32 v17, vcc, v15, v11, vcc
	global_load_dword v15, v[16:17], off
	v_mad_u64_u32 v[18:19], s[2:3], v12, s0, 0
	v_add3_u32 v19, v19, v14, v13
	v_lshlrev_b64 v[12:13], 2, v[18:19]
	v_mov_b32_e32 v20, s5
	v_add_co_u32_e32 v12, vcc, s4, v12
	v_addc_co_u32_e32 v13, vcc, v20, v13, vcc
	v_add_co_u32_e32 v10, vcc, v12, v10
	v_addc_co_u32_e32 v11, vcc, v13, v11, vcc
	s_lshl_b64 s[2:3], s[14:15], 6
	s_lshl_b64 s[0:1], s[0:1], 6
	s_waitcnt vmcnt(0)
	v_mul_f32_e32 v12, s9, v15
	v_fmac_f32_e32 v12, s8, v34
	global_store_dword v[10:11], v12, off
	global_load_dword v12, v[16:17], off offset:64
	v_mov_b32_e32 v15, s3
	s_waitcnt vmcnt(0)
	v_mul_f32_e32 v12, s9, v12
	v_fmac_f32_e32 v12, s8, v32
	global_store_dword v[10:11], v12, off offset:64
	global_load_dword v12, v[16:17], off offset:128
	s_waitcnt vmcnt(0)
	v_mul_f32_e32 v12, s9, v12
	v_fmac_f32_e32 v12, s8, v31
	global_store_dword v[10:11], v12, off offset:128
	global_load_dword v14, v[16:17], off offset:192
	v_add_co_u32_e32 v12, vcc, s2, v16
	v_addc_co_u32_e32 v13, vcc, v17, v15, vcc
	s_waitcnt vmcnt(0)
	v_mul_f32_e32 v14, s9, v14
	v_fmac_f32_e32 v14, s8, v9
	global_store_dword v[10:11], v14, off offset:192
	global_load_dword v9, v[12:13], off
	v_mov_b32_e32 v14, s1
	v_add_co_u32_e32 v10, vcc, s0, v10
	v_addc_co_u32_e32 v11, vcc, v11, v14, vcc
	s_waitcnt vmcnt(0)
	v_mul_f32_e32 v9, s9, v9
	v_fmac_f32_e32 v9, s8, v8
	global_store_dword v[10:11], v9, off
	global_load_dword v8, v[12:13], off offset:64
	s_waitcnt vmcnt(0)
	v_mul_f32_e32 v8, s9, v8
	v_fmac_f32_e32 v8, s8, v30
	global_store_dword v[10:11], v8, off offset:64
	global_load_dword v8, v[12:13], off offset:128
	s_waitcnt vmcnt(0)
	v_mul_f32_e32 v8, s9, v8
	v_fmac_f32_e32 v8, s8, v29
	global_store_dword v[10:11], v8, off offset:128
	global_load_dword v16, v[12:13], off offset:192
	v_add_co_u32_e32 v8, vcc, s2, v12
	v_addc_co_u32_e32 v9, vcc, v13, v15, vcc
	s_waitcnt vmcnt(0)
	v_mul_f32_e32 v12, s9, v16
	v_fmac_f32_e32 v12, s8, v7
	global_store_dword v[10:11], v12, off offset:192
	global_load_dword v7, v[8:9], off
	v_add_co_u32_e32 v10, vcc, s0, v10
	v_addc_co_u32_e32 v11, vcc, v11, v14, vcc
	s_waitcnt vmcnt(0)
	v_mul_f32_e32 v7, s9, v7
	v_fmac_f32_e32 v7, s8, v6
	global_store_dword v[10:11], v7, off
	global_load_dword v6, v[8:9], off offset:64
	s_waitcnt vmcnt(0)
	v_mul_f32_e32 v6, s9, v6
	v_fmac_f32_e32 v6, s8, v28
	global_store_dword v[10:11], v6, off offset:64
	global_load_dword v6, v[8:9], off offset:128
	s_waitcnt vmcnt(0)
	v_mul_f32_e32 v6, s9, v6
	v_fmac_f32_e32 v6, s8, v0
	global_store_dword v[10:11], v6, off offset:128
	global_load_dword v0, v[8:9], off offset:192
	v_add_co_u32_e32 v6, vcc, s2, v8
	v_addc_co_u32_e32 v7, vcc, v9, v15, vcc
	s_waitcnt vmcnt(0)
	v_mul_f32_e32 v0, s9, v0
	v_fmac_f32_e32 v0, s8, v5
	global_store_dword v[10:11], v0, off offset:192
	global_load_dword v0, v[6:7], off
	s_waitcnt vmcnt(0)
	v_mul_f32_e32 v0, s9, v0
	v_fmac_f32_e32 v0, s8, v4
	v_add_co_u32_e32 v4, vcc, s0, v10
	v_addc_co_u32_e32 v5, vcc, v11, v14, vcc
	global_store_dword v[4:5], v0, off
	global_load_dword v0, v[6:7], off offset:64
	s_waitcnt vmcnt(0)
	v_mul_f32_e32 v0, s9, v0
	v_fmac_f32_e32 v0, s8, v1
	global_store_dword v[4:5], v0, off offset:64
	global_load_dword v0, v[6:7], off offset:128
	s_waitcnt vmcnt(0)
	v_mul_f32_e32 v0, s9, v0
	v_fmac_f32_e32 v0, s8, v3
	global_store_dword v[4:5], v0, off offset:128
	;; [unrolled: 5-line block ×3, first 2 shown]
.LBB183_7:
	s_endpgm
.LBB183_8:
	s_branch .LBB183_6
	.section	.rodata,"a",@progbits
	.p2align	6, 0x0
	.amdhsa_kernel _ZN12_GLOBAL__N_127rocblas_gemm_batched_kernelIfLi16ELi16ELi64ELi64ELi4ELi64ELi4ELi4ELi64ELc78ELc67EKPKfS3_KPfEEvlllT_PT11_llS8_llS6_PT12_llPT13_lli
		.amdhsa_group_segment_fixed_size 2048
		.amdhsa_private_segment_fixed_size 0
		.amdhsa_kernarg_size 140
		.amdhsa_user_sgpr_count 6
		.amdhsa_user_sgpr_private_segment_buffer 1
		.amdhsa_user_sgpr_dispatch_ptr 0
		.amdhsa_user_sgpr_queue_ptr 0
		.amdhsa_user_sgpr_kernarg_segment_ptr 1
		.amdhsa_user_sgpr_dispatch_id 0
		.amdhsa_user_sgpr_flat_scratch_init 0
		.amdhsa_user_sgpr_kernarg_preload_length 0
		.amdhsa_user_sgpr_kernarg_preload_offset 0
		.amdhsa_user_sgpr_private_segment_size 0
		.amdhsa_uses_dynamic_stack 0
		.amdhsa_system_sgpr_private_segment_wavefront_offset 0
		.amdhsa_system_sgpr_workgroup_id_x 1
		.amdhsa_system_sgpr_workgroup_id_y 1
		.amdhsa_system_sgpr_workgroup_id_z 1
		.amdhsa_system_sgpr_workgroup_info 0
		.amdhsa_system_vgpr_workitem_id 1
		.amdhsa_next_free_vgpr 78
		.amdhsa_next_free_sgpr 36
		.amdhsa_accum_offset 80
		.amdhsa_reserve_vcc 1
		.amdhsa_reserve_flat_scratch 0
		.amdhsa_float_round_mode_32 0
		.amdhsa_float_round_mode_16_64 0
		.amdhsa_float_denorm_mode_32 3
		.amdhsa_float_denorm_mode_16_64 3
		.amdhsa_dx10_clamp 1
		.amdhsa_ieee_mode 1
		.amdhsa_fp16_overflow 0
		.amdhsa_tg_split 0
		.amdhsa_exception_fp_ieee_invalid_op 0
		.amdhsa_exception_fp_denorm_src 0
		.amdhsa_exception_fp_ieee_div_zero 0
		.amdhsa_exception_fp_ieee_overflow 0
		.amdhsa_exception_fp_ieee_underflow 0
		.amdhsa_exception_fp_ieee_inexact 0
		.amdhsa_exception_int_div_zero 0
	.end_amdhsa_kernel
	.section	.text._ZN12_GLOBAL__N_127rocblas_gemm_batched_kernelIfLi16ELi16ELi64ELi64ELi4ELi64ELi4ELi4ELi64ELc78ELc67EKPKfS3_KPfEEvlllT_PT11_llS8_llS6_PT12_llPT13_lli,"axG",@progbits,_ZN12_GLOBAL__N_127rocblas_gemm_batched_kernelIfLi16ELi16ELi64ELi64ELi4ELi64ELi4ELi4ELi64ELc78ELc67EKPKfS3_KPfEEvlllT_PT11_llS8_llS6_PT12_llPT13_lli,comdat
.Lfunc_end183:
	.size	_ZN12_GLOBAL__N_127rocblas_gemm_batched_kernelIfLi16ELi16ELi64ELi64ELi4ELi64ELi4ELi4ELi64ELc78ELc67EKPKfS3_KPfEEvlllT_PT11_llS8_llS6_PT12_llPT13_lli, .Lfunc_end183-_ZN12_GLOBAL__N_127rocblas_gemm_batched_kernelIfLi16ELi16ELi64ELi64ELi4ELi64ELi4ELi4ELi64ELc78ELc67EKPKfS3_KPfEEvlllT_PT11_llS8_llS6_PT12_llPT13_lli
                                        ; -- End function
	.section	.AMDGPU.csdata,"",@progbits
; Kernel info:
; codeLenInByte = 2208
; NumSgprs: 40
; NumVgprs: 78
; NumAgprs: 0
; TotalNumVgprs: 78
; ScratchSize: 0
; MemoryBound: 0
; FloatMode: 240
; IeeeMode: 1
; LDSByteSize: 2048 bytes/workgroup (compile time only)
; SGPRBlocks: 4
; VGPRBlocks: 9
; NumSGPRsForWavesPerEU: 40
; NumVGPRsForWavesPerEU: 78
; AccumOffset: 80
; Occupancy: 6
; WaveLimiterHint : 1
; COMPUTE_PGM_RSRC2:SCRATCH_EN: 0
; COMPUTE_PGM_RSRC2:USER_SGPR: 6
; COMPUTE_PGM_RSRC2:TRAP_HANDLER: 0
; COMPUTE_PGM_RSRC2:TGID_X_EN: 1
; COMPUTE_PGM_RSRC2:TGID_Y_EN: 1
; COMPUTE_PGM_RSRC2:TGID_Z_EN: 1
; COMPUTE_PGM_RSRC2:TIDIG_COMP_CNT: 1
; COMPUTE_PGM_RSRC3_GFX90A:ACCUM_OFFSET: 19
; COMPUTE_PGM_RSRC3_GFX90A:TG_SPLIT: 0
	.section	.text._ZN12_GLOBAL__N_127rocblas_gemm_batched_kernelIfLi16ELi16ELi64ELi64ELi4ELi64ELi4ELi4ELi64ELc84ELc67EKPKfS3_KPfEEvlllT_PT11_llS8_llS6_PT12_llPT13_lli,"axG",@progbits,_ZN12_GLOBAL__N_127rocblas_gemm_batched_kernelIfLi16ELi16ELi64ELi64ELi4ELi64ELi4ELi4ELi64ELc84ELc67EKPKfS3_KPfEEvlllT_PT11_llS8_llS6_PT12_llPT13_lli,comdat
	.globl	_ZN12_GLOBAL__N_127rocblas_gemm_batched_kernelIfLi16ELi16ELi64ELi64ELi4ELi64ELi4ELi4ELi64ELc84ELc67EKPKfS3_KPfEEvlllT_PT11_llS8_llS6_PT12_llPT13_lli ; -- Begin function _ZN12_GLOBAL__N_127rocblas_gemm_batched_kernelIfLi16ELi16ELi64ELi64ELi4ELi64ELi4ELi4ELi64ELc84ELc67EKPKfS3_KPfEEvlllT_PT11_llS8_llS6_PT12_llPT13_lli
	.p2align	8
	.type	_ZN12_GLOBAL__N_127rocblas_gemm_batched_kernelIfLi16ELi16ELi64ELi64ELi4ELi64ELi4ELi4ELi64ELc84ELc67EKPKfS3_KPfEEvlllT_PT11_llS8_llS6_PT12_llPT13_lli,@function
_ZN12_GLOBAL__N_127rocblas_gemm_batched_kernelIfLi16ELi16ELi64ELi64ELi4ELi64ELi4ELi4ELi64ELc84ELc67EKPKfS3_KPfEEvlllT_PT11_llS8_llS6_PT12_llPT13_lli: ; @_ZN12_GLOBAL__N_127rocblas_gemm_batched_kernelIfLi16ELi16ELi64ELi64ELi4ELi64ELi4ELi4ELi64ELc84ELc67EKPKfS3_KPfEEvlllT_PT11_llS8_llS6_PT12_llPT13_lli
; %bb.0:
	s_load_dwordx2 s[30:31], s[4:5], 0x10
	s_load_dwordx4 s[0:3], s[4:5], 0x78
	s_load_dwordx8 s[12:19], s[4:5], 0x58
	s_mov_b32 s9, 0
	s_lshl_b64 s[34:35], s[8:9], 3
	s_mov_b32 s10, s7
	v_bfe_u32 v39, v0, 10, 10
	s_waitcnt lgkmcnt(0)
	s_add_u32 s8, s12, s34
	s_addc_u32 s9, s13, s35
	s_load_dwordx2 s[12:13], s[8:9], 0x0
	s_add_u32 s8, s18, s34
	s_addc_u32 s9, s19, s35
	s_load_dwordx2 s[18:19], s[8:9], 0x0
	s_ashr_i32 s7, s6, 31
	s_ashr_i32 s11, s10, 31
	v_cmp_lt_i64_e64 s[8:9], s[30:31], 1
	v_and_b32_e32 v37, 0x3ff, v0
	s_lshl_b64 s[6:7], s[6:7], 6
	s_lshl_b64 s[28:29], s[10:11], 6
	s_and_b64 vcc, exec, s[8:9]
	s_cbranch_vccnz .LBB184_3
; %bb.1:
	s_load_dwordx8 s[20:27], s[4:5], 0x20
	s_load_dwordx4 s[8:11], s[4:5], 0x40
	v_lshlrev_b32_e32 v2, 4, v39
	v_add_u32_e32 v3, v2, v37
	v_and_b32_e32 v6, 63, v3
	s_waitcnt lgkmcnt(0)
	s_add_u32 s20, s20, s34
	s_addc_u32 s21, s21, s35
	s_add_u32 s26, s26, s34
	v_lshrrev_b32_e32 v0, 2, v3
	v_and_b32_e32 v4, 3, v37
	v_lshrrev_b32_e32 v7, 6, v3
	v_lshlrev_b32_e32 v3, 2, v6
	s_addc_u32 s27, s27, s35
	v_lshl_or_b32 v40, v7, 8, v3
	v_lshlrev_b32_e32 v3, 2, v4
	s_load_dwordx2 s[26:27], s[26:27], 0x0
	v_mov_b32_e32 v1, 0
	v_lshl_or_b32 v3, v0, 4, v3
	v_add_u32_e32 v41, 0x400, v3
	v_add_u32_e32 v43, 0x400, v2
	v_mad_u64_u32 v[2:3], s[34:35], v4, s8, v[0:1]
	v_mov_b32_e32 v0, v3
	v_mad_u64_u32 v[4:5], s[34:35], v4, s9, v[0:1]
	s_lshl_b64 s[10:11], s[10:11], 2
	v_mov_b32_e32 v3, v4
	v_mov_b32_e32 v0, s29
	v_add_co_u32_e32 v2, vcc, s28, v2
	v_addc_co_u32_e32 v3, vcc, v3, v0, vcc
	s_waitcnt lgkmcnt(0)
	s_add_u32 s10, s26, s10
	v_lshlrev_b64 v[2:3], 2, v[2:3]
	s_addc_u32 s11, s27, s11
	v_mov_b32_e32 v0, s11
	v_add_co_u32_e32 v10, vcc, s10, v2
	v_addc_co_u32_e32 v11, vcc, v0, v3, vcc
	v_mov_b32_e32 v0, s7
	v_add_co_u32_e32 v2, vcc, s6, v6
	v_addc_co_u32_e32 v0, vcc, 0, v0, vcc
	v_mul_lo_u32 v4, s23, v2
	v_mul_lo_u32 v0, s22, v0
	v_mad_u64_u32 v[2:3], s[10:11], s22, v2, 0
	v_add3_u32 v3, v3, v0, v4
	s_load_dwordx2 s[20:21], s[20:21], 0x0
	v_lshlrev_b64 v[2:3], 2, v[2:3]
	s_lshl_b64 s[10:11], s[24:25], 2
	v_mov_b32_e32 v0, s11
	v_add_co_u32_e32 v2, vcc, s10, v2
	v_addc_co_u32_e32 v0, vcc, v3, v0, vcc
	v_lshlrev_b32_e32 v3, 2, v7
	v_add_co_u32_e32 v2, vcc, v2, v3
	v_addc_co_u32_e32 v0, vcc, 0, v0, vcc
	s_lshl_b64 s[8:9], s[8:9], 4
	s_waitcnt lgkmcnt(0)
	v_mov_b32_e32 v3, s21
	v_add_co_u32_e32 v12, vcc, s20, v2
	v_lshlrev_b32_e32 v42, 2, v37
	v_addc_co_u32_e32 v13, vcc, v3, v0, vcc
	s_mov_b64 s[10:11], 0
	v_mov_b32_e32 v44, s9
	v_pk_mov_b32 v[14:15], s[30:31], s[30:31] op_sel:[0,1]
	v_mov_b32_e32 v0, v1
	v_mov_b32_e32 v32, v1
	;; [unrolled: 1-line block ×15, first 2 shown]
.LBB184_2:                              ; =>This Inner Loop Header: Depth=1
	global_load_dword v16, v[12:13], off
	global_load_dword v17, v[10:11], off
	v_add_co_u32_e32 v10, vcc, s8, v10
	v_addc_co_u32_e32 v11, vcc, v11, v44, vcc
	s_add_u32 s10, s10, 4
	v_add_co_u32_e32 v12, vcc, 16, v12
	v_addc_co_u32_e32 v13, vcc, 0, v13, vcc
	s_addc_u32 s11, s11, 0
	v_cmp_lt_i64_e32 vcc, s[10:11], v[14:15]
	s_and_b64 vcc, exec, vcc
	s_waitcnt vmcnt(1)
	ds_write_b32 v40, v16
	s_waitcnt vmcnt(0)
	ds_write_b32 v41, v17
	s_waitcnt lgkmcnt(0)
	s_barrier
	ds_read2_b32 v[20:21], v42 offset1:16
	ds_read2_b32 v[16:17], v42 offset0:32 offset1:48
	ds_read2_b32 v[22:23], v42 offset0:64 offset1:80
	;; [unrolled: 1-line block ×5, first 2 shown]
	ds_read_b128 v[46:49], v43
	ds_read2_b32 v[24:25], v42 offset0:192 offset1:208
	ds_read2_b32 v[30:31], v42 offset0:224 offset1:240
	ds_read_b128 v[50:53], v43 offset:256
	ds_read_b128 v[54:57], v43 offset:512
	s_waitcnt lgkmcnt(4)
	v_fmac_f32_e32 v38, v20, v46
	v_fmac_f32_e32 v36, v21, v46
	;; [unrolled: 1-line block ×6, first 2 shown]
	v_mov_b32_e32 v58, v17
	v_mov_b32_e32 v59, v19
	;; [unrolled: 1-line block ×3, first 2 shown]
	s_waitcnt lgkmcnt(2)
	v_mov_b32_e32 v61, v31
	v_fmac_f32_e32 v38, v26, v48
	v_fmac_f32_e32 v36, v27, v48
	;; [unrolled: 1-line block ×3, first 2 shown]
	v_pk_mul_f32 v[68:69], v[58:59], v[46:47]
	v_fmac_f32_e32 v38, v24, v49
	v_fmac_f32_e32 v36, v25, v49
	;; [unrolled: 1-line block ×3, first 2 shown]
	v_pk_mul_f32 v[70:71], v[60:61], v[48:49]
	ds_read_b128 v[46:49], v43 offset:768
	s_waitcnt lgkmcnt(2)
	v_fmac_f32_e32 v34, v21, v50
	v_fmac_f32_e32 v33, v16, v50
	;; [unrolled: 1-line block ×4, first 2 shown]
	s_waitcnt lgkmcnt(1)
	v_fmac_f32_e32 v32, v21, v54
	v_fmac_f32_e32 v0, v16, v54
	s_waitcnt lgkmcnt(0)
	v_fmac_f32_e32 v1, v21, v46
	v_mul_f32_e32 v64, v20, v50
	v_mul_f32_e32 v66, v22, v51
	v_pk_mul_f32 v[50:51], v[58:59], v[50:51]
	v_fmac_f32_e32 v34, v27, v52
	v_fmac_f32_e32 v33, v28, v52
	v_fmac_f32_e32 v32, v23, v55
	v_fmac_f32_e32 v0, v18, v55
	v_mul_f32_e32 v74, v20, v54
	v_mul_f32_e32 v76, v22, v55
	v_pk_mul_f32 v[54:55], v[58:59], v[54:55]
	v_mul_f32_e32 v20, v20, v46
	v_fmac_f32_e32 v1, v23, v47
	v_mul_f32_e32 v22, v22, v47
	v_mul_f32_e32 v17, v16, v46
	;; [unrolled: 1-line block ×3, first 2 shown]
	v_pk_mul_f32 v[46:47], v[58:59], v[46:47]
	v_mul_f32_e32 v62, v26, v52
	v_mov_b32_e32 v63, v70
	v_mul_f32_e32 v70, v24, v53
	v_fmac_f32_e32 v34, v25, v53
	v_fmac_f32_e32 v33, v30, v53
	v_pk_mul_f32 v[52:53], v[60:61], v[52:53]
	v_fmac_f32_e32 v32, v27, v56
	v_fmac_f32_e32 v0, v28, v56
	v_mov_b32_e32 v65, v68
	v_mov_b32_e32 v75, v50
	;; [unrolled: 1-line block ×4, first 2 shown]
	v_mul_f32_e32 v72, v26, v56
	v_mov_b32_e32 v73, v52
	v_mul_f32_e32 v52, v24, v57
	v_fmac_f32_e32 v32, v25, v57
	v_fmac_f32_e32 v0, v30, v57
	v_pk_mul_f32 v[56:57], v[60:61], v[56:57]
	v_mov_b32_e32 v67, v69
	v_mov_b32_e32 v77, v51
	;; [unrolled: 1-line block ×4, first 2 shown]
	v_pk_mul_f32 v[46:47], v[60:61], v[48:49]
	v_pk_add_f32 v[8:9], v[8:9], v[64:65]
	v_pk_add_f32 v[6:7], v[6:7], v[74:75]
	;; [unrolled: 1-line block ×4, first 2 shown]
	v_fmac_f32_e32 v1, v27, v48
	v_mul_f32_e32 v26, v26, v48
	v_mul_f32_e32 v29, v28, v48
	v_mov_b32_e32 v27, v56
	v_mov_b32_e32 v28, v46
	v_pk_add_f32 v[8:9], v[8:9], v[66:67]
	v_pk_add_f32 v[6:7], v[6:7], v[76:77]
	;; [unrolled: 1-line block ×4, first 2 shown]
	v_mul_f32_e32 v31, v30, v49
	v_mul_f32_e32 v56, v24, v49
	v_mov_b32_e32 v30, v47
	v_pk_add_f32 v[8:9], v[8:9], v[62:63]
	v_pk_add_f32 v[6:7], v[6:7], v[72:73]
	;; [unrolled: 1-line block ×4, first 2 shown]
	v_fmac_f32_e32 v1, v25, v49
	v_pk_add_f32 v[8:9], v[8:9], v[70:71]
	v_pk_add_f32 v[6:7], v[6:7], v[52:53]
	;; [unrolled: 1-line block ×4, first 2 shown]
	s_barrier
	s_cbranch_vccnz .LBB184_2
	s_branch .LBB184_4
.LBB184_3:
	v_mov_b32_e32 v38, 0
	v_mov_b32_e32 v36, 0
	;; [unrolled: 1-line block ×16, first 2 shown]
.LBB184_4:
	s_load_dword s8, s[4:5], 0x18
	s_load_dword s9, s[4:5], 0x50
	v_mov_b32_e32 v10, s29
	v_add_co_u32_e32 v12, vcc, s28, v39
	s_lshl_b64 s[2:3], s[2:3], 2
	v_addc_co_u32_e32 v15, vcc, 0, v10, vcc
	s_waitcnt lgkmcnt(0)
	s_add_u32 s4, s18, s2
	v_mov_b32_e32 v11, s7
	v_add_co_u32_e32 v10, vcc, s6, v37
	s_addc_u32 s5, s19, s3
	v_cmp_neq_f32_e64 s[2:3], s9, 0
	v_addc_co_u32_e32 v11, vcc, 0, v11, vcc
	s_and_b64 vcc, exec, s[2:3]
	v_mul_lo_u32 v13, v15, s0
	v_mul_lo_u32 v14, v12, s1
	v_lshlrev_b64 v[10:11], 2, v[10:11]
	s_cbranch_vccnz .LBB184_8
; %bb.5:
	v_mad_u64_u32 v[16:17], s[2:3], v12, s0, 0
	v_add3_u32 v17, v17, v14, v13
	v_lshlrev_b64 v[16:17], 2, v[16:17]
	v_mov_b32_e32 v18, s5
	v_add_co_u32_e32 v16, vcc, s4, v16
	v_addc_co_u32_e32 v17, vcc, v18, v17, vcc
	v_add_co_u32_e32 v16, vcc, v16, v10
	v_mul_f32_e32 v18, s8, v38
	v_addc_co_u32_e32 v17, vcc, v17, v11, vcc
	global_store_dword v[16:17], v18, off
	v_mul_f32_e32 v18, s8, v36
	global_store_dword v[16:17], v18, off offset:64
	v_mul_f32_e32 v18, s8, v35
	global_store_dword v[16:17], v18, off offset:128
	v_mul_f32_e32 v18, s8, v9
	s_lshl_b64 s[2:3], s[0:1], 6
	global_store_dword v[16:17], v18, off offset:192
	v_mov_b32_e32 v19, s3
	v_add_co_u32_e32 v16, vcc, s2, v16
	v_mul_f32_e32 v18, s8, v8
	v_addc_co_u32_e32 v17, vcc, v17, v19, vcc
	global_store_dword v[16:17], v18, off
	v_mul_f32_e32 v18, s8, v34
	global_store_dword v[16:17], v18, off offset:64
	v_mul_f32_e32 v18, s8, v33
	global_store_dword v[16:17], v18, off offset:128
	v_mul_f32_e32 v18, s8, v7
	global_store_dword v[16:17], v18, off offset:192
	v_add_co_u32_e32 v16, vcc, s2, v16
	v_mul_f32_e32 v18, s8, v6
	v_addc_co_u32_e32 v17, vcc, v17, v19, vcc
	global_store_dword v[16:17], v18, off
	v_mul_f32_e32 v18, s8, v32
	global_store_dword v[16:17], v18, off offset:64
	v_mul_f32_e32 v18, s8, v0
	global_store_dword v[16:17], v18, off offset:128
	v_mul_f32_e32 v18, s8, v5
	global_store_dword v[16:17], v18, off offset:192
	;; [unrolled: 10-line block ×3, first 2 shown]
	s_cbranch_execnz .LBB184_7
.LBB184_6:
	s_lshl_b64 s[2:3], s[16:17], 2
	s_add_u32 s6, s12, s2
	s_addc_u32 s7, s13, s3
	v_mul_lo_u32 v15, v15, s14
	v_mul_lo_u32 v18, v12, s15
	v_mad_u64_u32 v[16:17], s[2:3], v12, s14, 0
	v_add3_u32 v17, v17, v18, v15
	v_lshlrev_b64 v[16:17], 2, v[16:17]
	v_mov_b32_e32 v15, s7
	v_add_co_u32_e32 v16, vcc, s6, v16
	v_addc_co_u32_e32 v15, vcc, v15, v17, vcc
	v_add_co_u32_e32 v16, vcc, v16, v10
	v_addc_co_u32_e32 v17, vcc, v15, v11, vcc
	global_load_dword v15, v[16:17], off
	v_mad_u64_u32 v[18:19], s[2:3], v12, s0, 0
	v_add3_u32 v19, v19, v14, v13
	v_lshlrev_b64 v[12:13], 2, v[18:19]
	v_mov_b32_e32 v20, s5
	v_add_co_u32_e32 v12, vcc, s4, v12
	v_addc_co_u32_e32 v13, vcc, v20, v13, vcc
	v_add_co_u32_e32 v10, vcc, v12, v10
	v_addc_co_u32_e32 v11, vcc, v13, v11, vcc
	s_lshl_b64 s[2:3], s[14:15], 6
	s_lshl_b64 s[0:1], s[0:1], 6
	s_waitcnt vmcnt(0)
	v_mul_f32_e32 v12, s9, v15
	v_fmac_f32_e32 v12, s8, v38
	global_store_dword v[10:11], v12, off
	global_load_dword v12, v[16:17], off offset:64
	v_mov_b32_e32 v15, s3
	s_waitcnt vmcnt(0)
	v_mul_f32_e32 v12, s9, v12
	v_fmac_f32_e32 v12, s8, v36
	global_store_dword v[10:11], v12, off offset:64
	global_load_dword v12, v[16:17], off offset:128
	s_waitcnt vmcnt(0)
	v_mul_f32_e32 v12, s9, v12
	v_fmac_f32_e32 v12, s8, v35
	global_store_dword v[10:11], v12, off offset:128
	global_load_dword v14, v[16:17], off offset:192
	v_add_co_u32_e32 v12, vcc, s2, v16
	v_addc_co_u32_e32 v13, vcc, v17, v15, vcc
	s_waitcnt vmcnt(0)
	v_mul_f32_e32 v14, s9, v14
	v_fmac_f32_e32 v14, s8, v9
	global_store_dword v[10:11], v14, off offset:192
	global_load_dword v9, v[12:13], off
	v_mov_b32_e32 v14, s1
	v_add_co_u32_e32 v10, vcc, s0, v10
	v_addc_co_u32_e32 v11, vcc, v11, v14, vcc
	s_waitcnt vmcnt(0)
	v_mul_f32_e32 v9, s9, v9
	v_fmac_f32_e32 v9, s8, v8
	global_store_dword v[10:11], v9, off
	global_load_dword v8, v[12:13], off offset:64
	s_waitcnt vmcnt(0)
	v_mul_f32_e32 v8, s9, v8
	v_fmac_f32_e32 v8, s8, v34
	global_store_dword v[10:11], v8, off offset:64
	global_load_dword v8, v[12:13], off offset:128
	s_waitcnt vmcnt(0)
	v_mul_f32_e32 v8, s9, v8
	v_fmac_f32_e32 v8, s8, v33
	global_store_dword v[10:11], v8, off offset:128
	global_load_dword v16, v[12:13], off offset:192
	v_add_co_u32_e32 v8, vcc, s2, v12
	v_addc_co_u32_e32 v9, vcc, v13, v15, vcc
	s_waitcnt vmcnt(0)
	v_mul_f32_e32 v12, s9, v16
	v_fmac_f32_e32 v12, s8, v7
	global_store_dword v[10:11], v12, off offset:192
	global_load_dword v7, v[8:9], off
	v_add_co_u32_e32 v10, vcc, s0, v10
	v_addc_co_u32_e32 v11, vcc, v11, v14, vcc
	s_waitcnt vmcnt(0)
	v_mul_f32_e32 v7, s9, v7
	v_fmac_f32_e32 v7, s8, v6
	global_store_dword v[10:11], v7, off
	global_load_dword v6, v[8:9], off offset:64
	s_waitcnt vmcnt(0)
	v_mul_f32_e32 v6, s9, v6
	v_fmac_f32_e32 v6, s8, v32
	global_store_dword v[10:11], v6, off offset:64
	global_load_dword v6, v[8:9], off offset:128
	s_waitcnt vmcnt(0)
	v_mul_f32_e32 v6, s9, v6
	v_fmac_f32_e32 v6, s8, v0
	global_store_dword v[10:11], v6, off offset:128
	global_load_dword v0, v[8:9], off offset:192
	v_add_co_u32_e32 v6, vcc, s2, v8
	v_addc_co_u32_e32 v7, vcc, v9, v15, vcc
	s_waitcnt vmcnt(0)
	v_mul_f32_e32 v0, s9, v0
	v_fmac_f32_e32 v0, s8, v5
	global_store_dword v[10:11], v0, off offset:192
	global_load_dword v0, v[6:7], off
	s_waitcnt vmcnt(0)
	v_mul_f32_e32 v0, s9, v0
	v_fmac_f32_e32 v0, s8, v4
	v_add_co_u32_e32 v4, vcc, s0, v10
	v_addc_co_u32_e32 v5, vcc, v11, v14, vcc
	global_store_dword v[4:5], v0, off
	global_load_dword v0, v[6:7], off offset:64
	s_waitcnt vmcnt(0)
	v_mul_f32_e32 v0, s9, v0
	v_fmac_f32_e32 v0, s8, v1
	global_store_dword v[4:5], v0, off offset:64
	global_load_dword v0, v[6:7], off offset:128
	s_waitcnt vmcnt(0)
	v_mul_f32_e32 v0, s9, v0
	v_fmac_f32_e32 v0, s8, v3
	global_store_dword v[4:5], v0, off offset:128
	global_load_dword v0, v[6:7], off offset:192
	s_waitcnt vmcnt(0)
	v_mul_f32_e32 v0, s9, v0
	v_fmac_f32_e32 v0, s8, v2
	global_store_dword v[4:5], v0, off offset:192
.LBB184_7:
	s_endpgm
.LBB184_8:
	s_branch .LBB184_6
	.section	.rodata,"a",@progbits
	.p2align	6, 0x0
	.amdhsa_kernel _ZN12_GLOBAL__N_127rocblas_gemm_batched_kernelIfLi16ELi16ELi64ELi64ELi4ELi64ELi4ELi4ELi64ELc84ELc67EKPKfS3_KPfEEvlllT_PT11_llS8_llS6_PT12_llPT13_lli
		.amdhsa_group_segment_fixed_size 2048
		.amdhsa_private_segment_fixed_size 0
		.amdhsa_kernarg_size 140
		.amdhsa_user_sgpr_count 6
		.amdhsa_user_sgpr_private_segment_buffer 1
		.amdhsa_user_sgpr_dispatch_ptr 0
		.amdhsa_user_sgpr_queue_ptr 0
		.amdhsa_user_sgpr_kernarg_segment_ptr 1
		.amdhsa_user_sgpr_dispatch_id 0
		.amdhsa_user_sgpr_flat_scratch_init 0
		.amdhsa_user_sgpr_kernarg_preload_length 0
		.amdhsa_user_sgpr_kernarg_preload_offset 0
		.amdhsa_user_sgpr_private_segment_size 0
		.amdhsa_uses_dynamic_stack 0
		.amdhsa_system_sgpr_private_segment_wavefront_offset 0
		.amdhsa_system_sgpr_workgroup_id_x 1
		.amdhsa_system_sgpr_workgroup_id_y 1
		.amdhsa_system_sgpr_workgroup_id_z 1
		.amdhsa_system_sgpr_workgroup_info 0
		.amdhsa_system_vgpr_workitem_id 1
		.amdhsa_next_free_vgpr 78
		.amdhsa_next_free_sgpr 36
		.amdhsa_accum_offset 80
		.amdhsa_reserve_vcc 1
		.amdhsa_reserve_flat_scratch 0
		.amdhsa_float_round_mode_32 0
		.amdhsa_float_round_mode_16_64 0
		.amdhsa_float_denorm_mode_32 3
		.amdhsa_float_denorm_mode_16_64 3
		.amdhsa_dx10_clamp 1
		.amdhsa_ieee_mode 1
		.amdhsa_fp16_overflow 0
		.amdhsa_tg_split 0
		.amdhsa_exception_fp_ieee_invalid_op 0
		.amdhsa_exception_fp_denorm_src 0
		.amdhsa_exception_fp_ieee_div_zero 0
		.amdhsa_exception_fp_ieee_overflow 0
		.amdhsa_exception_fp_ieee_underflow 0
		.amdhsa_exception_fp_ieee_inexact 0
		.amdhsa_exception_int_div_zero 0
	.end_amdhsa_kernel
	.section	.text._ZN12_GLOBAL__N_127rocblas_gemm_batched_kernelIfLi16ELi16ELi64ELi64ELi4ELi64ELi4ELi4ELi64ELc84ELc67EKPKfS3_KPfEEvlllT_PT11_llS8_llS6_PT12_llPT13_lli,"axG",@progbits,_ZN12_GLOBAL__N_127rocblas_gemm_batched_kernelIfLi16ELi16ELi64ELi64ELi4ELi64ELi4ELi4ELi64ELc84ELc67EKPKfS3_KPfEEvlllT_PT11_llS8_llS6_PT12_llPT13_lli,comdat
.Lfunc_end184:
	.size	_ZN12_GLOBAL__N_127rocblas_gemm_batched_kernelIfLi16ELi16ELi64ELi64ELi4ELi64ELi4ELi4ELi64ELc84ELc67EKPKfS3_KPfEEvlllT_PT11_llS8_llS6_PT12_llPT13_lli, .Lfunc_end184-_ZN12_GLOBAL__N_127rocblas_gemm_batched_kernelIfLi16ELi16ELi64ELi64ELi4ELi64ELi4ELi4ELi64ELc84ELc67EKPKfS3_KPfEEvlllT_PT11_llS8_llS6_PT12_llPT13_lli
                                        ; -- End function
	.section	.AMDGPU.csdata,"",@progbits
; Kernel info:
; codeLenInByte = 2220
; NumSgprs: 40
; NumVgprs: 78
; NumAgprs: 0
; TotalNumVgprs: 78
; ScratchSize: 0
; MemoryBound: 0
; FloatMode: 240
; IeeeMode: 1
; LDSByteSize: 2048 bytes/workgroup (compile time only)
; SGPRBlocks: 4
; VGPRBlocks: 9
; NumSGPRsForWavesPerEU: 40
; NumVGPRsForWavesPerEU: 78
; AccumOffset: 80
; Occupancy: 6
; WaveLimiterHint : 1
; COMPUTE_PGM_RSRC2:SCRATCH_EN: 0
; COMPUTE_PGM_RSRC2:USER_SGPR: 6
; COMPUTE_PGM_RSRC2:TRAP_HANDLER: 0
; COMPUTE_PGM_RSRC2:TGID_X_EN: 1
; COMPUTE_PGM_RSRC2:TGID_Y_EN: 1
; COMPUTE_PGM_RSRC2:TGID_Z_EN: 1
; COMPUTE_PGM_RSRC2:TIDIG_COMP_CNT: 1
; COMPUTE_PGM_RSRC3_GFX90A:ACCUM_OFFSET: 19
; COMPUTE_PGM_RSRC3_GFX90A:TG_SPLIT: 0
	.section	.text._ZN12_GLOBAL__N_127rocblas_gemm_batched_kernelIfLi16ELi16ELi32ELi32ELi8ELi32ELi8ELi8ELi32ELc78ELc78EKPKfS3_KPfEEvlllT_PT11_llS8_llS6_PT12_llPT13_lli,"axG",@progbits,_ZN12_GLOBAL__N_127rocblas_gemm_batched_kernelIfLi16ELi16ELi32ELi32ELi8ELi32ELi8ELi8ELi32ELc78ELc78EKPKfS3_KPfEEvlllT_PT11_llS8_llS6_PT12_llPT13_lli,comdat
	.globl	_ZN12_GLOBAL__N_127rocblas_gemm_batched_kernelIfLi16ELi16ELi32ELi32ELi8ELi32ELi8ELi8ELi32ELc78ELc78EKPKfS3_KPfEEvlllT_PT11_llS8_llS6_PT12_llPT13_lli ; -- Begin function _ZN12_GLOBAL__N_127rocblas_gemm_batched_kernelIfLi16ELi16ELi32ELi32ELi8ELi32ELi8ELi8ELi32ELc78ELc78EKPKfS3_KPfEEvlllT_PT11_llS8_llS6_PT12_llPT13_lli
	.p2align	8
	.type	_ZN12_GLOBAL__N_127rocblas_gemm_batched_kernelIfLi16ELi16ELi32ELi32ELi8ELi32ELi8ELi8ELi32ELc78ELc78EKPKfS3_KPfEEvlllT_PT11_llS8_llS6_PT12_llPT13_lli,@function
_ZN12_GLOBAL__N_127rocblas_gemm_batched_kernelIfLi16ELi16ELi32ELi32ELi8ELi32ELi8ELi8ELi32ELc78ELc78EKPKfS3_KPfEEvlllT_PT11_llS8_llS6_PT12_llPT13_lli: ; @_ZN12_GLOBAL__N_127rocblas_gemm_batched_kernelIfLi16ELi16ELi32ELi32ELi8ELi32ELi8ELi8ELi32ELc78ELc78EKPKfS3_KPfEEvlllT_PT11_llS8_llS6_PT12_llPT13_lli
; %bb.0:
	s_load_dwordx2 s[30:31], s[4:5], 0x10
	s_load_dwordx4 s[0:3], s[4:5], 0x78
	s_load_dwordx8 s[12:19], s[4:5], 0x58
	s_mov_b32 s9, 0
	s_lshl_b64 s[34:35], s[8:9], 3
	s_mov_b32 s10, s7
	v_bfe_u32 v11, v0, 10, 10
	s_waitcnt lgkmcnt(0)
	s_add_u32 s8, s12, s34
	s_addc_u32 s9, s13, s35
	s_load_dwordx2 s[12:13], s[8:9], 0x0
	s_add_u32 s8, s18, s34
	s_addc_u32 s9, s19, s35
	s_load_dwordx2 s[18:19], s[8:9], 0x0
	s_ashr_i32 s7, s6, 31
	s_ashr_i32 s11, s10, 31
	v_cmp_lt_i64_e64 s[8:9], s[30:31], 1
	v_and_b32_e32 v10, 0x3ff, v0
	s_lshl_b64 s[6:7], s[6:7], 5
	s_lshl_b64 s[28:29], s[10:11], 5
	s_and_b64 vcc, exec, s[8:9]
	s_cbranch_vccnz .LBB185_3
; %bb.1:
	s_load_dwordx8 s[20:27], s[4:5], 0x20
	s_load_dwordx4 s[8:11], s[4:5], 0x40
	v_lshl_add_u32 v0, v11, 4, v10
	v_and_b32_e32 v4, 7, v10
	v_and_b32_e32 v6, 31, v0
	v_lshrrev_b32_e32 v1, 3, v0
	v_lshrrev_b32_e32 v7, 5, v0
	v_lshlrev_b32_e32 v0, 2, v6
	v_lshlrev_b32_e32 v4, 2, v4
	s_waitcnt lgkmcnt(0)
	s_add_u32 s20, s20, s34
	v_mov_b32_e32 v2, s29
	v_add_co_u32_e32 v3, vcc, s28, v1
	v_lshl_or_b32 v12, v7, 7, v0
	v_lshl_or_b32 v0, v1, 5, v4
	s_addc_u32 s21, s21, s35
	v_addc_co_u32_e32 v2, vcc, 0, v2, vcc
	v_add_u32_e32 v13, 0x400, v0
	v_mov_b32_e32 v0, 0x400
	s_add_u32 s26, s26, s34
	v_lshl_add_u32 v15, v11, 5, v0
	v_mul_lo_u32 v5, s9, v3
	v_mul_lo_u32 v2, s8, v2
	v_mad_u64_u32 v[0:1], s[8:9], s8, v3, 0
	s_addc_u32 s27, s27, s35
	v_add3_u32 v1, v1, v2, v5
	s_load_dwordx2 s[26:27], s[26:27], 0x0
	v_lshlrev_b64 v[0:1], 2, v[0:1]
	s_lshl_b64 s[8:9], s[10:11], 2
	v_mov_b32_e32 v2, s9
	v_add_co_u32_e32 v0, vcc, s8, v0
	v_addc_co_u32_e32 v1, vcc, v1, v2, vcc
	v_add_co_u32_e32 v0, vcc, v0, v4
	v_addc_co_u32_e32 v1, vcc, 0, v1, vcc
	s_waitcnt lgkmcnt(0)
	v_mov_b32_e32 v2, s27
	v_add_co_u32_e32 v4, vcc, s26, v0
	s_load_dwordx2 s[20:21], s[20:21], 0x0
	v_addc_co_u32_e32 v5, vcc, v2, v1, vcc
	v_pk_mov_b32 v[0:1], s[6:7], s[6:7] op_sel:[0,1]
	v_mad_u64_u32 v[0:1], s[10:11], v7, s22, v[0:1]
	v_mov_b32_e32 v2, v1
	v_mad_u64_u32 v[2:3], s[10:11], v7, s23, v[2:3]
	s_lshl_b64 s[8:9], s[24:25], 2
	v_mov_b32_e32 v1, v2
	v_add_co_u32_e32 v0, vcc, v0, v6
	v_addc_co_u32_e32 v1, vcc, 0, v1, vcc
	s_waitcnt lgkmcnt(0)
	s_add_u32 s8, s20, s8
	v_lshlrev_b64 v[0:1], 2, v[0:1]
	s_addc_u32 s9, s21, s9
	v_mov_b32_e32 v2, s9
	v_add_co_u32_e32 v6, vcc, s8, v0
	s_lshl_b64 s[8:9], s[22:23], 5
	v_mov_b32_e32 v0, 0
	v_lshlrev_b32_e32 v14, 2, v10
	v_addc_co_u32_e32 v7, vcc, v2, v1, vcc
	s_mov_b64 s[10:11], 0
	v_mov_b32_e32 v16, s9
	v_pk_mov_b32 v[8:9], s[30:31], s[30:31] op_sel:[0,1]
	v_mov_b32_e32 v1, v0
	v_mov_b32_e32 v2, v0
	;; [unrolled: 1-line block ×3, first 2 shown]
.LBB185_2:                              ; =>This Inner Loop Header: Depth=1
	global_load_dword v17, v[6:7], off
	global_load_dword v18, v[4:5], off
	v_add_co_u32_e32 v4, vcc, 32, v4
	v_addc_co_u32_e32 v5, vcc, 0, v5, vcc
	s_add_u32 s10, s10, 8
	v_add_co_u32_e32 v6, vcc, s8, v6
	v_addc_co_u32_e32 v7, vcc, v7, v16, vcc
	s_addc_u32 s11, s11, 0
	v_cmp_lt_i64_e32 vcc, s[10:11], v[8:9]
	s_and_b64 vcc, exec, vcc
	s_waitcnt vmcnt(1)
	ds_write_b32 v12, v17
	s_waitcnt vmcnt(0)
	ds_write_b32 v13, v18
	s_waitcnt lgkmcnt(0)
	s_barrier
	ds_read2_b32 v[34:35], v14 offset1:16
	ds_read2_b32 v[36:37], v14 offset0:32 offset1:48
	ds_read_b128 v[18:21], v15
	ds_read_b128 v[22:25], v15 offset:16
	ds_read2_b32 v[38:39], v14 offset0:64 offset1:80
	ds_read2_b32 v[40:41], v14 offset0:96 offset1:112
	;; [unrolled: 1-line block ×4, first 2 shown]
	ds_read_b128 v[26:29], v15 offset:512
	ds_read_b128 v[30:33], v15 offset:528
	ds_read2_b32 v[46:47], v14 offset0:192 offset1:208
	s_waitcnt lgkmcnt(10)
	v_mov_b32_e32 v50, v35
	s_waitcnt lgkmcnt(9)
	v_mov_b32_e32 v51, v37
	s_waitcnt lgkmcnt(8)
	v_mul_f32_e32 v49, v34, v18
	v_mul_f32_e32 v35, v36, v19
	s_waitcnt lgkmcnt(5)
	v_mov_b32_e32 v53, v41
	v_pk_mul_f32 v[18:19], v[50:51], v[18:19]
	ds_read2_b32 v[54:55], v14 offset0:224 offset1:240
	s_waitcnt lgkmcnt(3)
	v_mul_f32_e32 v41, v34, v26
	v_mul_f32_e32 v57, v36, v27
	v_pk_mul_f32 v[26:27], v[50:51], v[26:27]
	v_mov_b32_e32 v52, v39
	v_mul_f32_e32 v39, v40, v21
	v_mul_f32_e32 v61, v40, v29
	v_mov_b32_e32 v48, v18
	v_mov_b32_e32 v40, v26
	v_mul_f32_e32 v37, v38, v20
	v_pk_mul_f32 v[20:21], v[52:53], v[20:21]
	v_mul_f32_e32 v59, v38, v28
	v_pk_mul_f32 v[28:29], v[52:53], v[28:29]
	v_mov_b32_e32 v34, v19
	v_mov_b32_e32 v56, v27
	v_pk_add_f32 v[2:3], v[2:3], v[48:49]
	v_pk_add_f32 v[0:1], v[0:1], v[40:41]
	v_mov_b32_e32 v50, v43
	v_mov_b32_e32 v51, v45
	;; [unrolled: 1-line block ×4, first 2 shown]
	v_pk_add_f32 v[2:3], v[2:3], v[34:35]
	v_pk_add_f32 v[0:1], v[0:1], v[56:57]
	v_mul_f32_e32 v43, v42, v22
	v_mul_f32_e32 v45, v44, v23
	v_pk_mul_f32 v[22:23], v[50:51], v[22:23]
	s_waitcnt lgkmcnt(2)
	v_mul_f32_e32 v63, v42, v30
	v_mul_f32_e32 v65, v44, v31
	v_pk_mul_f32 v[30:31], v[50:51], v[30:31]
	v_mov_b32_e32 v38, v21
	v_mov_b32_e32 v60, v29
	v_pk_add_f32 v[2:3], v[2:3], v[36:37]
	v_pk_add_f32 v[0:1], v[0:1], v[58:59]
	s_waitcnt lgkmcnt(1)
	v_mov_b32_e32 v52, v47
	s_waitcnt lgkmcnt(0)
	v_mov_b32_e32 v53, v55
	v_mov_b32_e32 v42, v22
	;; [unrolled: 1-line block ×3, first 2 shown]
	v_pk_add_f32 v[2:3], v[2:3], v[38:39]
	v_pk_add_f32 v[0:1], v[0:1], v[60:61]
	v_mul_f32_e32 v47, v46, v24
	v_mul_f32_e32 v55, v54, v25
	v_pk_mul_f32 v[24:25], v[52:53], v[24:25]
	v_mul_f32_e32 v67, v46, v32
	v_mul_f32_e32 v69, v54, v33
	v_pk_mul_f32 v[32:33], v[52:53], v[32:33]
	v_mov_b32_e32 v44, v23
	v_mov_b32_e32 v64, v31
	v_pk_add_f32 v[2:3], v[2:3], v[42:43]
	v_pk_add_f32 v[0:1], v[0:1], v[62:63]
	v_mov_b32_e32 v46, v24
	v_mov_b32_e32 v66, v32
	v_pk_add_f32 v[2:3], v[2:3], v[44:45]
	v_pk_add_f32 v[0:1], v[0:1], v[64:65]
	;; [unrolled: 4-line block ×3, first 2 shown]
	v_pk_add_f32 v[2:3], v[2:3], v[54:55]
	v_pk_add_f32 v[0:1], v[0:1], v[68:69]
	s_barrier
	s_cbranch_vccnz .LBB185_2
	s_branch .LBB185_4
.LBB185_3:
	v_mov_b32_e32 v3, 0
	v_mov_b32_e32 v2, v3
	;; [unrolled: 1-line block ×4, first 2 shown]
.LBB185_4:
	s_load_dword s8, s[4:5], 0x18
	s_load_dword s9, s[4:5], 0x50
	v_mov_b32_e32 v4, s29
	v_add_co_u32_e32 v6, vcc, s28, v11
	s_lshl_b64 s[2:3], s[2:3], 2
	v_addc_co_u32_e32 v9, vcc, 0, v4, vcc
	s_waitcnt lgkmcnt(0)
	s_add_u32 s4, s18, s2
	v_mov_b32_e32 v5, s7
	v_add_co_u32_e32 v4, vcc, s6, v10
	s_addc_u32 s5, s19, s3
	v_cmp_neq_f32_e64 s[2:3], s9, 0
	v_addc_co_u32_e32 v5, vcc, 0, v5, vcc
	s_and_b64 vcc, exec, s[2:3]
	v_mul_lo_u32 v7, v9, s0
	v_mul_lo_u32 v8, v6, s1
	v_lshlrev_b64 v[4:5], 2, v[4:5]
	s_cbranch_vccnz .LBB185_8
; %bb.5:
	v_mad_u64_u32 v[10:11], s[2:3], v6, s0, 0
	v_add3_u32 v11, v11, v8, v7
	v_lshlrev_b64 v[10:11], 2, v[10:11]
	v_mov_b32_e32 v12, s5
	v_add_co_u32_e32 v10, vcc, s4, v10
	v_addc_co_u32_e32 v11, vcc, v12, v11, vcc
	v_add_co_u32_e32 v10, vcc, v10, v4
	v_mul_f32_e32 v12, s8, v3
	v_addc_co_u32_e32 v11, vcc, v11, v5, vcc
	global_store_dword v[10:11], v12, off
	v_mul_f32_e32 v12, s8, v2
	s_lshl_b64 s[2:3], s[0:1], 6
	global_store_dword v[10:11], v12, off offset:64
	v_mov_b32_e32 v13, s3
	v_add_co_u32_e32 v10, vcc, s2, v10
	v_mul_f32_e32 v12, s8, v1
	v_addc_co_u32_e32 v11, vcc, v11, v13, vcc
	global_store_dword v[10:11], v12, off
	v_mul_f32_e32 v12, s8, v0
	global_store_dword v[10:11], v12, off offset:64
	s_cbranch_execnz .LBB185_7
.LBB185_6:
	s_lshl_b64 s[2:3], s[16:17], 2
	s_add_u32 s6, s12, s2
	s_addc_u32 s7, s13, s3
	v_mul_lo_u32 v9, v9, s14
	v_mul_lo_u32 v12, v6, s15
	v_mad_u64_u32 v[10:11], s[2:3], v6, s14, 0
	v_add3_u32 v11, v11, v12, v9
	v_lshlrev_b64 v[10:11], 2, v[10:11]
	v_mov_b32_e32 v9, s7
	v_add_co_u32_e32 v10, vcc, s6, v10
	v_addc_co_u32_e32 v9, vcc, v9, v11, vcc
	v_add_co_u32_e32 v10, vcc, v10, v4
	v_addc_co_u32_e32 v11, vcc, v9, v5, vcc
	global_load_dword v9, v[10:11], off
	v_mad_u64_u32 v[12:13], s[2:3], v6, s0, 0
	v_add3_u32 v13, v13, v8, v7
	v_lshlrev_b64 v[6:7], 2, v[12:13]
	v_mov_b32_e32 v14, s5
	v_add_co_u32_e32 v6, vcc, s4, v6
	v_addc_co_u32_e32 v7, vcc, v14, v7, vcc
	v_add_co_u32_e32 v4, vcc, v6, v4
	v_addc_co_u32_e32 v5, vcc, v7, v5, vcc
	s_lshl_b64 s[2:3], s[14:15], 6
	v_mov_b32_e32 v7, s3
	s_lshl_b64 s[0:1], s[0:1], 6
	s_waitcnt vmcnt(0)
	v_mul_f32_e32 v6, s9, v9
	v_fmac_f32_e32 v6, s8, v3
	global_store_dword v[4:5], v6, off
	global_load_dword v3, v[10:11], off offset:64
	v_add_co_u32_e32 v6, vcc, s2, v10
	v_addc_co_u32_e32 v7, vcc, v11, v7, vcc
	s_waitcnt vmcnt(0)
	v_mul_f32_e32 v3, s9, v3
	v_fmac_f32_e32 v3, s8, v2
	global_store_dword v[4:5], v3, off offset:64
	global_load_dword v2, v[6:7], off
	v_mov_b32_e32 v3, s1
	s_waitcnt vmcnt(0)
	v_mul_f32_e32 v8, s9, v2
	v_add_co_u32_e32 v2, vcc, s0, v4
	v_fmac_f32_e32 v8, s8, v1
	v_addc_co_u32_e32 v3, vcc, v5, v3, vcc
	global_store_dword v[2:3], v8, off
	global_load_dword v1, v[6:7], off offset:64
	s_waitcnt vmcnt(0)
	v_mul_f32_e32 v1, s9, v1
	v_fmac_f32_e32 v1, s8, v0
	global_store_dword v[2:3], v1, off offset:64
.LBB185_7:
	s_endpgm
.LBB185_8:
	s_branch .LBB185_6
	.section	.rodata,"a",@progbits
	.p2align	6, 0x0
	.amdhsa_kernel _ZN12_GLOBAL__N_127rocblas_gemm_batched_kernelIfLi16ELi16ELi32ELi32ELi8ELi32ELi8ELi8ELi32ELc78ELc78EKPKfS3_KPfEEvlllT_PT11_llS8_llS6_PT12_llPT13_lli
		.amdhsa_group_segment_fixed_size 2048
		.amdhsa_private_segment_fixed_size 0
		.amdhsa_kernarg_size 140
		.amdhsa_user_sgpr_count 6
		.amdhsa_user_sgpr_private_segment_buffer 1
		.amdhsa_user_sgpr_dispatch_ptr 0
		.amdhsa_user_sgpr_queue_ptr 0
		.amdhsa_user_sgpr_kernarg_segment_ptr 1
		.amdhsa_user_sgpr_dispatch_id 0
		.amdhsa_user_sgpr_flat_scratch_init 0
		.amdhsa_user_sgpr_kernarg_preload_length 0
		.amdhsa_user_sgpr_kernarg_preload_offset 0
		.amdhsa_user_sgpr_private_segment_size 0
		.amdhsa_uses_dynamic_stack 0
		.amdhsa_system_sgpr_private_segment_wavefront_offset 0
		.amdhsa_system_sgpr_workgroup_id_x 1
		.amdhsa_system_sgpr_workgroup_id_y 1
		.amdhsa_system_sgpr_workgroup_id_z 1
		.amdhsa_system_sgpr_workgroup_info 0
		.amdhsa_system_vgpr_workitem_id 1
		.amdhsa_next_free_vgpr 70
		.amdhsa_next_free_sgpr 36
		.amdhsa_accum_offset 72
		.amdhsa_reserve_vcc 1
		.amdhsa_reserve_flat_scratch 0
		.amdhsa_float_round_mode_32 0
		.amdhsa_float_round_mode_16_64 0
		.amdhsa_float_denorm_mode_32 3
		.amdhsa_float_denorm_mode_16_64 3
		.amdhsa_dx10_clamp 1
		.amdhsa_ieee_mode 1
		.amdhsa_fp16_overflow 0
		.amdhsa_tg_split 0
		.amdhsa_exception_fp_ieee_invalid_op 0
		.amdhsa_exception_fp_denorm_src 0
		.amdhsa_exception_fp_ieee_div_zero 0
		.amdhsa_exception_fp_ieee_overflow 0
		.amdhsa_exception_fp_ieee_underflow 0
		.amdhsa_exception_fp_ieee_inexact 0
		.amdhsa_exception_int_div_zero 0
	.end_amdhsa_kernel
	.section	.text._ZN12_GLOBAL__N_127rocblas_gemm_batched_kernelIfLi16ELi16ELi32ELi32ELi8ELi32ELi8ELi8ELi32ELc78ELc78EKPKfS3_KPfEEvlllT_PT11_llS8_llS6_PT12_llPT13_lli,"axG",@progbits,_ZN12_GLOBAL__N_127rocblas_gemm_batched_kernelIfLi16ELi16ELi32ELi32ELi8ELi32ELi8ELi8ELi32ELc78ELc78EKPKfS3_KPfEEvlllT_PT11_llS8_llS6_PT12_llPT13_lli,comdat
.Lfunc_end185:
	.size	_ZN12_GLOBAL__N_127rocblas_gemm_batched_kernelIfLi16ELi16ELi32ELi32ELi8ELi32ELi8ELi8ELi32ELc78ELc78EKPKfS3_KPfEEvlllT_PT11_llS8_llS6_PT12_llPT13_lli, .Lfunc_end185-_ZN12_GLOBAL__N_127rocblas_gemm_batched_kernelIfLi16ELi16ELi32ELi32ELi8ELi32ELi8ELi8ELi32ELc78ELc78EKPKfS3_KPfEEvlllT_PT11_llS8_llS6_PT12_llPT13_lli
                                        ; -- End function
	.section	.AMDGPU.csdata,"",@progbits
; Kernel info:
; codeLenInByte = 1516
; NumSgprs: 40
; NumVgprs: 70
; NumAgprs: 0
; TotalNumVgprs: 70
; ScratchSize: 0
; MemoryBound: 0
; FloatMode: 240
; IeeeMode: 1
; LDSByteSize: 2048 bytes/workgroup (compile time only)
; SGPRBlocks: 4
; VGPRBlocks: 8
; NumSGPRsForWavesPerEU: 40
; NumVGPRsForWavesPerEU: 70
; AccumOffset: 72
; Occupancy: 7
; WaveLimiterHint : 1
; COMPUTE_PGM_RSRC2:SCRATCH_EN: 0
; COMPUTE_PGM_RSRC2:USER_SGPR: 6
; COMPUTE_PGM_RSRC2:TRAP_HANDLER: 0
; COMPUTE_PGM_RSRC2:TGID_X_EN: 1
; COMPUTE_PGM_RSRC2:TGID_Y_EN: 1
; COMPUTE_PGM_RSRC2:TGID_Z_EN: 1
; COMPUTE_PGM_RSRC2:TIDIG_COMP_CNT: 1
; COMPUTE_PGM_RSRC3_GFX90A:ACCUM_OFFSET: 17
; COMPUTE_PGM_RSRC3_GFX90A:TG_SPLIT: 0
	.section	.text._ZN12_GLOBAL__N_127rocblas_gemm_batched_kernelIfLi16ELi16ELi32ELi32ELi8ELi32ELi8ELi8ELi32ELc84ELc78EKPKfS3_KPfEEvlllT_PT11_llS8_llS6_PT12_llPT13_lli,"axG",@progbits,_ZN12_GLOBAL__N_127rocblas_gemm_batched_kernelIfLi16ELi16ELi32ELi32ELi8ELi32ELi8ELi8ELi32ELc84ELc78EKPKfS3_KPfEEvlllT_PT11_llS8_llS6_PT12_llPT13_lli,comdat
	.globl	_ZN12_GLOBAL__N_127rocblas_gemm_batched_kernelIfLi16ELi16ELi32ELi32ELi8ELi32ELi8ELi8ELi32ELc84ELc78EKPKfS3_KPfEEvlllT_PT11_llS8_llS6_PT12_llPT13_lli ; -- Begin function _ZN12_GLOBAL__N_127rocblas_gemm_batched_kernelIfLi16ELi16ELi32ELi32ELi8ELi32ELi8ELi8ELi32ELc84ELc78EKPKfS3_KPfEEvlllT_PT11_llS8_llS6_PT12_llPT13_lli
	.p2align	8
	.type	_ZN12_GLOBAL__N_127rocblas_gemm_batched_kernelIfLi16ELi16ELi32ELi32ELi8ELi32ELi8ELi8ELi32ELc84ELc78EKPKfS3_KPfEEvlllT_PT11_llS8_llS6_PT12_llPT13_lli,@function
_ZN12_GLOBAL__N_127rocblas_gemm_batched_kernelIfLi16ELi16ELi32ELi32ELi8ELi32ELi8ELi8ELi32ELc84ELc78EKPKfS3_KPfEEvlllT_PT11_llS8_llS6_PT12_llPT13_lli: ; @_ZN12_GLOBAL__N_127rocblas_gemm_batched_kernelIfLi16ELi16ELi32ELi32ELi8ELi32ELi8ELi8ELi32ELc84ELc78EKPKfS3_KPfEEvlllT_PT11_llS8_llS6_PT12_llPT13_lli
; %bb.0:
	s_load_dwordx2 s[30:31], s[4:5], 0x10
	s_load_dwordx4 s[0:3], s[4:5], 0x78
	s_load_dwordx8 s[12:19], s[4:5], 0x58
	s_mov_b32 s9, 0
	s_lshl_b64 s[34:35], s[8:9], 3
	s_mov_b32 s10, s7
	v_bfe_u32 v11, v0, 10, 10
	s_waitcnt lgkmcnt(0)
	s_add_u32 s8, s12, s34
	s_addc_u32 s9, s13, s35
	s_load_dwordx2 s[12:13], s[8:9], 0x0
	s_add_u32 s8, s18, s34
	s_addc_u32 s9, s19, s35
	s_load_dwordx2 s[18:19], s[8:9], 0x0
	s_ashr_i32 s7, s6, 31
	s_ashr_i32 s11, s10, 31
	v_cmp_lt_i64_e64 s[8:9], s[30:31], 1
	v_and_b32_e32 v10, 0x3ff, v0
	s_lshl_b64 s[6:7], s[6:7], 5
	s_lshl_b64 s[28:29], s[10:11], 5
	s_and_b64 vcc, exec, s[8:9]
	s_cbranch_vccnz .LBB186_3
; %bb.1:
	s_load_dwordx8 s[20:27], s[4:5], 0x20
	s_load_dwordx4 s[8:11], s[4:5], 0x40
	v_lshl_add_u32 v0, v11, 4, v10
	v_and_b32_e32 v4, 7, v10
	v_and_b32_e32 v6, 31, v0
	v_lshrrev_b32_e32 v1, 3, v0
	v_lshrrev_b32_e32 v7, 5, v0
	v_lshlrev_b32_e32 v0, 2, v6
	v_lshlrev_b32_e32 v4, 2, v4
	s_waitcnt lgkmcnt(0)
	s_add_u32 s20, s20, s34
	v_mov_b32_e32 v2, s29
	v_add_co_u32_e32 v3, vcc, s28, v1
	v_lshl_or_b32 v12, v7, 7, v0
	v_lshl_or_b32 v0, v1, 5, v4
	s_addc_u32 s21, s21, s35
	v_addc_co_u32_e32 v2, vcc, 0, v2, vcc
	v_add_u32_e32 v13, 0x400, v0
	v_mov_b32_e32 v0, 0x400
	s_add_u32 s26, s26, s34
	v_lshl_add_u32 v15, v11, 5, v0
	v_mul_lo_u32 v5, s9, v3
	v_mul_lo_u32 v2, s8, v2
	v_mad_u64_u32 v[0:1], s[8:9], s8, v3, 0
	s_addc_u32 s27, s27, s35
	v_add3_u32 v1, v1, v2, v5
	s_load_dwordx2 s[26:27], s[26:27], 0x0
	v_lshlrev_b64 v[0:1], 2, v[0:1]
	s_lshl_b64 s[8:9], s[10:11], 2
	v_mov_b32_e32 v2, s9
	v_add_co_u32_e32 v0, vcc, s8, v0
	v_addc_co_u32_e32 v1, vcc, v1, v2, vcc
	v_add_co_u32_e32 v0, vcc, v0, v4
	v_addc_co_u32_e32 v1, vcc, 0, v1, vcc
	s_waitcnt lgkmcnt(0)
	v_mov_b32_e32 v2, s27
	v_add_co_u32_e32 v4, vcc, s26, v0
	v_addc_co_u32_e32 v5, vcc, v2, v1, vcc
	v_mov_b32_e32 v0, s7
	v_add_co_u32_e32 v1, vcc, s6, v6
	v_addc_co_u32_e32 v0, vcc, 0, v0, vcc
	v_mul_lo_u32 v2, s23, v1
	v_mul_lo_u32 v3, s22, v0
	v_mad_u64_u32 v[0:1], s[8:9], s22, v1, 0
	v_add3_u32 v1, v1, v3, v2
	s_load_dwordx2 s[20:21], s[20:21], 0x0
	v_lshlrev_b64 v[0:1], 2, v[0:1]
	s_lshl_b64 s[8:9], s[24:25], 2
	v_mov_b32_e32 v2, s9
	v_add_co_u32_e32 v0, vcc, s8, v0
	v_addc_co_u32_e32 v1, vcc, v1, v2, vcc
	v_lshlrev_b32_e32 v2, 2, v7
	v_add_co_u32_e32 v0, vcc, v0, v2
	v_addc_co_u32_e32 v1, vcc, 0, v1, vcc
	s_waitcnt lgkmcnt(0)
	v_mov_b32_e32 v2, s21
	v_add_co_u32_e32 v6, vcc, s20, v0
	v_mov_b32_e32 v0, 0
	v_lshlrev_b32_e32 v14, 2, v10
	v_addc_co_u32_e32 v7, vcc, v2, v1, vcc
	s_mov_b64 s[8:9], 0
	v_pk_mov_b32 v[8:9], s[30:31], s[30:31] op_sel:[0,1]
	v_mov_b32_e32 v1, v0
	v_mov_b32_e32 v2, v0
	v_mov_b32_e32 v3, v0
.LBB186_2:                              ; =>This Inner Loop Header: Depth=1
	global_load_dword v16, v[6:7], off
	global_load_dword v17, v[4:5], off
	v_add_co_u32_e32 v4, vcc, 32, v4
	v_addc_co_u32_e32 v5, vcc, 0, v5, vcc
	s_add_u32 s8, s8, 8
	v_add_co_u32_e32 v6, vcc, 32, v6
	v_addc_co_u32_e32 v7, vcc, 0, v7, vcc
	s_addc_u32 s9, s9, 0
	v_cmp_lt_i64_e32 vcc, s[8:9], v[8:9]
	s_and_b64 vcc, exec, vcc
	s_waitcnt vmcnt(1)
	ds_write_b32 v12, v16
	s_waitcnt vmcnt(0)
	ds_write_b32 v13, v17
	s_waitcnt lgkmcnt(0)
	s_barrier
	ds_read2_b32 v[32:33], v14 offset1:16
	ds_read2_b32 v[34:35], v14 offset0:32 offset1:48
	ds_read_b128 v[16:19], v15
	ds_read_b128 v[20:23], v15 offset:16
	ds_read2_b32 v[36:37], v14 offset0:64 offset1:80
	ds_read2_b32 v[38:39], v14 offset0:96 offset1:112
	;; [unrolled: 1-line block ×4, first 2 shown]
	ds_read_b128 v[24:27], v15 offset:512
	ds_read_b128 v[28:31], v15 offset:528
	ds_read2_b32 v[44:45], v14 offset0:192 offset1:208
	ds_read2_b32 v[46:47], v14 offset0:224 offset1:240
	s_waitcnt lgkmcnt(11)
	v_mov_b32_e32 v50, v33
	s_waitcnt lgkmcnt(10)
	v_mov_b32_e32 v51, v35
	s_waitcnt lgkmcnt(9)
	v_mul_f32_e32 v49, v32, v16
	v_mul_f32_e32 v33, v34, v17
	s_waitcnt lgkmcnt(3)
	v_mul_f32_e32 v35, v32, v24
	v_mul_f32_e32 v53, v34, v25
	v_pk_mul_f32 v[16:17], v[50:51], v[16:17]
	v_pk_mul_f32 v[24:25], v[50:51], v[24:25]
	v_mov_b32_e32 v56, v37
	v_mov_b32_e32 v57, v39
	;; [unrolled: 1-line block ×4, first 2 shown]
	v_mul_f32_e32 v55, v36, v18
	v_mul_f32_e32 v37, v38, v19
	v_mul_f32_e32 v39, v36, v26
	v_mul_f32_e32 v59, v38, v27
	v_pk_mul_f32 v[18:19], v[56:57], v[18:19]
	v_pk_mul_f32 v[26:27], v[56:57], v[26:27]
	v_mov_b32_e32 v32, v17
	v_mov_b32_e32 v52, v25
	v_pk_add_f32 v[2:3], v[2:3], v[48:49]
	v_pk_add_f32 v[0:1], v[0:1], v[34:35]
	v_mov_b32_e32 v50, v41
	v_mov_b32_e32 v51, v43
	;; [unrolled: 1-line block ×4, first 2 shown]
	v_pk_add_f32 v[2:3], v[2:3], v[32:33]
	v_pk_add_f32 v[0:1], v[0:1], v[52:53]
	v_mul_f32_e32 v61, v40, v20
	s_waitcnt lgkmcnt(0)
	v_mov_b32_e32 v57, v47
	v_mul_f32_e32 v41, v42, v21
	v_pk_mul_f32 v[20:21], v[50:51], v[20:21]
	v_mul_f32_e32 v47, v40, v28
	v_mul_f32_e32 v63, v42, v29
	v_pk_mul_f32 v[28:29], v[50:51], v[28:29]
	v_mov_b32_e32 v36, v19
	v_mov_b32_e32 v58, v27
	v_pk_add_f32 v[2:3], v[2:3], v[54:55]
	v_pk_add_f32 v[0:1], v[0:1], v[38:39]
	v_mov_b32_e32 v56, v45
	v_mul_f32_e32 v45, v46, v23
	v_mul_f32_e32 v67, v46, v31
	v_mov_b32_e32 v60, v20
	v_mov_b32_e32 v46, v28
	v_pk_add_f32 v[2:3], v[2:3], v[36:37]
	v_pk_add_f32 v[0:1], v[0:1], v[58:59]
	v_mul_f32_e32 v43, v44, v22
	v_pk_mul_f32 v[22:23], v[56:57], v[22:23]
	v_mul_f32_e32 v65, v44, v30
	v_pk_mul_f32 v[30:31], v[56:57], v[30:31]
	v_mov_b32_e32 v40, v21
	v_mov_b32_e32 v62, v29
	v_pk_add_f32 v[2:3], v[2:3], v[60:61]
	v_pk_add_f32 v[0:1], v[0:1], v[46:47]
	v_mov_b32_e32 v42, v22
	v_mov_b32_e32 v64, v30
	v_pk_add_f32 v[2:3], v[2:3], v[40:41]
	v_pk_add_f32 v[0:1], v[0:1], v[62:63]
	v_mov_b32_e32 v44, v23
	v_mov_b32_e32 v66, v31
	v_pk_add_f32 v[2:3], v[2:3], v[42:43]
	v_pk_add_f32 v[0:1], v[0:1], v[64:65]
	v_pk_add_f32 v[2:3], v[2:3], v[44:45]
	v_pk_add_f32 v[0:1], v[0:1], v[66:67]
	s_barrier
	s_cbranch_vccnz .LBB186_2
	s_branch .LBB186_4
.LBB186_3:
	v_mov_b32_e32 v3, 0
	v_mov_b32_e32 v2, v3
	v_mov_b32_e32 v1, v3
	v_mov_b32_e32 v0, v3
.LBB186_4:
	s_load_dword s8, s[4:5], 0x18
	s_load_dword s9, s[4:5], 0x50
	v_mov_b32_e32 v4, s29
	v_add_co_u32_e32 v6, vcc, s28, v11
	s_lshl_b64 s[2:3], s[2:3], 2
	v_addc_co_u32_e32 v9, vcc, 0, v4, vcc
	s_waitcnt lgkmcnt(0)
	s_add_u32 s4, s18, s2
	v_mov_b32_e32 v5, s7
	v_add_co_u32_e32 v4, vcc, s6, v10
	s_addc_u32 s5, s19, s3
	v_cmp_neq_f32_e64 s[2:3], s9, 0
	v_addc_co_u32_e32 v5, vcc, 0, v5, vcc
	s_and_b64 vcc, exec, s[2:3]
	v_mul_lo_u32 v7, v9, s0
	v_mul_lo_u32 v8, v6, s1
	v_lshlrev_b64 v[4:5], 2, v[4:5]
	s_cbranch_vccnz .LBB186_8
; %bb.5:
	v_mad_u64_u32 v[10:11], s[2:3], v6, s0, 0
	v_add3_u32 v11, v11, v8, v7
	v_lshlrev_b64 v[10:11], 2, v[10:11]
	v_mov_b32_e32 v12, s5
	v_add_co_u32_e32 v10, vcc, s4, v10
	v_addc_co_u32_e32 v11, vcc, v12, v11, vcc
	v_add_co_u32_e32 v10, vcc, v10, v4
	v_mul_f32_e32 v12, s8, v3
	v_addc_co_u32_e32 v11, vcc, v11, v5, vcc
	global_store_dword v[10:11], v12, off
	v_mul_f32_e32 v12, s8, v2
	s_lshl_b64 s[2:3], s[0:1], 6
	global_store_dword v[10:11], v12, off offset:64
	v_mov_b32_e32 v13, s3
	v_add_co_u32_e32 v10, vcc, s2, v10
	v_mul_f32_e32 v12, s8, v1
	v_addc_co_u32_e32 v11, vcc, v11, v13, vcc
	global_store_dword v[10:11], v12, off
	v_mul_f32_e32 v12, s8, v0
	global_store_dword v[10:11], v12, off offset:64
	s_cbranch_execnz .LBB186_7
.LBB186_6:
	s_lshl_b64 s[2:3], s[16:17], 2
	s_add_u32 s6, s12, s2
	s_addc_u32 s7, s13, s3
	v_mul_lo_u32 v9, v9, s14
	v_mul_lo_u32 v12, v6, s15
	v_mad_u64_u32 v[10:11], s[2:3], v6, s14, 0
	v_add3_u32 v11, v11, v12, v9
	v_lshlrev_b64 v[10:11], 2, v[10:11]
	v_mov_b32_e32 v9, s7
	v_add_co_u32_e32 v10, vcc, s6, v10
	v_addc_co_u32_e32 v9, vcc, v9, v11, vcc
	v_add_co_u32_e32 v10, vcc, v10, v4
	v_addc_co_u32_e32 v11, vcc, v9, v5, vcc
	global_load_dword v9, v[10:11], off
	v_mad_u64_u32 v[12:13], s[2:3], v6, s0, 0
	v_add3_u32 v13, v13, v8, v7
	v_lshlrev_b64 v[6:7], 2, v[12:13]
	v_mov_b32_e32 v14, s5
	v_add_co_u32_e32 v6, vcc, s4, v6
	v_addc_co_u32_e32 v7, vcc, v14, v7, vcc
	v_add_co_u32_e32 v4, vcc, v6, v4
	v_addc_co_u32_e32 v5, vcc, v7, v5, vcc
	s_lshl_b64 s[2:3], s[14:15], 6
	v_mov_b32_e32 v7, s3
	s_lshl_b64 s[0:1], s[0:1], 6
	s_waitcnt vmcnt(0)
	v_mul_f32_e32 v6, s9, v9
	v_fmac_f32_e32 v6, s8, v3
	global_store_dword v[4:5], v6, off
	global_load_dword v3, v[10:11], off offset:64
	v_add_co_u32_e32 v6, vcc, s2, v10
	v_addc_co_u32_e32 v7, vcc, v11, v7, vcc
	s_waitcnt vmcnt(0)
	v_mul_f32_e32 v3, s9, v3
	v_fmac_f32_e32 v3, s8, v2
	global_store_dword v[4:5], v3, off offset:64
	global_load_dword v2, v[6:7], off
	v_mov_b32_e32 v3, s1
	s_waitcnt vmcnt(0)
	v_mul_f32_e32 v8, s9, v2
	v_add_co_u32_e32 v2, vcc, s0, v4
	v_fmac_f32_e32 v8, s8, v1
	v_addc_co_u32_e32 v3, vcc, v5, v3, vcc
	global_store_dword v[2:3], v8, off
	global_load_dword v1, v[6:7], off offset:64
	s_waitcnt vmcnt(0)
	v_mul_f32_e32 v1, s9, v1
	v_fmac_f32_e32 v1, s8, v0
	global_store_dword v[2:3], v1, off offset:64
.LBB186_7:
	s_endpgm
.LBB186_8:
	s_branch .LBB186_6
	.section	.rodata,"a",@progbits
	.p2align	6, 0x0
	.amdhsa_kernel _ZN12_GLOBAL__N_127rocblas_gemm_batched_kernelIfLi16ELi16ELi32ELi32ELi8ELi32ELi8ELi8ELi32ELc84ELc78EKPKfS3_KPfEEvlllT_PT11_llS8_llS6_PT12_llPT13_lli
		.amdhsa_group_segment_fixed_size 2048
		.amdhsa_private_segment_fixed_size 0
		.amdhsa_kernarg_size 140
		.amdhsa_user_sgpr_count 6
		.amdhsa_user_sgpr_private_segment_buffer 1
		.amdhsa_user_sgpr_dispatch_ptr 0
		.amdhsa_user_sgpr_queue_ptr 0
		.amdhsa_user_sgpr_kernarg_segment_ptr 1
		.amdhsa_user_sgpr_dispatch_id 0
		.amdhsa_user_sgpr_flat_scratch_init 0
		.amdhsa_user_sgpr_kernarg_preload_length 0
		.amdhsa_user_sgpr_kernarg_preload_offset 0
		.amdhsa_user_sgpr_private_segment_size 0
		.amdhsa_uses_dynamic_stack 0
		.amdhsa_system_sgpr_private_segment_wavefront_offset 0
		.amdhsa_system_sgpr_workgroup_id_x 1
		.amdhsa_system_sgpr_workgroup_id_y 1
		.amdhsa_system_sgpr_workgroup_id_z 1
		.amdhsa_system_sgpr_workgroup_info 0
		.amdhsa_system_vgpr_workitem_id 1
		.amdhsa_next_free_vgpr 68
		.amdhsa_next_free_sgpr 36
		.amdhsa_accum_offset 68
		.amdhsa_reserve_vcc 1
		.amdhsa_reserve_flat_scratch 0
		.amdhsa_float_round_mode_32 0
		.amdhsa_float_round_mode_16_64 0
		.amdhsa_float_denorm_mode_32 3
		.amdhsa_float_denorm_mode_16_64 3
		.amdhsa_dx10_clamp 1
		.amdhsa_ieee_mode 1
		.amdhsa_fp16_overflow 0
		.amdhsa_tg_split 0
		.amdhsa_exception_fp_ieee_invalid_op 0
		.amdhsa_exception_fp_denorm_src 0
		.amdhsa_exception_fp_ieee_div_zero 0
		.amdhsa_exception_fp_ieee_overflow 0
		.amdhsa_exception_fp_ieee_underflow 0
		.amdhsa_exception_fp_ieee_inexact 0
		.amdhsa_exception_int_div_zero 0
	.end_amdhsa_kernel
	.section	.text._ZN12_GLOBAL__N_127rocblas_gemm_batched_kernelIfLi16ELi16ELi32ELi32ELi8ELi32ELi8ELi8ELi32ELc84ELc78EKPKfS3_KPfEEvlllT_PT11_llS8_llS6_PT12_llPT13_lli,"axG",@progbits,_ZN12_GLOBAL__N_127rocblas_gemm_batched_kernelIfLi16ELi16ELi32ELi32ELi8ELi32ELi8ELi8ELi32ELc84ELc78EKPKfS3_KPfEEvlllT_PT11_llS8_llS6_PT12_llPT13_lli,comdat
.Lfunc_end186:
	.size	_ZN12_GLOBAL__N_127rocblas_gemm_batched_kernelIfLi16ELi16ELi32ELi32ELi8ELi32ELi8ELi8ELi32ELc84ELc78EKPKfS3_KPfEEvlllT_PT11_llS8_llS6_PT12_llPT13_lli, .Lfunc_end186-_ZN12_GLOBAL__N_127rocblas_gemm_batched_kernelIfLi16ELi16ELi32ELi32ELi8ELi32ELi8ELi8ELi32ELc84ELc78EKPKfS3_KPfEEvlllT_PT11_llS8_llS6_PT12_llPT13_lli
                                        ; -- End function
	.section	.AMDGPU.csdata,"",@progbits
; Kernel info:
; codeLenInByte = 1516
; NumSgprs: 40
; NumVgprs: 68
; NumAgprs: 0
; TotalNumVgprs: 68
; ScratchSize: 0
; MemoryBound: 0
; FloatMode: 240
; IeeeMode: 1
; LDSByteSize: 2048 bytes/workgroup (compile time only)
; SGPRBlocks: 4
; VGPRBlocks: 8
; NumSGPRsForWavesPerEU: 40
; NumVGPRsForWavesPerEU: 68
; AccumOffset: 68
; Occupancy: 7
; WaveLimiterHint : 1
; COMPUTE_PGM_RSRC2:SCRATCH_EN: 0
; COMPUTE_PGM_RSRC2:USER_SGPR: 6
; COMPUTE_PGM_RSRC2:TRAP_HANDLER: 0
; COMPUTE_PGM_RSRC2:TGID_X_EN: 1
; COMPUTE_PGM_RSRC2:TGID_Y_EN: 1
; COMPUTE_PGM_RSRC2:TGID_Z_EN: 1
; COMPUTE_PGM_RSRC2:TIDIG_COMP_CNT: 1
; COMPUTE_PGM_RSRC3_GFX90A:ACCUM_OFFSET: 16
; COMPUTE_PGM_RSRC3_GFX90A:TG_SPLIT: 0
	.section	.text._ZN12_GLOBAL__N_127rocblas_gemm_batched_kernelIfLi16ELi16ELi32ELi32ELi8ELi32ELi8ELi8ELi32ELc78ELc84EKPKfS3_KPfEEvlllT_PT11_llS8_llS6_PT12_llPT13_lli,"axG",@progbits,_ZN12_GLOBAL__N_127rocblas_gemm_batched_kernelIfLi16ELi16ELi32ELi32ELi8ELi32ELi8ELi8ELi32ELc78ELc84EKPKfS3_KPfEEvlllT_PT11_llS8_llS6_PT12_llPT13_lli,comdat
	.globl	_ZN12_GLOBAL__N_127rocblas_gemm_batched_kernelIfLi16ELi16ELi32ELi32ELi8ELi32ELi8ELi8ELi32ELc78ELc84EKPKfS3_KPfEEvlllT_PT11_llS8_llS6_PT12_llPT13_lli ; -- Begin function _ZN12_GLOBAL__N_127rocblas_gemm_batched_kernelIfLi16ELi16ELi32ELi32ELi8ELi32ELi8ELi8ELi32ELc78ELc84EKPKfS3_KPfEEvlllT_PT11_llS8_llS6_PT12_llPT13_lli
	.p2align	8
	.type	_ZN12_GLOBAL__N_127rocblas_gemm_batched_kernelIfLi16ELi16ELi32ELi32ELi8ELi32ELi8ELi8ELi32ELc78ELc84EKPKfS3_KPfEEvlllT_PT11_llS8_llS6_PT12_llPT13_lli,@function
_ZN12_GLOBAL__N_127rocblas_gemm_batched_kernelIfLi16ELi16ELi32ELi32ELi8ELi32ELi8ELi8ELi32ELc78ELc84EKPKfS3_KPfEEvlllT_PT11_llS8_llS6_PT12_llPT13_lli: ; @_ZN12_GLOBAL__N_127rocblas_gemm_batched_kernelIfLi16ELi16ELi32ELi32ELi8ELi32ELi8ELi8ELi32ELc78ELc84EKPKfS3_KPfEEvlllT_PT11_llS8_llS6_PT12_llPT13_lli
; %bb.0:
	s_load_dwordx2 s[30:31], s[4:5], 0x10
	s_load_dwordx4 s[0:3], s[4:5], 0x78
	s_load_dwordx8 s[12:19], s[4:5], 0x58
	s_mov_b32 s9, 0
	s_lshl_b64 s[34:35], s[8:9], 3
	s_mov_b32 s10, s7
	v_bfe_u32 v11, v0, 10, 10
	s_waitcnt lgkmcnt(0)
	s_add_u32 s8, s12, s34
	s_addc_u32 s9, s13, s35
	s_load_dwordx2 s[12:13], s[8:9], 0x0
	s_add_u32 s8, s18, s34
	s_addc_u32 s9, s19, s35
	s_load_dwordx2 s[18:19], s[8:9], 0x0
	s_ashr_i32 s7, s6, 31
	s_ashr_i32 s11, s10, 31
	v_cmp_lt_i64_e64 s[8:9], s[30:31], 1
	v_and_b32_e32 v10, 0x3ff, v0
	s_lshl_b64 s[6:7], s[6:7], 5
	s_lshl_b64 s[28:29], s[10:11], 5
	s_and_b64 vcc, exec, s[8:9]
	s_cbranch_vccnz .LBB187_3
; %bb.1:
	s_load_dwordx8 s[20:27], s[4:5], 0x20
	s_load_dwordx4 s[8:11], s[4:5], 0x40
	v_lshl_add_u32 v2, v11, 4, v10
	v_and_b32_e32 v8, 31, v2
	v_lshrrev_b32_e32 v0, 3, v2
	s_waitcnt lgkmcnt(0)
	s_add_u32 s20, s20, s34
	s_addc_u32 s21, s21, s35
	v_and_b32_e32 v4, 7, v10
	v_lshrrev_b32_e32 v6, 5, v2
	v_lshlrev_b32_e32 v2, 2, v8
	s_add_u32 s26, s26, s34
	v_lshl_or_b32 v12, v6, 7, v2
	v_lshlrev_b32_e32 v2, 2, v4
	s_addc_u32 s27, s27, s35
	v_lshl_or_b32 v2, v0, 5, v2
	s_load_dwordx2 s[26:27], s[26:27], 0x0
	v_mov_b32_e32 v1, 0
	v_add_u32_e32 v13, 0x400, v2
	v_mov_b32_e32 v2, 0x400
	v_lshl_add_u32 v15, v11, 5, v2
	v_mad_u64_u32 v[2:3], s[34:35], v4, s8, v[0:1]
	v_mov_b32_e32 v0, v3
	v_mad_u64_u32 v[4:5], s[34:35], v4, s9, v[0:1]
	s_lshl_b64 s[10:11], s[10:11], 2
	v_mov_b32_e32 v3, v4
	v_mov_b32_e32 v0, s29
	v_add_co_u32_e32 v2, vcc, s28, v2
	v_addc_co_u32_e32 v3, vcc, v3, v0, vcc
	s_waitcnt lgkmcnt(0)
	s_add_u32 s10, s26, s10
	v_lshlrev_b64 v[2:3], 2, v[2:3]
	s_addc_u32 s11, s27, s11
	v_mov_b32_e32 v0, s11
	v_add_co_u32_e32 v4, vcc, s10, v2
	s_load_dwordx2 s[20:21], s[20:21], 0x0
	v_addc_co_u32_e32 v5, vcc, v0, v3, vcc
	v_pk_mov_b32 v[2:3], s[6:7], s[6:7] op_sel:[0,1]
	s_lshl_b64 s[10:11], s[24:25], 2
	v_mad_u64_u32 v[2:3], s[24:25], v6, s22, v[2:3]
	v_mov_b32_e32 v0, v3
	v_mad_u64_u32 v[6:7], s[24:25], v6, s23, v[0:1]
	s_lshl_b64 s[8:9], s[8:9], 5
	v_mov_b32_e32 v3, v6
	v_add_co_u32_e32 v2, vcc, v2, v8
	v_addc_co_u32_e32 v3, vcc, 0, v3, vcc
	s_waitcnt lgkmcnt(0)
	s_add_u32 s10, s20, s10
	v_lshlrev_b64 v[2:3], 2, v[2:3]
	s_addc_u32 s11, s21, s11
	v_mov_b32_e32 v0, s11
	v_add_co_u32_e32 v6, vcc, s10, v2
	s_lshl_b64 s[10:11], s[22:23], 5
	v_lshlrev_b32_e32 v14, 2, v10
	v_addc_co_u32_e32 v7, vcc, v0, v3, vcc
	s_mov_b64 s[20:21], 0
	v_mov_b32_e32 v16, s9
	v_mov_b32_e32 v17, s11
	v_pk_mov_b32 v[8:9], s[30:31], s[30:31] op_sel:[0,1]
	v_mov_b32_e32 v0, v1
	v_mov_b32_e32 v2, v1
	;; [unrolled: 1-line block ×3, first 2 shown]
.LBB187_2:                              ; =>This Inner Loop Header: Depth=1
	global_load_dword v18, v[6:7], off
	global_load_dword v19, v[4:5], off
	v_add_co_u32_e32 v4, vcc, s8, v4
	v_addc_co_u32_e32 v5, vcc, v5, v16, vcc
	s_add_u32 s20, s20, 8
	v_add_co_u32_e32 v6, vcc, s10, v6
	v_addc_co_u32_e32 v7, vcc, v7, v17, vcc
	s_addc_u32 s21, s21, 0
	v_cmp_lt_i64_e32 vcc, s[20:21], v[8:9]
	s_and_b64 vcc, exec, vcc
	s_waitcnt vmcnt(1)
	ds_write_b32 v12, v18
	s_waitcnt vmcnt(0)
	ds_write_b32 v13, v19
	s_waitcnt lgkmcnt(0)
	s_barrier
	ds_read2_b32 v[34:35], v14 offset1:16
	ds_read2_b32 v[36:37], v14 offset0:32 offset1:48
	ds_read_b128 v[18:21], v15
	ds_read_b128 v[22:25], v15 offset:16
	ds_read2_b32 v[38:39], v14 offset0:64 offset1:80
	ds_read2_b32 v[40:41], v14 offset0:96 offset1:112
	;; [unrolled: 1-line block ×4, first 2 shown]
	ds_read_b128 v[26:29], v15 offset:512
	ds_read_b128 v[30:33], v15 offset:528
	ds_read2_b32 v[46:47], v14 offset0:192 offset1:208
	s_waitcnt lgkmcnt(10)
	v_mov_b32_e32 v50, v35
	s_waitcnt lgkmcnt(9)
	v_mov_b32_e32 v51, v37
	s_waitcnt lgkmcnt(8)
	v_mul_f32_e32 v49, v34, v18
	v_mul_f32_e32 v35, v36, v19
	s_waitcnt lgkmcnt(5)
	v_mov_b32_e32 v53, v41
	v_pk_mul_f32 v[18:19], v[50:51], v[18:19]
	ds_read2_b32 v[54:55], v14 offset0:224 offset1:240
	s_waitcnt lgkmcnt(3)
	v_mul_f32_e32 v41, v34, v26
	v_mul_f32_e32 v57, v36, v27
	v_pk_mul_f32 v[26:27], v[50:51], v[26:27]
	v_mov_b32_e32 v52, v39
	v_mul_f32_e32 v39, v40, v21
	v_mul_f32_e32 v61, v40, v29
	v_mov_b32_e32 v48, v18
	v_mov_b32_e32 v40, v26
	v_mul_f32_e32 v37, v38, v20
	v_pk_mul_f32 v[20:21], v[52:53], v[20:21]
	v_mul_f32_e32 v59, v38, v28
	v_pk_mul_f32 v[28:29], v[52:53], v[28:29]
	v_mov_b32_e32 v34, v19
	v_mov_b32_e32 v56, v27
	v_pk_add_f32 v[2:3], v[2:3], v[48:49]
	v_pk_add_f32 v[0:1], v[0:1], v[40:41]
	v_mov_b32_e32 v50, v43
	v_mov_b32_e32 v51, v45
	;; [unrolled: 1-line block ×4, first 2 shown]
	v_pk_add_f32 v[2:3], v[2:3], v[34:35]
	v_pk_add_f32 v[0:1], v[0:1], v[56:57]
	v_mul_f32_e32 v43, v42, v22
	v_mul_f32_e32 v45, v44, v23
	v_pk_mul_f32 v[22:23], v[50:51], v[22:23]
	s_waitcnt lgkmcnt(2)
	v_mul_f32_e32 v63, v42, v30
	v_mul_f32_e32 v65, v44, v31
	v_pk_mul_f32 v[30:31], v[50:51], v[30:31]
	v_mov_b32_e32 v38, v21
	v_mov_b32_e32 v60, v29
	v_pk_add_f32 v[2:3], v[2:3], v[36:37]
	v_pk_add_f32 v[0:1], v[0:1], v[58:59]
	s_waitcnt lgkmcnt(1)
	v_mov_b32_e32 v52, v47
	s_waitcnt lgkmcnt(0)
	v_mov_b32_e32 v53, v55
	v_mov_b32_e32 v42, v22
	;; [unrolled: 1-line block ×3, first 2 shown]
	v_pk_add_f32 v[2:3], v[2:3], v[38:39]
	v_pk_add_f32 v[0:1], v[0:1], v[60:61]
	v_mul_f32_e32 v47, v46, v24
	v_mul_f32_e32 v55, v54, v25
	v_pk_mul_f32 v[24:25], v[52:53], v[24:25]
	v_mul_f32_e32 v67, v46, v32
	v_mul_f32_e32 v69, v54, v33
	v_pk_mul_f32 v[32:33], v[52:53], v[32:33]
	v_mov_b32_e32 v44, v23
	v_mov_b32_e32 v64, v31
	v_pk_add_f32 v[2:3], v[2:3], v[42:43]
	v_pk_add_f32 v[0:1], v[0:1], v[62:63]
	v_mov_b32_e32 v46, v24
	v_mov_b32_e32 v66, v32
	v_pk_add_f32 v[2:3], v[2:3], v[44:45]
	v_pk_add_f32 v[0:1], v[0:1], v[64:65]
	;; [unrolled: 4-line block ×3, first 2 shown]
	v_pk_add_f32 v[2:3], v[2:3], v[54:55]
	v_pk_add_f32 v[0:1], v[0:1], v[68:69]
	s_barrier
	s_cbranch_vccnz .LBB187_2
	s_branch .LBB187_4
.LBB187_3:
	v_mov_b32_e32 v3, 0
	v_mov_b32_e32 v2, v3
	;; [unrolled: 1-line block ×4, first 2 shown]
.LBB187_4:
	s_load_dword s8, s[4:5], 0x18
	s_load_dword s9, s[4:5], 0x50
	v_mov_b32_e32 v4, s29
	v_add_co_u32_e32 v6, vcc, s28, v11
	s_lshl_b64 s[2:3], s[2:3], 2
	v_addc_co_u32_e32 v9, vcc, 0, v4, vcc
	s_waitcnt lgkmcnt(0)
	s_add_u32 s4, s18, s2
	v_mov_b32_e32 v5, s7
	v_add_co_u32_e32 v4, vcc, s6, v10
	s_addc_u32 s5, s19, s3
	v_cmp_neq_f32_e64 s[2:3], s9, 0
	v_addc_co_u32_e32 v5, vcc, 0, v5, vcc
	s_and_b64 vcc, exec, s[2:3]
	v_mul_lo_u32 v7, v9, s0
	v_mul_lo_u32 v8, v6, s1
	v_lshlrev_b64 v[4:5], 2, v[4:5]
	s_cbranch_vccnz .LBB187_8
; %bb.5:
	v_mad_u64_u32 v[10:11], s[2:3], v6, s0, 0
	v_add3_u32 v11, v11, v8, v7
	v_lshlrev_b64 v[10:11], 2, v[10:11]
	v_mov_b32_e32 v12, s5
	v_add_co_u32_e32 v10, vcc, s4, v10
	v_addc_co_u32_e32 v11, vcc, v12, v11, vcc
	v_add_co_u32_e32 v10, vcc, v10, v4
	v_mul_f32_e32 v12, s8, v3
	v_addc_co_u32_e32 v11, vcc, v11, v5, vcc
	global_store_dword v[10:11], v12, off
	v_mul_f32_e32 v12, s8, v2
	s_lshl_b64 s[2:3], s[0:1], 6
	global_store_dword v[10:11], v12, off offset:64
	v_mov_b32_e32 v13, s3
	v_add_co_u32_e32 v10, vcc, s2, v10
	v_mul_f32_e32 v12, s8, v1
	v_addc_co_u32_e32 v11, vcc, v11, v13, vcc
	global_store_dword v[10:11], v12, off
	v_mul_f32_e32 v12, s8, v0
	global_store_dword v[10:11], v12, off offset:64
	s_cbranch_execnz .LBB187_7
.LBB187_6:
	s_lshl_b64 s[2:3], s[16:17], 2
	s_add_u32 s6, s12, s2
	s_addc_u32 s7, s13, s3
	v_mul_lo_u32 v9, v9, s14
	v_mul_lo_u32 v12, v6, s15
	v_mad_u64_u32 v[10:11], s[2:3], v6, s14, 0
	v_add3_u32 v11, v11, v12, v9
	v_lshlrev_b64 v[10:11], 2, v[10:11]
	v_mov_b32_e32 v9, s7
	v_add_co_u32_e32 v10, vcc, s6, v10
	v_addc_co_u32_e32 v9, vcc, v9, v11, vcc
	v_add_co_u32_e32 v10, vcc, v10, v4
	v_addc_co_u32_e32 v11, vcc, v9, v5, vcc
	global_load_dword v9, v[10:11], off
	v_mad_u64_u32 v[12:13], s[2:3], v6, s0, 0
	v_add3_u32 v13, v13, v8, v7
	v_lshlrev_b64 v[6:7], 2, v[12:13]
	v_mov_b32_e32 v14, s5
	v_add_co_u32_e32 v6, vcc, s4, v6
	v_addc_co_u32_e32 v7, vcc, v14, v7, vcc
	v_add_co_u32_e32 v4, vcc, v6, v4
	v_addc_co_u32_e32 v5, vcc, v7, v5, vcc
	s_lshl_b64 s[2:3], s[14:15], 6
	v_mov_b32_e32 v7, s3
	s_lshl_b64 s[0:1], s[0:1], 6
	s_waitcnt vmcnt(0)
	v_mul_f32_e32 v6, s9, v9
	v_fmac_f32_e32 v6, s8, v3
	global_store_dword v[4:5], v6, off
	global_load_dword v3, v[10:11], off offset:64
	v_add_co_u32_e32 v6, vcc, s2, v10
	v_addc_co_u32_e32 v7, vcc, v11, v7, vcc
	s_waitcnt vmcnt(0)
	v_mul_f32_e32 v3, s9, v3
	v_fmac_f32_e32 v3, s8, v2
	global_store_dword v[4:5], v3, off offset:64
	global_load_dword v2, v[6:7], off
	v_mov_b32_e32 v3, s1
	s_waitcnt vmcnt(0)
	v_mul_f32_e32 v8, s9, v2
	v_add_co_u32_e32 v2, vcc, s0, v4
	v_fmac_f32_e32 v8, s8, v1
	v_addc_co_u32_e32 v3, vcc, v5, v3, vcc
	global_store_dword v[2:3], v8, off
	global_load_dword v1, v[6:7], off offset:64
	s_waitcnt vmcnt(0)
	v_mul_f32_e32 v1, s9, v1
	v_fmac_f32_e32 v1, s8, v0
	global_store_dword v[2:3], v1, off offset:64
.LBB187_7:
	s_endpgm
.LBB187_8:
	s_branch .LBB187_6
	.section	.rodata,"a",@progbits
	.p2align	6, 0x0
	.amdhsa_kernel _ZN12_GLOBAL__N_127rocblas_gemm_batched_kernelIfLi16ELi16ELi32ELi32ELi8ELi32ELi8ELi8ELi32ELc78ELc84EKPKfS3_KPfEEvlllT_PT11_llS8_llS6_PT12_llPT13_lli
		.amdhsa_group_segment_fixed_size 2048
		.amdhsa_private_segment_fixed_size 0
		.amdhsa_kernarg_size 140
		.amdhsa_user_sgpr_count 6
		.amdhsa_user_sgpr_private_segment_buffer 1
		.amdhsa_user_sgpr_dispatch_ptr 0
		.amdhsa_user_sgpr_queue_ptr 0
		.amdhsa_user_sgpr_kernarg_segment_ptr 1
		.amdhsa_user_sgpr_dispatch_id 0
		.amdhsa_user_sgpr_flat_scratch_init 0
		.amdhsa_user_sgpr_kernarg_preload_length 0
		.amdhsa_user_sgpr_kernarg_preload_offset 0
		.amdhsa_user_sgpr_private_segment_size 0
		.amdhsa_uses_dynamic_stack 0
		.amdhsa_system_sgpr_private_segment_wavefront_offset 0
		.amdhsa_system_sgpr_workgroup_id_x 1
		.amdhsa_system_sgpr_workgroup_id_y 1
		.amdhsa_system_sgpr_workgroup_id_z 1
		.amdhsa_system_sgpr_workgroup_info 0
		.amdhsa_system_vgpr_workitem_id 1
		.amdhsa_next_free_vgpr 70
		.amdhsa_next_free_sgpr 36
		.amdhsa_accum_offset 72
		.amdhsa_reserve_vcc 1
		.amdhsa_reserve_flat_scratch 0
		.amdhsa_float_round_mode_32 0
		.amdhsa_float_round_mode_16_64 0
		.amdhsa_float_denorm_mode_32 3
		.amdhsa_float_denorm_mode_16_64 3
		.amdhsa_dx10_clamp 1
		.amdhsa_ieee_mode 1
		.amdhsa_fp16_overflow 0
		.amdhsa_tg_split 0
		.amdhsa_exception_fp_ieee_invalid_op 0
		.amdhsa_exception_fp_denorm_src 0
		.amdhsa_exception_fp_ieee_div_zero 0
		.amdhsa_exception_fp_ieee_overflow 0
		.amdhsa_exception_fp_ieee_underflow 0
		.amdhsa_exception_fp_ieee_inexact 0
		.amdhsa_exception_int_div_zero 0
	.end_amdhsa_kernel
	.section	.text._ZN12_GLOBAL__N_127rocblas_gemm_batched_kernelIfLi16ELi16ELi32ELi32ELi8ELi32ELi8ELi8ELi32ELc78ELc84EKPKfS3_KPfEEvlllT_PT11_llS8_llS6_PT12_llPT13_lli,"axG",@progbits,_ZN12_GLOBAL__N_127rocblas_gemm_batched_kernelIfLi16ELi16ELi32ELi32ELi8ELi32ELi8ELi8ELi32ELc78ELc84EKPKfS3_KPfEEvlllT_PT11_llS8_llS6_PT12_llPT13_lli,comdat
.Lfunc_end187:
	.size	_ZN12_GLOBAL__N_127rocblas_gemm_batched_kernelIfLi16ELi16ELi32ELi32ELi8ELi32ELi8ELi8ELi32ELc78ELc84EKPKfS3_KPfEEvlllT_PT11_llS8_llS6_PT12_llPT13_lli, .Lfunc_end187-_ZN12_GLOBAL__N_127rocblas_gemm_batched_kernelIfLi16ELi16ELi32ELi32ELi8ELi32ELi8ELi8ELi32ELc78ELc84EKPKfS3_KPfEEvlllT_PT11_llS8_llS6_PT12_llPT13_lli
                                        ; -- End function
	.section	.AMDGPU.csdata,"",@progbits
; Kernel info:
; codeLenInByte = 1504
; NumSgprs: 40
; NumVgprs: 70
; NumAgprs: 0
; TotalNumVgprs: 70
; ScratchSize: 0
; MemoryBound: 0
; FloatMode: 240
; IeeeMode: 1
; LDSByteSize: 2048 bytes/workgroup (compile time only)
; SGPRBlocks: 4
; VGPRBlocks: 8
; NumSGPRsForWavesPerEU: 40
; NumVGPRsForWavesPerEU: 70
; AccumOffset: 72
; Occupancy: 7
; WaveLimiterHint : 1
; COMPUTE_PGM_RSRC2:SCRATCH_EN: 0
; COMPUTE_PGM_RSRC2:USER_SGPR: 6
; COMPUTE_PGM_RSRC2:TRAP_HANDLER: 0
; COMPUTE_PGM_RSRC2:TGID_X_EN: 1
; COMPUTE_PGM_RSRC2:TGID_Y_EN: 1
; COMPUTE_PGM_RSRC2:TGID_Z_EN: 1
; COMPUTE_PGM_RSRC2:TIDIG_COMP_CNT: 1
; COMPUTE_PGM_RSRC3_GFX90A:ACCUM_OFFSET: 17
; COMPUTE_PGM_RSRC3_GFX90A:TG_SPLIT: 0
	.section	.text._ZN12_GLOBAL__N_127rocblas_gemm_batched_kernelIfLi16ELi16ELi32ELi32ELi8ELi32ELi8ELi8ELi32ELc84ELc84EKPKfS3_KPfEEvlllT_PT11_llS8_llS6_PT12_llPT13_lli,"axG",@progbits,_ZN12_GLOBAL__N_127rocblas_gemm_batched_kernelIfLi16ELi16ELi32ELi32ELi8ELi32ELi8ELi8ELi32ELc84ELc84EKPKfS3_KPfEEvlllT_PT11_llS8_llS6_PT12_llPT13_lli,comdat
	.globl	_ZN12_GLOBAL__N_127rocblas_gemm_batched_kernelIfLi16ELi16ELi32ELi32ELi8ELi32ELi8ELi8ELi32ELc84ELc84EKPKfS3_KPfEEvlllT_PT11_llS8_llS6_PT12_llPT13_lli ; -- Begin function _ZN12_GLOBAL__N_127rocblas_gemm_batched_kernelIfLi16ELi16ELi32ELi32ELi8ELi32ELi8ELi8ELi32ELc84ELc84EKPKfS3_KPfEEvlllT_PT11_llS8_llS6_PT12_llPT13_lli
	.p2align	8
	.type	_ZN12_GLOBAL__N_127rocblas_gemm_batched_kernelIfLi16ELi16ELi32ELi32ELi8ELi32ELi8ELi8ELi32ELc84ELc84EKPKfS3_KPfEEvlllT_PT11_llS8_llS6_PT12_llPT13_lli,@function
_ZN12_GLOBAL__N_127rocblas_gemm_batched_kernelIfLi16ELi16ELi32ELi32ELi8ELi32ELi8ELi8ELi32ELc84ELc84EKPKfS3_KPfEEvlllT_PT11_llS8_llS6_PT12_llPT13_lli: ; @_ZN12_GLOBAL__N_127rocblas_gemm_batched_kernelIfLi16ELi16ELi32ELi32ELi8ELi32ELi8ELi8ELi32ELc84ELc84EKPKfS3_KPfEEvlllT_PT11_llS8_llS6_PT12_llPT13_lli
; %bb.0:
	s_load_dwordx2 s[30:31], s[4:5], 0x10
	s_load_dwordx4 s[0:3], s[4:5], 0x78
	s_load_dwordx8 s[12:19], s[4:5], 0x58
	s_mov_b32 s9, 0
	s_lshl_b64 s[34:35], s[8:9], 3
	s_mov_b32 s10, s7
	v_bfe_u32 v11, v0, 10, 10
	s_waitcnt lgkmcnt(0)
	s_add_u32 s8, s12, s34
	s_addc_u32 s9, s13, s35
	s_load_dwordx2 s[12:13], s[8:9], 0x0
	s_add_u32 s8, s18, s34
	s_addc_u32 s9, s19, s35
	s_load_dwordx2 s[18:19], s[8:9], 0x0
	s_ashr_i32 s7, s6, 31
	s_ashr_i32 s11, s10, 31
	v_cmp_lt_i64_e64 s[8:9], s[30:31], 1
	v_and_b32_e32 v10, 0x3ff, v0
	s_lshl_b64 s[6:7], s[6:7], 5
	s_lshl_b64 s[28:29], s[10:11], 5
	s_and_b64 vcc, exec, s[8:9]
	s_cbranch_vccnz .LBB188_3
; %bb.1:
	s_load_dwordx8 s[20:27], s[4:5], 0x20
	s_load_dwordx4 s[8:11], s[4:5], 0x40
	v_lshl_add_u32 v2, v11, 4, v10
	v_and_b32_e32 v6, 31, v2
	v_lshrrev_b32_e32 v0, 3, v2
	s_waitcnt lgkmcnt(0)
	s_add_u32 s20, s20, s34
	s_addc_u32 s21, s21, s35
	v_and_b32_e32 v4, 7, v10
	v_lshrrev_b32_e32 v7, 5, v2
	v_lshlrev_b32_e32 v2, 2, v6
	s_add_u32 s26, s26, s34
	v_lshl_or_b32 v12, v7, 7, v2
	v_lshlrev_b32_e32 v2, 2, v4
	s_addc_u32 s27, s27, s35
	v_lshl_or_b32 v2, v0, 5, v2
	s_load_dwordx2 s[26:27], s[26:27], 0x0
	v_mov_b32_e32 v1, 0
	v_add_u32_e32 v13, 0x400, v2
	v_mov_b32_e32 v2, 0x400
	v_lshl_add_u32 v15, v11, 5, v2
	v_mad_u64_u32 v[2:3], s[34:35], v4, s8, v[0:1]
	v_mov_b32_e32 v0, v3
	v_mad_u64_u32 v[4:5], s[34:35], v4, s9, v[0:1]
	s_lshl_b64 s[10:11], s[10:11], 2
	v_mov_b32_e32 v3, v4
	v_mov_b32_e32 v0, s29
	v_add_co_u32_e32 v2, vcc, s28, v2
	v_addc_co_u32_e32 v3, vcc, v3, v0, vcc
	s_waitcnt lgkmcnt(0)
	s_add_u32 s10, s26, s10
	v_lshlrev_b64 v[2:3], 2, v[2:3]
	s_addc_u32 s11, s27, s11
	v_mov_b32_e32 v0, s11
	v_add_co_u32_e32 v4, vcc, s10, v2
	v_addc_co_u32_e32 v5, vcc, v0, v3, vcc
	v_mov_b32_e32 v0, s7
	v_add_co_u32_e32 v2, vcc, s6, v6
	v_addc_co_u32_e32 v0, vcc, 0, v0, vcc
	v_mul_lo_u32 v6, s23, v2
	v_mul_lo_u32 v0, s22, v0
	v_mad_u64_u32 v[2:3], s[10:11], s22, v2, 0
	v_add3_u32 v3, v3, v0, v6
	s_load_dwordx2 s[20:21], s[20:21], 0x0
	v_lshlrev_b64 v[2:3], 2, v[2:3]
	s_lshl_b64 s[10:11], s[24:25], 2
	v_mov_b32_e32 v0, s11
	v_add_co_u32_e32 v2, vcc, s10, v2
	v_addc_co_u32_e32 v0, vcc, v3, v0, vcc
	v_lshlrev_b32_e32 v3, 2, v7
	v_add_co_u32_e32 v2, vcc, v2, v3
	v_addc_co_u32_e32 v0, vcc, 0, v0, vcc
	s_lshl_b64 s[8:9], s[8:9], 5
	s_waitcnt lgkmcnt(0)
	v_mov_b32_e32 v3, s21
	v_add_co_u32_e32 v6, vcc, s20, v2
	v_lshlrev_b32_e32 v14, 2, v10
	v_addc_co_u32_e32 v7, vcc, v3, v0, vcc
	s_mov_b64 s[10:11], 0
	v_mov_b32_e32 v16, s9
	v_pk_mov_b32 v[8:9], s[30:31], s[30:31] op_sel:[0,1]
	v_mov_b32_e32 v0, v1
	v_mov_b32_e32 v2, v1
	;; [unrolled: 1-line block ×3, first 2 shown]
.LBB188_2:                              ; =>This Inner Loop Header: Depth=1
	global_load_dword v17, v[6:7], off
	global_load_dword v18, v[4:5], off
	v_add_co_u32_e32 v4, vcc, s8, v4
	v_addc_co_u32_e32 v5, vcc, v5, v16, vcc
	s_add_u32 s10, s10, 8
	v_add_co_u32_e32 v6, vcc, 32, v6
	v_addc_co_u32_e32 v7, vcc, 0, v7, vcc
	s_addc_u32 s11, s11, 0
	v_cmp_lt_i64_e32 vcc, s[10:11], v[8:9]
	s_and_b64 vcc, exec, vcc
	s_waitcnt vmcnt(1)
	ds_write_b32 v12, v17
	s_waitcnt vmcnt(0)
	ds_write_b32 v13, v18
	s_waitcnt lgkmcnt(0)
	s_barrier
	ds_read2_b32 v[34:35], v14 offset1:16
	ds_read2_b32 v[36:37], v14 offset0:32 offset1:48
	ds_read_b128 v[18:21], v15
	ds_read_b128 v[22:25], v15 offset:16
	ds_read2_b32 v[38:39], v14 offset0:64 offset1:80
	ds_read2_b32 v[40:41], v14 offset0:96 offset1:112
	;; [unrolled: 1-line block ×4, first 2 shown]
	ds_read_b128 v[26:29], v15 offset:512
	ds_read_b128 v[30:33], v15 offset:528
	ds_read2_b32 v[46:47], v14 offset0:192 offset1:208
	s_waitcnt lgkmcnt(10)
	v_mov_b32_e32 v50, v35
	s_waitcnt lgkmcnt(9)
	v_mov_b32_e32 v51, v37
	s_waitcnt lgkmcnt(8)
	v_mul_f32_e32 v49, v34, v18
	v_mul_f32_e32 v35, v36, v19
	s_waitcnt lgkmcnt(5)
	v_mov_b32_e32 v53, v41
	v_pk_mul_f32 v[18:19], v[50:51], v[18:19]
	ds_read2_b32 v[54:55], v14 offset0:224 offset1:240
	s_waitcnt lgkmcnt(3)
	v_mul_f32_e32 v41, v34, v26
	v_mul_f32_e32 v57, v36, v27
	v_pk_mul_f32 v[26:27], v[50:51], v[26:27]
	v_mov_b32_e32 v52, v39
	v_mul_f32_e32 v39, v40, v21
	v_mul_f32_e32 v61, v40, v29
	v_mov_b32_e32 v48, v18
	v_mov_b32_e32 v40, v26
	v_mul_f32_e32 v37, v38, v20
	v_pk_mul_f32 v[20:21], v[52:53], v[20:21]
	v_mul_f32_e32 v59, v38, v28
	v_pk_mul_f32 v[28:29], v[52:53], v[28:29]
	v_mov_b32_e32 v34, v19
	v_mov_b32_e32 v56, v27
	v_pk_add_f32 v[2:3], v[2:3], v[48:49]
	v_pk_add_f32 v[0:1], v[0:1], v[40:41]
	v_mov_b32_e32 v50, v43
	v_mov_b32_e32 v51, v45
	;; [unrolled: 1-line block ×4, first 2 shown]
	v_pk_add_f32 v[2:3], v[2:3], v[34:35]
	v_pk_add_f32 v[0:1], v[0:1], v[56:57]
	v_mul_f32_e32 v43, v42, v22
	v_mul_f32_e32 v45, v44, v23
	v_pk_mul_f32 v[22:23], v[50:51], v[22:23]
	s_waitcnt lgkmcnt(2)
	v_mul_f32_e32 v63, v42, v30
	v_mul_f32_e32 v65, v44, v31
	v_pk_mul_f32 v[30:31], v[50:51], v[30:31]
	v_mov_b32_e32 v38, v21
	v_mov_b32_e32 v60, v29
	v_pk_add_f32 v[2:3], v[2:3], v[36:37]
	v_pk_add_f32 v[0:1], v[0:1], v[58:59]
	s_waitcnt lgkmcnt(1)
	v_mov_b32_e32 v52, v47
	s_waitcnt lgkmcnt(0)
	v_mov_b32_e32 v53, v55
	v_mov_b32_e32 v42, v22
	;; [unrolled: 1-line block ×3, first 2 shown]
	v_pk_add_f32 v[2:3], v[2:3], v[38:39]
	v_pk_add_f32 v[0:1], v[0:1], v[60:61]
	v_mul_f32_e32 v47, v46, v24
	v_mul_f32_e32 v55, v54, v25
	v_pk_mul_f32 v[24:25], v[52:53], v[24:25]
	v_mul_f32_e32 v67, v46, v32
	v_mul_f32_e32 v69, v54, v33
	v_pk_mul_f32 v[32:33], v[52:53], v[32:33]
	v_mov_b32_e32 v44, v23
	v_mov_b32_e32 v64, v31
	v_pk_add_f32 v[2:3], v[2:3], v[42:43]
	v_pk_add_f32 v[0:1], v[0:1], v[62:63]
	v_mov_b32_e32 v46, v24
	v_mov_b32_e32 v66, v32
	v_pk_add_f32 v[2:3], v[2:3], v[44:45]
	v_pk_add_f32 v[0:1], v[0:1], v[64:65]
	;; [unrolled: 4-line block ×3, first 2 shown]
	v_pk_add_f32 v[2:3], v[2:3], v[54:55]
	v_pk_add_f32 v[0:1], v[0:1], v[68:69]
	s_barrier
	s_cbranch_vccnz .LBB188_2
	s_branch .LBB188_4
.LBB188_3:
	v_mov_b32_e32 v3, 0
	v_mov_b32_e32 v2, v3
	;; [unrolled: 1-line block ×4, first 2 shown]
.LBB188_4:
	s_load_dword s8, s[4:5], 0x18
	s_load_dword s9, s[4:5], 0x50
	v_mov_b32_e32 v4, s29
	v_add_co_u32_e32 v6, vcc, s28, v11
	s_lshl_b64 s[2:3], s[2:3], 2
	v_addc_co_u32_e32 v9, vcc, 0, v4, vcc
	s_waitcnt lgkmcnt(0)
	s_add_u32 s4, s18, s2
	v_mov_b32_e32 v5, s7
	v_add_co_u32_e32 v4, vcc, s6, v10
	s_addc_u32 s5, s19, s3
	v_cmp_neq_f32_e64 s[2:3], s9, 0
	v_addc_co_u32_e32 v5, vcc, 0, v5, vcc
	s_and_b64 vcc, exec, s[2:3]
	v_mul_lo_u32 v7, v9, s0
	v_mul_lo_u32 v8, v6, s1
	v_lshlrev_b64 v[4:5], 2, v[4:5]
	s_cbranch_vccnz .LBB188_8
; %bb.5:
	v_mad_u64_u32 v[10:11], s[2:3], v6, s0, 0
	v_add3_u32 v11, v11, v8, v7
	v_lshlrev_b64 v[10:11], 2, v[10:11]
	v_mov_b32_e32 v12, s5
	v_add_co_u32_e32 v10, vcc, s4, v10
	v_addc_co_u32_e32 v11, vcc, v12, v11, vcc
	v_add_co_u32_e32 v10, vcc, v10, v4
	v_mul_f32_e32 v12, s8, v3
	v_addc_co_u32_e32 v11, vcc, v11, v5, vcc
	global_store_dword v[10:11], v12, off
	v_mul_f32_e32 v12, s8, v2
	s_lshl_b64 s[2:3], s[0:1], 6
	global_store_dword v[10:11], v12, off offset:64
	v_mov_b32_e32 v13, s3
	v_add_co_u32_e32 v10, vcc, s2, v10
	v_mul_f32_e32 v12, s8, v1
	v_addc_co_u32_e32 v11, vcc, v11, v13, vcc
	global_store_dword v[10:11], v12, off
	v_mul_f32_e32 v12, s8, v0
	global_store_dword v[10:11], v12, off offset:64
	s_cbranch_execnz .LBB188_7
.LBB188_6:
	s_lshl_b64 s[2:3], s[16:17], 2
	s_add_u32 s6, s12, s2
	s_addc_u32 s7, s13, s3
	v_mul_lo_u32 v9, v9, s14
	v_mul_lo_u32 v12, v6, s15
	v_mad_u64_u32 v[10:11], s[2:3], v6, s14, 0
	v_add3_u32 v11, v11, v12, v9
	v_lshlrev_b64 v[10:11], 2, v[10:11]
	v_mov_b32_e32 v9, s7
	v_add_co_u32_e32 v10, vcc, s6, v10
	v_addc_co_u32_e32 v9, vcc, v9, v11, vcc
	v_add_co_u32_e32 v10, vcc, v10, v4
	v_addc_co_u32_e32 v11, vcc, v9, v5, vcc
	global_load_dword v9, v[10:11], off
	v_mad_u64_u32 v[12:13], s[2:3], v6, s0, 0
	v_add3_u32 v13, v13, v8, v7
	v_lshlrev_b64 v[6:7], 2, v[12:13]
	v_mov_b32_e32 v14, s5
	v_add_co_u32_e32 v6, vcc, s4, v6
	v_addc_co_u32_e32 v7, vcc, v14, v7, vcc
	v_add_co_u32_e32 v4, vcc, v6, v4
	v_addc_co_u32_e32 v5, vcc, v7, v5, vcc
	s_lshl_b64 s[2:3], s[14:15], 6
	v_mov_b32_e32 v7, s3
	s_lshl_b64 s[0:1], s[0:1], 6
	s_waitcnt vmcnt(0)
	v_mul_f32_e32 v6, s9, v9
	v_fmac_f32_e32 v6, s8, v3
	global_store_dword v[4:5], v6, off
	global_load_dword v3, v[10:11], off offset:64
	v_add_co_u32_e32 v6, vcc, s2, v10
	v_addc_co_u32_e32 v7, vcc, v11, v7, vcc
	s_waitcnt vmcnt(0)
	v_mul_f32_e32 v3, s9, v3
	v_fmac_f32_e32 v3, s8, v2
	global_store_dword v[4:5], v3, off offset:64
	global_load_dword v2, v[6:7], off
	v_mov_b32_e32 v3, s1
	s_waitcnt vmcnt(0)
	v_mul_f32_e32 v8, s9, v2
	v_add_co_u32_e32 v2, vcc, s0, v4
	v_fmac_f32_e32 v8, s8, v1
	v_addc_co_u32_e32 v3, vcc, v5, v3, vcc
	global_store_dword v[2:3], v8, off
	global_load_dword v1, v[6:7], off offset:64
	s_waitcnt vmcnt(0)
	v_mul_f32_e32 v1, s9, v1
	v_fmac_f32_e32 v1, s8, v0
	global_store_dword v[2:3], v1, off offset:64
.LBB188_7:
	s_endpgm
.LBB188_8:
	s_branch .LBB188_6
	.section	.rodata,"a",@progbits
	.p2align	6, 0x0
	.amdhsa_kernel _ZN12_GLOBAL__N_127rocblas_gemm_batched_kernelIfLi16ELi16ELi32ELi32ELi8ELi32ELi8ELi8ELi32ELc84ELc84EKPKfS3_KPfEEvlllT_PT11_llS8_llS6_PT12_llPT13_lli
		.amdhsa_group_segment_fixed_size 2048
		.amdhsa_private_segment_fixed_size 0
		.amdhsa_kernarg_size 140
		.amdhsa_user_sgpr_count 6
		.amdhsa_user_sgpr_private_segment_buffer 1
		.amdhsa_user_sgpr_dispatch_ptr 0
		.amdhsa_user_sgpr_queue_ptr 0
		.amdhsa_user_sgpr_kernarg_segment_ptr 1
		.amdhsa_user_sgpr_dispatch_id 0
		.amdhsa_user_sgpr_flat_scratch_init 0
		.amdhsa_user_sgpr_kernarg_preload_length 0
		.amdhsa_user_sgpr_kernarg_preload_offset 0
		.amdhsa_user_sgpr_private_segment_size 0
		.amdhsa_uses_dynamic_stack 0
		.amdhsa_system_sgpr_private_segment_wavefront_offset 0
		.amdhsa_system_sgpr_workgroup_id_x 1
		.amdhsa_system_sgpr_workgroup_id_y 1
		.amdhsa_system_sgpr_workgroup_id_z 1
		.amdhsa_system_sgpr_workgroup_info 0
		.amdhsa_system_vgpr_workitem_id 1
		.amdhsa_next_free_vgpr 70
		.amdhsa_next_free_sgpr 36
		.amdhsa_accum_offset 72
		.amdhsa_reserve_vcc 1
		.amdhsa_reserve_flat_scratch 0
		.amdhsa_float_round_mode_32 0
		.amdhsa_float_round_mode_16_64 0
		.amdhsa_float_denorm_mode_32 3
		.amdhsa_float_denorm_mode_16_64 3
		.amdhsa_dx10_clamp 1
		.amdhsa_ieee_mode 1
		.amdhsa_fp16_overflow 0
		.amdhsa_tg_split 0
		.amdhsa_exception_fp_ieee_invalid_op 0
		.amdhsa_exception_fp_denorm_src 0
		.amdhsa_exception_fp_ieee_div_zero 0
		.amdhsa_exception_fp_ieee_overflow 0
		.amdhsa_exception_fp_ieee_underflow 0
		.amdhsa_exception_fp_ieee_inexact 0
		.amdhsa_exception_int_div_zero 0
	.end_amdhsa_kernel
	.section	.text._ZN12_GLOBAL__N_127rocblas_gemm_batched_kernelIfLi16ELi16ELi32ELi32ELi8ELi32ELi8ELi8ELi32ELc84ELc84EKPKfS3_KPfEEvlllT_PT11_llS8_llS6_PT12_llPT13_lli,"axG",@progbits,_ZN12_GLOBAL__N_127rocblas_gemm_batched_kernelIfLi16ELi16ELi32ELi32ELi8ELi32ELi8ELi8ELi32ELc84ELc84EKPKfS3_KPfEEvlllT_PT11_llS8_llS6_PT12_llPT13_lli,comdat
.Lfunc_end188:
	.size	_ZN12_GLOBAL__N_127rocblas_gemm_batched_kernelIfLi16ELi16ELi32ELi32ELi8ELi32ELi8ELi8ELi32ELc84ELc84EKPKfS3_KPfEEvlllT_PT11_llS8_llS6_PT12_llPT13_lli, .Lfunc_end188-_ZN12_GLOBAL__N_127rocblas_gemm_batched_kernelIfLi16ELi16ELi32ELi32ELi8ELi32ELi8ELi8ELi32ELc84ELc84EKPKfS3_KPfEEvlllT_PT11_llS8_llS6_PT12_llPT13_lli
                                        ; -- End function
	.section	.AMDGPU.csdata,"",@progbits
; Kernel info:
; codeLenInByte = 1516
; NumSgprs: 40
; NumVgprs: 70
; NumAgprs: 0
; TotalNumVgprs: 70
; ScratchSize: 0
; MemoryBound: 0
; FloatMode: 240
; IeeeMode: 1
; LDSByteSize: 2048 bytes/workgroup (compile time only)
; SGPRBlocks: 4
; VGPRBlocks: 8
; NumSGPRsForWavesPerEU: 40
; NumVGPRsForWavesPerEU: 70
; AccumOffset: 72
; Occupancy: 7
; WaveLimiterHint : 1
; COMPUTE_PGM_RSRC2:SCRATCH_EN: 0
; COMPUTE_PGM_RSRC2:USER_SGPR: 6
; COMPUTE_PGM_RSRC2:TRAP_HANDLER: 0
; COMPUTE_PGM_RSRC2:TGID_X_EN: 1
; COMPUTE_PGM_RSRC2:TGID_Y_EN: 1
; COMPUTE_PGM_RSRC2:TGID_Z_EN: 1
; COMPUTE_PGM_RSRC2:TIDIG_COMP_CNT: 1
; COMPUTE_PGM_RSRC3_GFX90A:ACCUM_OFFSET: 17
; COMPUTE_PGM_RSRC3_GFX90A:TG_SPLIT: 0
	.section	.text._ZN12_GLOBAL__N_127rocblas_gemm_batched_kernelIfLi16ELi16ELi32ELi32ELi8ELi32ELi8ELi8ELi32ELc67ELc67EKPKfS3_KPfEEvlllT_PT11_llS8_llS6_PT12_llPT13_lli,"axG",@progbits,_ZN12_GLOBAL__N_127rocblas_gemm_batched_kernelIfLi16ELi16ELi32ELi32ELi8ELi32ELi8ELi8ELi32ELc67ELc67EKPKfS3_KPfEEvlllT_PT11_llS8_llS6_PT12_llPT13_lli,comdat
	.globl	_ZN12_GLOBAL__N_127rocblas_gemm_batched_kernelIfLi16ELi16ELi32ELi32ELi8ELi32ELi8ELi8ELi32ELc67ELc67EKPKfS3_KPfEEvlllT_PT11_llS8_llS6_PT12_llPT13_lli ; -- Begin function _ZN12_GLOBAL__N_127rocblas_gemm_batched_kernelIfLi16ELi16ELi32ELi32ELi8ELi32ELi8ELi8ELi32ELc67ELc67EKPKfS3_KPfEEvlllT_PT11_llS8_llS6_PT12_llPT13_lli
	.p2align	8
	.type	_ZN12_GLOBAL__N_127rocblas_gemm_batched_kernelIfLi16ELi16ELi32ELi32ELi8ELi32ELi8ELi8ELi32ELc67ELc67EKPKfS3_KPfEEvlllT_PT11_llS8_llS6_PT12_llPT13_lli,@function
_ZN12_GLOBAL__N_127rocblas_gemm_batched_kernelIfLi16ELi16ELi32ELi32ELi8ELi32ELi8ELi8ELi32ELc67ELc67EKPKfS3_KPfEEvlllT_PT11_llS8_llS6_PT12_llPT13_lli: ; @_ZN12_GLOBAL__N_127rocblas_gemm_batched_kernelIfLi16ELi16ELi32ELi32ELi8ELi32ELi8ELi8ELi32ELc67ELc67EKPKfS3_KPfEEvlllT_PT11_llS8_llS6_PT12_llPT13_lli
; %bb.0:
	s_load_dwordx2 s[30:31], s[4:5], 0x10
	s_load_dwordx4 s[0:3], s[4:5], 0x78
	s_load_dwordx8 s[12:19], s[4:5], 0x58
	s_mov_b32 s9, 0
	s_lshl_b64 s[34:35], s[8:9], 3
	s_mov_b32 s10, s7
	v_bfe_u32 v11, v0, 10, 10
	s_waitcnt lgkmcnt(0)
	s_add_u32 s8, s12, s34
	s_addc_u32 s9, s13, s35
	s_load_dwordx2 s[12:13], s[8:9], 0x0
	s_add_u32 s8, s18, s34
	s_addc_u32 s9, s19, s35
	s_load_dwordx2 s[18:19], s[8:9], 0x0
	s_ashr_i32 s7, s6, 31
	s_ashr_i32 s11, s10, 31
	v_cmp_lt_i64_e64 s[8:9], s[30:31], 1
	v_and_b32_e32 v10, 0x3ff, v0
	s_lshl_b64 s[6:7], s[6:7], 5
	s_lshl_b64 s[28:29], s[10:11], 5
	s_and_b64 vcc, exec, s[8:9]
	s_cbranch_vccnz .LBB189_3
; %bb.1:
	s_load_dwordx8 s[20:27], s[4:5], 0x20
	s_load_dwordx4 s[8:11], s[4:5], 0x40
	v_lshl_add_u32 v2, v11, 4, v10
	v_and_b32_e32 v6, 31, v2
	v_lshrrev_b32_e32 v0, 3, v2
	s_waitcnt lgkmcnt(0)
	s_add_u32 s20, s20, s34
	s_addc_u32 s21, s21, s35
	v_and_b32_e32 v4, 7, v10
	v_lshrrev_b32_e32 v7, 5, v2
	v_lshlrev_b32_e32 v2, 2, v6
	s_add_u32 s26, s26, s34
	v_lshl_or_b32 v12, v7, 7, v2
	v_lshlrev_b32_e32 v2, 2, v4
	s_addc_u32 s27, s27, s35
	v_lshl_or_b32 v2, v0, 5, v2
	s_load_dwordx2 s[26:27], s[26:27], 0x0
	v_mov_b32_e32 v1, 0
	v_add_u32_e32 v13, 0x400, v2
	v_mov_b32_e32 v2, 0x400
	v_lshl_add_u32 v15, v11, 5, v2
	v_mad_u64_u32 v[2:3], s[34:35], v4, s8, v[0:1]
	v_mov_b32_e32 v0, v3
	v_mad_u64_u32 v[4:5], s[34:35], v4, s9, v[0:1]
	s_lshl_b64 s[10:11], s[10:11], 2
	v_mov_b32_e32 v3, v4
	v_mov_b32_e32 v0, s29
	v_add_co_u32_e32 v2, vcc, s28, v2
	v_addc_co_u32_e32 v3, vcc, v3, v0, vcc
	s_waitcnt lgkmcnt(0)
	s_add_u32 s10, s26, s10
	v_lshlrev_b64 v[2:3], 2, v[2:3]
	s_addc_u32 s11, s27, s11
	v_mov_b32_e32 v0, s11
	v_add_co_u32_e32 v4, vcc, s10, v2
	v_addc_co_u32_e32 v5, vcc, v0, v3, vcc
	v_mov_b32_e32 v0, s7
	v_add_co_u32_e32 v2, vcc, s6, v6
	v_addc_co_u32_e32 v0, vcc, 0, v0, vcc
	v_mul_lo_u32 v6, s23, v2
	v_mul_lo_u32 v0, s22, v0
	v_mad_u64_u32 v[2:3], s[10:11], s22, v2, 0
	v_add3_u32 v3, v3, v0, v6
	s_load_dwordx2 s[20:21], s[20:21], 0x0
	v_lshlrev_b64 v[2:3], 2, v[2:3]
	s_lshl_b64 s[10:11], s[24:25], 2
	v_mov_b32_e32 v0, s11
	v_add_co_u32_e32 v2, vcc, s10, v2
	v_addc_co_u32_e32 v0, vcc, v3, v0, vcc
	v_lshlrev_b32_e32 v3, 2, v7
	v_add_co_u32_e32 v2, vcc, v2, v3
	v_addc_co_u32_e32 v0, vcc, 0, v0, vcc
	s_lshl_b64 s[8:9], s[8:9], 5
	s_waitcnt lgkmcnt(0)
	v_mov_b32_e32 v3, s21
	v_add_co_u32_e32 v6, vcc, s20, v2
	v_lshlrev_b32_e32 v14, 2, v10
	v_addc_co_u32_e32 v7, vcc, v3, v0, vcc
	s_mov_b64 s[10:11], 0
	v_mov_b32_e32 v16, s9
	v_pk_mov_b32 v[8:9], s[30:31], s[30:31] op_sel:[0,1]
	v_mov_b32_e32 v0, v1
	v_mov_b32_e32 v2, v1
	;; [unrolled: 1-line block ×3, first 2 shown]
.LBB189_2:                              ; =>This Inner Loop Header: Depth=1
	global_load_dword v17, v[6:7], off
	global_load_dword v18, v[4:5], off
	v_add_co_u32_e32 v4, vcc, s8, v4
	v_addc_co_u32_e32 v5, vcc, v5, v16, vcc
	s_add_u32 s10, s10, 8
	v_add_co_u32_e32 v6, vcc, 32, v6
	v_addc_co_u32_e32 v7, vcc, 0, v7, vcc
	s_addc_u32 s11, s11, 0
	v_cmp_lt_i64_e32 vcc, s[10:11], v[8:9]
	s_and_b64 vcc, exec, vcc
	s_waitcnt vmcnt(1)
	ds_write_b32 v12, v17
	s_waitcnt vmcnt(0)
	ds_write_b32 v13, v18
	s_waitcnt lgkmcnt(0)
	s_barrier
	ds_read2_b32 v[34:35], v14 offset1:16
	ds_read2_b32 v[36:37], v14 offset0:32 offset1:48
	ds_read_b128 v[18:21], v15
	ds_read_b128 v[22:25], v15 offset:16
	ds_read2_b32 v[38:39], v14 offset0:64 offset1:80
	ds_read2_b32 v[40:41], v14 offset0:96 offset1:112
	;; [unrolled: 1-line block ×4, first 2 shown]
	ds_read_b128 v[26:29], v15 offset:512
	ds_read_b128 v[30:33], v15 offset:528
	ds_read2_b32 v[46:47], v14 offset0:192 offset1:208
	s_waitcnt lgkmcnt(10)
	v_mov_b32_e32 v50, v35
	s_waitcnt lgkmcnt(9)
	v_mov_b32_e32 v51, v37
	s_waitcnt lgkmcnt(8)
	v_mul_f32_e32 v49, v34, v18
	v_mul_f32_e32 v35, v36, v19
	s_waitcnt lgkmcnt(5)
	v_mov_b32_e32 v53, v41
	v_pk_mul_f32 v[18:19], v[50:51], v[18:19]
	ds_read2_b32 v[54:55], v14 offset0:224 offset1:240
	s_waitcnt lgkmcnt(3)
	v_mul_f32_e32 v41, v34, v26
	v_mul_f32_e32 v57, v36, v27
	v_pk_mul_f32 v[26:27], v[50:51], v[26:27]
	v_mov_b32_e32 v52, v39
	v_mul_f32_e32 v39, v40, v21
	v_mul_f32_e32 v61, v40, v29
	v_mov_b32_e32 v48, v18
	v_mov_b32_e32 v40, v26
	v_mul_f32_e32 v37, v38, v20
	v_pk_mul_f32 v[20:21], v[52:53], v[20:21]
	v_mul_f32_e32 v59, v38, v28
	v_pk_mul_f32 v[28:29], v[52:53], v[28:29]
	v_mov_b32_e32 v34, v19
	v_mov_b32_e32 v56, v27
	v_pk_add_f32 v[2:3], v[2:3], v[48:49]
	v_pk_add_f32 v[0:1], v[0:1], v[40:41]
	v_mov_b32_e32 v50, v43
	v_mov_b32_e32 v51, v45
	;; [unrolled: 1-line block ×4, first 2 shown]
	v_pk_add_f32 v[2:3], v[2:3], v[34:35]
	v_pk_add_f32 v[0:1], v[0:1], v[56:57]
	v_mul_f32_e32 v43, v42, v22
	v_mul_f32_e32 v45, v44, v23
	v_pk_mul_f32 v[22:23], v[50:51], v[22:23]
	s_waitcnt lgkmcnt(2)
	v_mul_f32_e32 v63, v42, v30
	v_mul_f32_e32 v65, v44, v31
	v_pk_mul_f32 v[30:31], v[50:51], v[30:31]
	v_mov_b32_e32 v38, v21
	v_mov_b32_e32 v60, v29
	v_pk_add_f32 v[2:3], v[2:3], v[36:37]
	v_pk_add_f32 v[0:1], v[0:1], v[58:59]
	s_waitcnt lgkmcnt(1)
	v_mov_b32_e32 v52, v47
	s_waitcnt lgkmcnt(0)
	v_mov_b32_e32 v53, v55
	v_mov_b32_e32 v42, v22
	v_mov_b32_e32 v62, v30
	v_pk_add_f32 v[2:3], v[2:3], v[38:39]
	v_pk_add_f32 v[0:1], v[0:1], v[60:61]
	v_mul_f32_e32 v47, v46, v24
	v_mul_f32_e32 v55, v54, v25
	v_pk_mul_f32 v[24:25], v[52:53], v[24:25]
	v_mul_f32_e32 v67, v46, v32
	v_mul_f32_e32 v69, v54, v33
	v_pk_mul_f32 v[32:33], v[52:53], v[32:33]
	v_mov_b32_e32 v44, v23
	v_mov_b32_e32 v64, v31
	v_pk_add_f32 v[2:3], v[2:3], v[42:43]
	v_pk_add_f32 v[0:1], v[0:1], v[62:63]
	v_mov_b32_e32 v46, v24
	v_mov_b32_e32 v66, v32
	v_pk_add_f32 v[2:3], v[2:3], v[44:45]
	v_pk_add_f32 v[0:1], v[0:1], v[64:65]
	;; [unrolled: 4-line block ×3, first 2 shown]
	v_pk_add_f32 v[2:3], v[2:3], v[54:55]
	v_pk_add_f32 v[0:1], v[0:1], v[68:69]
	s_barrier
	s_cbranch_vccnz .LBB189_2
	s_branch .LBB189_4
.LBB189_3:
	v_mov_b32_e32 v3, 0
	v_mov_b32_e32 v2, v3
	v_mov_b32_e32 v1, v3
	v_mov_b32_e32 v0, v3
.LBB189_4:
	s_load_dword s8, s[4:5], 0x18
	s_load_dword s9, s[4:5], 0x50
	v_mov_b32_e32 v4, s29
	v_add_co_u32_e32 v6, vcc, s28, v11
	s_lshl_b64 s[2:3], s[2:3], 2
	v_addc_co_u32_e32 v9, vcc, 0, v4, vcc
	s_waitcnt lgkmcnt(0)
	s_add_u32 s4, s18, s2
	v_mov_b32_e32 v5, s7
	v_add_co_u32_e32 v4, vcc, s6, v10
	s_addc_u32 s5, s19, s3
	v_cmp_neq_f32_e64 s[2:3], s9, 0
	v_addc_co_u32_e32 v5, vcc, 0, v5, vcc
	s_and_b64 vcc, exec, s[2:3]
	v_mul_lo_u32 v7, v9, s0
	v_mul_lo_u32 v8, v6, s1
	v_lshlrev_b64 v[4:5], 2, v[4:5]
	s_cbranch_vccnz .LBB189_8
; %bb.5:
	v_mad_u64_u32 v[10:11], s[2:3], v6, s0, 0
	v_add3_u32 v11, v11, v8, v7
	v_lshlrev_b64 v[10:11], 2, v[10:11]
	v_mov_b32_e32 v12, s5
	v_add_co_u32_e32 v10, vcc, s4, v10
	v_addc_co_u32_e32 v11, vcc, v12, v11, vcc
	v_add_co_u32_e32 v10, vcc, v10, v4
	v_mul_f32_e32 v12, s8, v3
	v_addc_co_u32_e32 v11, vcc, v11, v5, vcc
	global_store_dword v[10:11], v12, off
	v_mul_f32_e32 v12, s8, v2
	s_lshl_b64 s[2:3], s[0:1], 6
	global_store_dword v[10:11], v12, off offset:64
	v_mov_b32_e32 v13, s3
	v_add_co_u32_e32 v10, vcc, s2, v10
	v_mul_f32_e32 v12, s8, v1
	v_addc_co_u32_e32 v11, vcc, v11, v13, vcc
	global_store_dword v[10:11], v12, off
	v_mul_f32_e32 v12, s8, v0
	global_store_dword v[10:11], v12, off offset:64
	s_cbranch_execnz .LBB189_7
.LBB189_6:
	s_lshl_b64 s[2:3], s[16:17], 2
	s_add_u32 s6, s12, s2
	s_addc_u32 s7, s13, s3
	v_mul_lo_u32 v9, v9, s14
	v_mul_lo_u32 v12, v6, s15
	v_mad_u64_u32 v[10:11], s[2:3], v6, s14, 0
	v_add3_u32 v11, v11, v12, v9
	v_lshlrev_b64 v[10:11], 2, v[10:11]
	v_mov_b32_e32 v9, s7
	v_add_co_u32_e32 v10, vcc, s6, v10
	v_addc_co_u32_e32 v9, vcc, v9, v11, vcc
	v_add_co_u32_e32 v10, vcc, v10, v4
	v_addc_co_u32_e32 v11, vcc, v9, v5, vcc
	global_load_dword v9, v[10:11], off
	v_mad_u64_u32 v[12:13], s[2:3], v6, s0, 0
	v_add3_u32 v13, v13, v8, v7
	v_lshlrev_b64 v[6:7], 2, v[12:13]
	v_mov_b32_e32 v14, s5
	v_add_co_u32_e32 v6, vcc, s4, v6
	v_addc_co_u32_e32 v7, vcc, v14, v7, vcc
	v_add_co_u32_e32 v4, vcc, v6, v4
	v_addc_co_u32_e32 v5, vcc, v7, v5, vcc
	s_lshl_b64 s[2:3], s[14:15], 6
	v_mov_b32_e32 v7, s3
	s_lshl_b64 s[0:1], s[0:1], 6
	s_waitcnt vmcnt(0)
	v_mul_f32_e32 v6, s9, v9
	v_fmac_f32_e32 v6, s8, v3
	global_store_dword v[4:5], v6, off
	global_load_dword v3, v[10:11], off offset:64
	v_add_co_u32_e32 v6, vcc, s2, v10
	v_addc_co_u32_e32 v7, vcc, v11, v7, vcc
	s_waitcnt vmcnt(0)
	v_mul_f32_e32 v3, s9, v3
	v_fmac_f32_e32 v3, s8, v2
	global_store_dword v[4:5], v3, off offset:64
	global_load_dword v2, v[6:7], off
	v_mov_b32_e32 v3, s1
	s_waitcnt vmcnt(0)
	v_mul_f32_e32 v8, s9, v2
	v_add_co_u32_e32 v2, vcc, s0, v4
	v_fmac_f32_e32 v8, s8, v1
	v_addc_co_u32_e32 v3, vcc, v5, v3, vcc
	global_store_dword v[2:3], v8, off
	global_load_dword v1, v[6:7], off offset:64
	s_waitcnt vmcnt(0)
	v_mul_f32_e32 v1, s9, v1
	v_fmac_f32_e32 v1, s8, v0
	global_store_dword v[2:3], v1, off offset:64
.LBB189_7:
	s_endpgm
.LBB189_8:
	s_branch .LBB189_6
	.section	.rodata,"a",@progbits
	.p2align	6, 0x0
	.amdhsa_kernel _ZN12_GLOBAL__N_127rocblas_gemm_batched_kernelIfLi16ELi16ELi32ELi32ELi8ELi32ELi8ELi8ELi32ELc67ELc67EKPKfS3_KPfEEvlllT_PT11_llS8_llS6_PT12_llPT13_lli
		.amdhsa_group_segment_fixed_size 2048
		.amdhsa_private_segment_fixed_size 0
		.amdhsa_kernarg_size 140
		.amdhsa_user_sgpr_count 6
		.amdhsa_user_sgpr_private_segment_buffer 1
		.amdhsa_user_sgpr_dispatch_ptr 0
		.amdhsa_user_sgpr_queue_ptr 0
		.amdhsa_user_sgpr_kernarg_segment_ptr 1
		.amdhsa_user_sgpr_dispatch_id 0
		.amdhsa_user_sgpr_flat_scratch_init 0
		.amdhsa_user_sgpr_kernarg_preload_length 0
		.amdhsa_user_sgpr_kernarg_preload_offset 0
		.amdhsa_user_sgpr_private_segment_size 0
		.amdhsa_uses_dynamic_stack 0
		.amdhsa_system_sgpr_private_segment_wavefront_offset 0
		.amdhsa_system_sgpr_workgroup_id_x 1
		.amdhsa_system_sgpr_workgroup_id_y 1
		.amdhsa_system_sgpr_workgroup_id_z 1
		.amdhsa_system_sgpr_workgroup_info 0
		.amdhsa_system_vgpr_workitem_id 1
		.amdhsa_next_free_vgpr 70
		.amdhsa_next_free_sgpr 36
		.amdhsa_accum_offset 72
		.amdhsa_reserve_vcc 1
		.amdhsa_reserve_flat_scratch 0
		.amdhsa_float_round_mode_32 0
		.amdhsa_float_round_mode_16_64 0
		.amdhsa_float_denorm_mode_32 3
		.amdhsa_float_denorm_mode_16_64 3
		.amdhsa_dx10_clamp 1
		.amdhsa_ieee_mode 1
		.amdhsa_fp16_overflow 0
		.amdhsa_tg_split 0
		.amdhsa_exception_fp_ieee_invalid_op 0
		.amdhsa_exception_fp_denorm_src 0
		.amdhsa_exception_fp_ieee_div_zero 0
		.amdhsa_exception_fp_ieee_overflow 0
		.amdhsa_exception_fp_ieee_underflow 0
		.amdhsa_exception_fp_ieee_inexact 0
		.amdhsa_exception_int_div_zero 0
	.end_amdhsa_kernel
	.section	.text._ZN12_GLOBAL__N_127rocblas_gemm_batched_kernelIfLi16ELi16ELi32ELi32ELi8ELi32ELi8ELi8ELi32ELc67ELc67EKPKfS3_KPfEEvlllT_PT11_llS8_llS6_PT12_llPT13_lli,"axG",@progbits,_ZN12_GLOBAL__N_127rocblas_gemm_batched_kernelIfLi16ELi16ELi32ELi32ELi8ELi32ELi8ELi8ELi32ELc67ELc67EKPKfS3_KPfEEvlllT_PT11_llS8_llS6_PT12_llPT13_lli,comdat
.Lfunc_end189:
	.size	_ZN12_GLOBAL__N_127rocblas_gemm_batched_kernelIfLi16ELi16ELi32ELi32ELi8ELi32ELi8ELi8ELi32ELc67ELc67EKPKfS3_KPfEEvlllT_PT11_llS8_llS6_PT12_llPT13_lli, .Lfunc_end189-_ZN12_GLOBAL__N_127rocblas_gemm_batched_kernelIfLi16ELi16ELi32ELi32ELi8ELi32ELi8ELi8ELi32ELc67ELc67EKPKfS3_KPfEEvlllT_PT11_llS8_llS6_PT12_llPT13_lli
                                        ; -- End function
	.section	.AMDGPU.csdata,"",@progbits
; Kernel info:
; codeLenInByte = 1516
; NumSgprs: 40
; NumVgprs: 70
; NumAgprs: 0
; TotalNumVgprs: 70
; ScratchSize: 0
; MemoryBound: 0
; FloatMode: 240
; IeeeMode: 1
; LDSByteSize: 2048 bytes/workgroup (compile time only)
; SGPRBlocks: 4
; VGPRBlocks: 8
; NumSGPRsForWavesPerEU: 40
; NumVGPRsForWavesPerEU: 70
; AccumOffset: 72
; Occupancy: 7
; WaveLimiterHint : 1
; COMPUTE_PGM_RSRC2:SCRATCH_EN: 0
; COMPUTE_PGM_RSRC2:USER_SGPR: 6
; COMPUTE_PGM_RSRC2:TRAP_HANDLER: 0
; COMPUTE_PGM_RSRC2:TGID_X_EN: 1
; COMPUTE_PGM_RSRC2:TGID_Y_EN: 1
; COMPUTE_PGM_RSRC2:TGID_Z_EN: 1
; COMPUTE_PGM_RSRC2:TIDIG_COMP_CNT: 1
; COMPUTE_PGM_RSRC3_GFX90A:ACCUM_OFFSET: 17
; COMPUTE_PGM_RSRC3_GFX90A:TG_SPLIT: 0
	.section	.text._ZN12_GLOBAL__N_127rocblas_gemm_batched_kernelIfLi16ELi16ELi32ELi32ELi8ELi32ELi8ELi8ELi32ELc67ELc78EKPKfS3_KPfEEvlllT_PT11_llS8_llS6_PT12_llPT13_lli,"axG",@progbits,_ZN12_GLOBAL__N_127rocblas_gemm_batched_kernelIfLi16ELi16ELi32ELi32ELi8ELi32ELi8ELi8ELi32ELc67ELc78EKPKfS3_KPfEEvlllT_PT11_llS8_llS6_PT12_llPT13_lli,comdat
	.globl	_ZN12_GLOBAL__N_127rocblas_gemm_batched_kernelIfLi16ELi16ELi32ELi32ELi8ELi32ELi8ELi8ELi32ELc67ELc78EKPKfS3_KPfEEvlllT_PT11_llS8_llS6_PT12_llPT13_lli ; -- Begin function _ZN12_GLOBAL__N_127rocblas_gemm_batched_kernelIfLi16ELi16ELi32ELi32ELi8ELi32ELi8ELi8ELi32ELc67ELc78EKPKfS3_KPfEEvlllT_PT11_llS8_llS6_PT12_llPT13_lli
	.p2align	8
	.type	_ZN12_GLOBAL__N_127rocblas_gemm_batched_kernelIfLi16ELi16ELi32ELi32ELi8ELi32ELi8ELi8ELi32ELc67ELc78EKPKfS3_KPfEEvlllT_PT11_llS8_llS6_PT12_llPT13_lli,@function
_ZN12_GLOBAL__N_127rocblas_gemm_batched_kernelIfLi16ELi16ELi32ELi32ELi8ELi32ELi8ELi8ELi32ELc67ELc78EKPKfS3_KPfEEvlllT_PT11_llS8_llS6_PT12_llPT13_lli: ; @_ZN12_GLOBAL__N_127rocblas_gemm_batched_kernelIfLi16ELi16ELi32ELi32ELi8ELi32ELi8ELi8ELi32ELc67ELc78EKPKfS3_KPfEEvlllT_PT11_llS8_llS6_PT12_llPT13_lli
; %bb.0:
	s_load_dwordx2 s[30:31], s[4:5], 0x10
	s_load_dwordx4 s[0:3], s[4:5], 0x78
	s_load_dwordx8 s[12:19], s[4:5], 0x58
	s_mov_b32 s9, 0
	s_lshl_b64 s[34:35], s[8:9], 3
	s_mov_b32 s10, s7
	v_bfe_u32 v11, v0, 10, 10
	s_waitcnt lgkmcnt(0)
	s_add_u32 s8, s12, s34
	s_addc_u32 s9, s13, s35
	s_load_dwordx2 s[12:13], s[8:9], 0x0
	s_add_u32 s8, s18, s34
	s_addc_u32 s9, s19, s35
	s_load_dwordx2 s[18:19], s[8:9], 0x0
	s_ashr_i32 s7, s6, 31
	s_ashr_i32 s11, s10, 31
	v_cmp_lt_i64_e64 s[8:9], s[30:31], 1
	v_and_b32_e32 v10, 0x3ff, v0
	s_lshl_b64 s[6:7], s[6:7], 5
	s_lshl_b64 s[28:29], s[10:11], 5
	s_and_b64 vcc, exec, s[8:9]
	s_cbranch_vccnz .LBB190_3
; %bb.1:
	s_load_dwordx8 s[20:27], s[4:5], 0x20
	s_load_dwordx4 s[8:11], s[4:5], 0x40
	v_lshl_add_u32 v0, v11, 4, v10
	v_and_b32_e32 v4, 7, v10
	v_and_b32_e32 v6, 31, v0
	v_lshrrev_b32_e32 v1, 3, v0
	v_lshrrev_b32_e32 v7, 5, v0
	v_lshlrev_b32_e32 v0, 2, v6
	v_lshlrev_b32_e32 v4, 2, v4
	s_waitcnt lgkmcnt(0)
	s_add_u32 s20, s20, s34
	v_mov_b32_e32 v2, s29
	v_add_co_u32_e32 v3, vcc, s28, v1
	v_lshl_or_b32 v12, v7, 7, v0
	v_lshl_or_b32 v0, v1, 5, v4
	s_addc_u32 s21, s21, s35
	v_addc_co_u32_e32 v2, vcc, 0, v2, vcc
	v_add_u32_e32 v13, 0x400, v0
	v_mov_b32_e32 v0, 0x400
	s_add_u32 s26, s26, s34
	v_lshl_add_u32 v15, v11, 5, v0
	v_mul_lo_u32 v5, s9, v3
	v_mul_lo_u32 v2, s8, v2
	v_mad_u64_u32 v[0:1], s[8:9], s8, v3, 0
	s_addc_u32 s27, s27, s35
	v_add3_u32 v1, v1, v2, v5
	s_load_dwordx2 s[26:27], s[26:27], 0x0
	v_lshlrev_b64 v[0:1], 2, v[0:1]
	s_lshl_b64 s[8:9], s[10:11], 2
	v_mov_b32_e32 v2, s9
	v_add_co_u32_e32 v0, vcc, s8, v0
	v_addc_co_u32_e32 v1, vcc, v1, v2, vcc
	v_add_co_u32_e32 v0, vcc, v0, v4
	v_addc_co_u32_e32 v1, vcc, 0, v1, vcc
	s_waitcnt lgkmcnt(0)
	v_mov_b32_e32 v2, s27
	v_add_co_u32_e32 v4, vcc, s26, v0
	v_addc_co_u32_e32 v5, vcc, v2, v1, vcc
	v_mov_b32_e32 v0, s7
	v_add_co_u32_e32 v1, vcc, s6, v6
	v_addc_co_u32_e32 v0, vcc, 0, v0, vcc
	v_mul_lo_u32 v2, s23, v1
	v_mul_lo_u32 v3, s22, v0
	v_mad_u64_u32 v[0:1], s[8:9], s22, v1, 0
	v_add3_u32 v1, v1, v3, v2
	s_load_dwordx2 s[20:21], s[20:21], 0x0
	v_lshlrev_b64 v[0:1], 2, v[0:1]
	s_lshl_b64 s[8:9], s[24:25], 2
	v_mov_b32_e32 v2, s9
	v_add_co_u32_e32 v0, vcc, s8, v0
	v_addc_co_u32_e32 v1, vcc, v1, v2, vcc
	v_lshlrev_b32_e32 v2, 2, v7
	v_add_co_u32_e32 v0, vcc, v0, v2
	v_addc_co_u32_e32 v1, vcc, 0, v1, vcc
	s_waitcnt lgkmcnt(0)
	v_mov_b32_e32 v2, s21
	v_add_co_u32_e32 v6, vcc, s20, v0
	v_mov_b32_e32 v0, 0
	v_lshlrev_b32_e32 v14, 2, v10
	v_addc_co_u32_e32 v7, vcc, v2, v1, vcc
	s_mov_b64 s[8:9], 0
	v_pk_mov_b32 v[8:9], s[30:31], s[30:31] op_sel:[0,1]
	v_mov_b32_e32 v1, v0
	v_mov_b32_e32 v2, v0
	;; [unrolled: 1-line block ×3, first 2 shown]
.LBB190_2:                              ; =>This Inner Loop Header: Depth=1
	global_load_dword v16, v[6:7], off
	global_load_dword v17, v[4:5], off
	v_add_co_u32_e32 v4, vcc, 32, v4
	v_addc_co_u32_e32 v5, vcc, 0, v5, vcc
	s_add_u32 s8, s8, 8
	v_add_co_u32_e32 v6, vcc, 32, v6
	v_addc_co_u32_e32 v7, vcc, 0, v7, vcc
	s_addc_u32 s9, s9, 0
	v_cmp_lt_i64_e32 vcc, s[8:9], v[8:9]
	s_and_b64 vcc, exec, vcc
	s_waitcnt vmcnt(1)
	ds_write_b32 v12, v16
	s_waitcnt vmcnt(0)
	ds_write_b32 v13, v17
	s_waitcnt lgkmcnt(0)
	s_barrier
	ds_read2_b32 v[32:33], v14 offset1:16
	ds_read2_b32 v[34:35], v14 offset0:32 offset1:48
	ds_read_b128 v[16:19], v15
	ds_read_b128 v[20:23], v15 offset:16
	ds_read2_b32 v[36:37], v14 offset0:64 offset1:80
	ds_read2_b32 v[38:39], v14 offset0:96 offset1:112
	;; [unrolled: 1-line block ×4, first 2 shown]
	ds_read_b128 v[24:27], v15 offset:512
	ds_read_b128 v[28:31], v15 offset:528
	ds_read2_b32 v[44:45], v14 offset0:192 offset1:208
	ds_read2_b32 v[46:47], v14 offset0:224 offset1:240
	s_waitcnt lgkmcnt(11)
	v_mov_b32_e32 v50, v33
	s_waitcnt lgkmcnt(10)
	v_mov_b32_e32 v51, v35
	s_waitcnt lgkmcnt(9)
	v_mul_f32_e32 v49, v32, v16
	v_mul_f32_e32 v33, v34, v17
	s_waitcnt lgkmcnt(3)
	v_mul_f32_e32 v35, v32, v24
	v_mul_f32_e32 v53, v34, v25
	v_pk_mul_f32 v[16:17], v[50:51], v[16:17]
	v_pk_mul_f32 v[24:25], v[50:51], v[24:25]
	v_mov_b32_e32 v56, v37
	v_mov_b32_e32 v57, v39
	;; [unrolled: 1-line block ×4, first 2 shown]
	v_mul_f32_e32 v55, v36, v18
	v_mul_f32_e32 v37, v38, v19
	;; [unrolled: 1-line block ×4, first 2 shown]
	v_pk_mul_f32 v[18:19], v[56:57], v[18:19]
	v_pk_mul_f32 v[26:27], v[56:57], v[26:27]
	v_mov_b32_e32 v32, v17
	v_mov_b32_e32 v52, v25
	v_pk_add_f32 v[2:3], v[2:3], v[48:49]
	v_pk_add_f32 v[0:1], v[0:1], v[34:35]
	v_mov_b32_e32 v50, v41
	v_mov_b32_e32 v51, v43
	;; [unrolled: 1-line block ×4, first 2 shown]
	v_pk_add_f32 v[2:3], v[2:3], v[32:33]
	v_pk_add_f32 v[0:1], v[0:1], v[52:53]
	v_mul_f32_e32 v61, v40, v20
	s_waitcnt lgkmcnt(0)
	v_mov_b32_e32 v57, v47
	v_mul_f32_e32 v41, v42, v21
	v_pk_mul_f32 v[20:21], v[50:51], v[20:21]
	v_mul_f32_e32 v47, v40, v28
	v_mul_f32_e32 v63, v42, v29
	v_pk_mul_f32 v[28:29], v[50:51], v[28:29]
	v_mov_b32_e32 v36, v19
	v_mov_b32_e32 v58, v27
	v_pk_add_f32 v[2:3], v[2:3], v[54:55]
	v_pk_add_f32 v[0:1], v[0:1], v[38:39]
	v_mov_b32_e32 v56, v45
	v_mul_f32_e32 v45, v46, v23
	v_mul_f32_e32 v67, v46, v31
	v_mov_b32_e32 v60, v20
	v_mov_b32_e32 v46, v28
	v_pk_add_f32 v[2:3], v[2:3], v[36:37]
	v_pk_add_f32 v[0:1], v[0:1], v[58:59]
	v_mul_f32_e32 v43, v44, v22
	v_pk_mul_f32 v[22:23], v[56:57], v[22:23]
	v_mul_f32_e32 v65, v44, v30
	v_pk_mul_f32 v[30:31], v[56:57], v[30:31]
	v_mov_b32_e32 v40, v21
	v_mov_b32_e32 v62, v29
	v_pk_add_f32 v[2:3], v[2:3], v[60:61]
	v_pk_add_f32 v[0:1], v[0:1], v[46:47]
	v_mov_b32_e32 v42, v22
	v_mov_b32_e32 v64, v30
	v_pk_add_f32 v[2:3], v[2:3], v[40:41]
	v_pk_add_f32 v[0:1], v[0:1], v[62:63]
	;; [unrolled: 4-line block ×3, first 2 shown]
	v_pk_add_f32 v[2:3], v[2:3], v[44:45]
	v_pk_add_f32 v[0:1], v[0:1], v[66:67]
	s_barrier
	s_cbranch_vccnz .LBB190_2
	s_branch .LBB190_4
.LBB190_3:
	v_mov_b32_e32 v3, 0
	v_mov_b32_e32 v2, v3
	;; [unrolled: 1-line block ×4, first 2 shown]
.LBB190_4:
	s_load_dword s8, s[4:5], 0x18
	s_load_dword s9, s[4:5], 0x50
	v_mov_b32_e32 v4, s29
	v_add_co_u32_e32 v6, vcc, s28, v11
	s_lshl_b64 s[2:3], s[2:3], 2
	v_addc_co_u32_e32 v9, vcc, 0, v4, vcc
	s_waitcnt lgkmcnt(0)
	s_add_u32 s4, s18, s2
	v_mov_b32_e32 v5, s7
	v_add_co_u32_e32 v4, vcc, s6, v10
	s_addc_u32 s5, s19, s3
	v_cmp_neq_f32_e64 s[2:3], s9, 0
	v_addc_co_u32_e32 v5, vcc, 0, v5, vcc
	s_and_b64 vcc, exec, s[2:3]
	v_mul_lo_u32 v7, v9, s0
	v_mul_lo_u32 v8, v6, s1
	v_lshlrev_b64 v[4:5], 2, v[4:5]
	s_cbranch_vccnz .LBB190_8
; %bb.5:
	v_mad_u64_u32 v[10:11], s[2:3], v6, s0, 0
	v_add3_u32 v11, v11, v8, v7
	v_lshlrev_b64 v[10:11], 2, v[10:11]
	v_mov_b32_e32 v12, s5
	v_add_co_u32_e32 v10, vcc, s4, v10
	v_addc_co_u32_e32 v11, vcc, v12, v11, vcc
	v_add_co_u32_e32 v10, vcc, v10, v4
	v_mul_f32_e32 v12, s8, v3
	v_addc_co_u32_e32 v11, vcc, v11, v5, vcc
	global_store_dword v[10:11], v12, off
	v_mul_f32_e32 v12, s8, v2
	s_lshl_b64 s[2:3], s[0:1], 6
	global_store_dword v[10:11], v12, off offset:64
	v_mov_b32_e32 v13, s3
	v_add_co_u32_e32 v10, vcc, s2, v10
	v_mul_f32_e32 v12, s8, v1
	v_addc_co_u32_e32 v11, vcc, v11, v13, vcc
	global_store_dword v[10:11], v12, off
	v_mul_f32_e32 v12, s8, v0
	global_store_dword v[10:11], v12, off offset:64
	s_cbranch_execnz .LBB190_7
.LBB190_6:
	s_lshl_b64 s[2:3], s[16:17], 2
	s_add_u32 s6, s12, s2
	s_addc_u32 s7, s13, s3
	v_mul_lo_u32 v9, v9, s14
	v_mul_lo_u32 v12, v6, s15
	v_mad_u64_u32 v[10:11], s[2:3], v6, s14, 0
	v_add3_u32 v11, v11, v12, v9
	v_lshlrev_b64 v[10:11], 2, v[10:11]
	v_mov_b32_e32 v9, s7
	v_add_co_u32_e32 v10, vcc, s6, v10
	v_addc_co_u32_e32 v9, vcc, v9, v11, vcc
	v_add_co_u32_e32 v10, vcc, v10, v4
	v_addc_co_u32_e32 v11, vcc, v9, v5, vcc
	global_load_dword v9, v[10:11], off
	v_mad_u64_u32 v[12:13], s[2:3], v6, s0, 0
	v_add3_u32 v13, v13, v8, v7
	v_lshlrev_b64 v[6:7], 2, v[12:13]
	v_mov_b32_e32 v14, s5
	v_add_co_u32_e32 v6, vcc, s4, v6
	v_addc_co_u32_e32 v7, vcc, v14, v7, vcc
	v_add_co_u32_e32 v4, vcc, v6, v4
	v_addc_co_u32_e32 v5, vcc, v7, v5, vcc
	s_lshl_b64 s[2:3], s[14:15], 6
	v_mov_b32_e32 v7, s3
	s_lshl_b64 s[0:1], s[0:1], 6
	s_waitcnt vmcnt(0)
	v_mul_f32_e32 v6, s9, v9
	v_fmac_f32_e32 v6, s8, v3
	global_store_dword v[4:5], v6, off
	global_load_dword v3, v[10:11], off offset:64
	v_add_co_u32_e32 v6, vcc, s2, v10
	v_addc_co_u32_e32 v7, vcc, v11, v7, vcc
	s_waitcnt vmcnt(0)
	v_mul_f32_e32 v3, s9, v3
	v_fmac_f32_e32 v3, s8, v2
	global_store_dword v[4:5], v3, off offset:64
	global_load_dword v2, v[6:7], off
	v_mov_b32_e32 v3, s1
	s_waitcnt vmcnt(0)
	v_mul_f32_e32 v8, s9, v2
	v_add_co_u32_e32 v2, vcc, s0, v4
	v_fmac_f32_e32 v8, s8, v1
	v_addc_co_u32_e32 v3, vcc, v5, v3, vcc
	global_store_dword v[2:3], v8, off
	global_load_dword v1, v[6:7], off offset:64
	s_waitcnt vmcnt(0)
	v_mul_f32_e32 v1, s9, v1
	v_fmac_f32_e32 v1, s8, v0
	global_store_dword v[2:3], v1, off offset:64
.LBB190_7:
	s_endpgm
.LBB190_8:
	s_branch .LBB190_6
	.section	.rodata,"a",@progbits
	.p2align	6, 0x0
	.amdhsa_kernel _ZN12_GLOBAL__N_127rocblas_gemm_batched_kernelIfLi16ELi16ELi32ELi32ELi8ELi32ELi8ELi8ELi32ELc67ELc78EKPKfS3_KPfEEvlllT_PT11_llS8_llS6_PT12_llPT13_lli
		.amdhsa_group_segment_fixed_size 2048
		.amdhsa_private_segment_fixed_size 0
		.amdhsa_kernarg_size 140
		.amdhsa_user_sgpr_count 6
		.amdhsa_user_sgpr_private_segment_buffer 1
		.amdhsa_user_sgpr_dispatch_ptr 0
		.amdhsa_user_sgpr_queue_ptr 0
		.amdhsa_user_sgpr_kernarg_segment_ptr 1
		.amdhsa_user_sgpr_dispatch_id 0
		.amdhsa_user_sgpr_flat_scratch_init 0
		.amdhsa_user_sgpr_kernarg_preload_length 0
		.amdhsa_user_sgpr_kernarg_preload_offset 0
		.amdhsa_user_sgpr_private_segment_size 0
		.amdhsa_uses_dynamic_stack 0
		.amdhsa_system_sgpr_private_segment_wavefront_offset 0
		.amdhsa_system_sgpr_workgroup_id_x 1
		.amdhsa_system_sgpr_workgroup_id_y 1
		.amdhsa_system_sgpr_workgroup_id_z 1
		.amdhsa_system_sgpr_workgroup_info 0
		.amdhsa_system_vgpr_workitem_id 1
		.amdhsa_next_free_vgpr 68
		.amdhsa_next_free_sgpr 36
		.amdhsa_accum_offset 68
		.amdhsa_reserve_vcc 1
		.amdhsa_reserve_flat_scratch 0
		.amdhsa_float_round_mode_32 0
		.amdhsa_float_round_mode_16_64 0
		.amdhsa_float_denorm_mode_32 3
		.amdhsa_float_denorm_mode_16_64 3
		.amdhsa_dx10_clamp 1
		.amdhsa_ieee_mode 1
		.amdhsa_fp16_overflow 0
		.amdhsa_tg_split 0
		.amdhsa_exception_fp_ieee_invalid_op 0
		.amdhsa_exception_fp_denorm_src 0
		.amdhsa_exception_fp_ieee_div_zero 0
		.amdhsa_exception_fp_ieee_overflow 0
		.amdhsa_exception_fp_ieee_underflow 0
		.amdhsa_exception_fp_ieee_inexact 0
		.amdhsa_exception_int_div_zero 0
	.end_amdhsa_kernel
	.section	.text._ZN12_GLOBAL__N_127rocblas_gemm_batched_kernelIfLi16ELi16ELi32ELi32ELi8ELi32ELi8ELi8ELi32ELc67ELc78EKPKfS3_KPfEEvlllT_PT11_llS8_llS6_PT12_llPT13_lli,"axG",@progbits,_ZN12_GLOBAL__N_127rocblas_gemm_batched_kernelIfLi16ELi16ELi32ELi32ELi8ELi32ELi8ELi8ELi32ELc67ELc78EKPKfS3_KPfEEvlllT_PT11_llS8_llS6_PT12_llPT13_lli,comdat
.Lfunc_end190:
	.size	_ZN12_GLOBAL__N_127rocblas_gemm_batched_kernelIfLi16ELi16ELi32ELi32ELi8ELi32ELi8ELi8ELi32ELc67ELc78EKPKfS3_KPfEEvlllT_PT11_llS8_llS6_PT12_llPT13_lli, .Lfunc_end190-_ZN12_GLOBAL__N_127rocblas_gemm_batched_kernelIfLi16ELi16ELi32ELi32ELi8ELi32ELi8ELi8ELi32ELc67ELc78EKPKfS3_KPfEEvlllT_PT11_llS8_llS6_PT12_llPT13_lli
                                        ; -- End function
	.section	.AMDGPU.csdata,"",@progbits
; Kernel info:
; codeLenInByte = 1516
; NumSgprs: 40
; NumVgprs: 68
; NumAgprs: 0
; TotalNumVgprs: 68
; ScratchSize: 0
; MemoryBound: 0
; FloatMode: 240
; IeeeMode: 1
; LDSByteSize: 2048 bytes/workgroup (compile time only)
; SGPRBlocks: 4
; VGPRBlocks: 8
; NumSGPRsForWavesPerEU: 40
; NumVGPRsForWavesPerEU: 68
; AccumOffset: 68
; Occupancy: 7
; WaveLimiterHint : 1
; COMPUTE_PGM_RSRC2:SCRATCH_EN: 0
; COMPUTE_PGM_RSRC2:USER_SGPR: 6
; COMPUTE_PGM_RSRC2:TRAP_HANDLER: 0
; COMPUTE_PGM_RSRC2:TGID_X_EN: 1
; COMPUTE_PGM_RSRC2:TGID_Y_EN: 1
; COMPUTE_PGM_RSRC2:TGID_Z_EN: 1
; COMPUTE_PGM_RSRC2:TIDIG_COMP_CNT: 1
; COMPUTE_PGM_RSRC3_GFX90A:ACCUM_OFFSET: 16
; COMPUTE_PGM_RSRC3_GFX90A:TG_SPLIT: 0
	.section	.text._ZN12_GLOBAL__N_127rocblas_gemm_batched_kernelIfLi16ELi16ELi32ELi32ELi8ELi32ELi8ELi8ELi32ELc67ELc84EKPKfS3_KPfEEvlllT_PT11_llS8_llS6_PT12_llPT13_lli,"axG",@progbits,_ZN12_GLOBAL__N_127rocblas_gemm_batched_kernelIfLi16ELi16ELi32ELi32ELi8ELi32ELi8ELi8ELi32ELc67ELc84EKPKfS3_KPfEEvlllT_PT11_llS8_llS6_PT12_llPT13_lli,comdat
	.globl	_ZN12_GLOBAL__N_127rocblas_gemm_batched_kernelIfLi16ELi16ELi32ELi32ELi8ELi32ELi8ELi8ELi32ELc67ELc84EKPKfS3_KPfEEvlllT_PT11_llS8_llS6_PT12_llPT13_lli ; -- Begin function _ZN12_GLOBAL__N_127rocblas_gemm_batched_kernelIfLi16ELi16ELi32ELi32ELi8ELi32ELi8ELi8ELi32ELc67ELc84EKPKfS3_KPfEEvlllT_PT11_llS8_llS6_PT12_llPT13_lli
	.p2align	8
	.type	_ZN12_GLOBAL__N_127rocblas_gemm_batched_kernelIfLi16ELi16ELi32ELi32ELi8ELi32ELi8ELi8ELi32ELc67ELc84EKPKfS3_KPfEEvlllT_PT11_llS8_llS6_PT12_llPT13_lli,@function
_ZN12_GLOBAL__N_127rocblas_gemm_batched_kernelIfLi16ELi16ELi32ELi32ELi8ELi32ELi8ELi8ELi32ELc67ELc84EKPKfS3_KPfEEvlllT_PT11_llS8_llS6_PT12_llPT13_lli: ; @_ZN12_GLOBAL__N_127rocblas_gemm_batched_kernelIfLi16ELi16ELi32ELi32ELi8ELi32ELi8ELi8ELi32ELc67ELc84EKPKfS3_KPfEEvlllT_PT11_llS8_llS6_PT12_llPT13_lli
; %bb.0:
	s_load_dwordx2 s[30:31], s[4:5], 0x10
	s_load_dwordx4 s[0:3], s[4:5], 0x78
	s_load_dwordx8 s[12:19], s[4:5], 0x58
	s_mov_b32 s9, 0
	s_lshl_b64 s[34:35], s[8:9], 3
	s_mov_b32 s10, s7
	v_bfe_u32 v11, v0, 10, 10
	s_waitcnt lgkmcnt(0)
	s_add_u32 s8, s12, s34
	s_addc_u32 s9, s13, s35
	s_load_dwordx2 s[12:13], s[8:9], 0x0
	s_add_u32 s8, s18, s34
	s_addc_u32 s9, s19, s35
	s_load_dwordx2 s[18:19], s[8:9], 0x0
	s_ashr_i32 s7, s6, 31
	s_ashr_i32 s11, s10, 31
	v_cmp_lt_i64_e64 s[8:9], s[30:31], 1
	v_and_b32_e32 v10, 0x3ff, v0
	s_lshl_b64 s[6:7], s[6:7], 5
	s_lshl_b64 s[28:29], s[10:11], 5
	s_and_b64 vcc, exec, s[8:9]
	s_cbranch_vccnz .LBB191_3
; %bb.1:
	s_load_dwordx8 s[20:27], s[4:5], 0x20
	s_load_dwordx4 s[8:11], s[4:5], 0x40
	v_lshl_add_u32 v2, v11, 4, v10
	v_and_b32_e32 v6, 31, v2
	v_lshrrev_b32_e32 v0, 3, v2
	s_waitcnt lgkmcnt(0)
	s_add_u32 s20, s20, s34
	s_addc_u32 s21, s21, s35
	v_and_b32_e32 v4, 7, v10
	v_lshrrev_b32_e32 v7, 5, v2
	v_lshlrev_b32_e32 v2, 2, v6
	s_add_u32 s26, s26, s34
	v_lshl_or_b32 v12, v7, 7, v2
	v_lshlrev_b32_e32 v2, 2, v4
	s_addc_u32 s27, s27, s35
	v_lshl_or_b32 v2, v0, 5, v2
	s_load_dwordx2 s[26:27], s[26:27], 0x0
	v_mov_b32_e32 v1, 0
	v_add_u32_e32 v13, 0x400, v2
	v_mov_b32_e32 v2, 0x400
	v_lshl_add_u32 v15, v11, 5, v2
	v_mad_u64_u32 v[2:3], s[34:35], v4, s8, v[0:1]
	v_mov_b32_e32 v0, v3
	v_mad_u64_u32 v[4:5], s[34:35], v4, s9, v[0:1]
	s_lshl_b64 s[10:11], s[10:11], 2
	v_mov_b32_e32 v3, v4
	v_mov_b32_e32 v0, s29
	v_add_co_u32_e32 v2, vcc, s28, v2
	v_addc_co_u32_e32 v3, vcc, v3, v0, vcc
	s_waitcnt lgkmcnt(0)
	s_add_u32 s10, s26, s10
	v_lshlrev_b64 v[2:3], 2, v[2:3]
	s_addc_u32 s11, s27, s11
	v_mov_b32_e32 v0, s11
	v_add_co_u32_e32 v4, vcc, s10, v2
	v_addc_co_u32_e32 v5, vcc, v0, v3, vcc
	v_mov_b32_e32 v0, s7
	v_add_co_u32_e32 v2, vcc, s6, v6
	v_addc_co_u32_e32 v0, vcc, 0, v0, vcc
	v_mul_lo_u32 v6, s23, v2
	v_mul_lo_u32 v0, s22, v0
	v_mad_u64_u32 v[2:3], s[10:11], s22, v2, 0
	v_add3_u32 v3, v3, v0, v6
	s_load_dwordx2 s[20:21], s[20:21], 0x0
	v_lshlrev_b64 v[2:3], 2, v[2:3]
	s_lshl_b64 s[10:11], s[24:25], 2
	v_mov_b32_e32 v0, s11
	v_add_co_u32_e32 v2, vcc, s10, v2
	v_addc_co_u32_e32 v0, vcc, v3, v0, vcc
	v_lshlrev_b32_e32 v3, 2, v7
	v_add_co_u32_e32 v2, vcc, v2, v3
	v_addc_co_u32_e32 v0, vcc, 0, v0, vcc
	s_lshl_b64 s[8:9], s[8:9], 5
	s_waitcnt lgkmcnt(0)
	v_mov_b32_e32 v3, s21
	v_add_co_u32_e32 v6, vcc, s20, v2
	v_lshlrev_b32_e32 v14, 2, v10
	v_addc_co_u32_e32 v7, vcc, v3, v0, vcc
	s_mov_b64 s[10:11], 0
	v_mov_b32_e32 v16, s9
	v_pk_mov_b32 v[8:9], s[30:31], s[30:31] op_sel:[0,1]
	v_mov_b32_e32 v0, v1
	v_mov_b32_e32 v2, v1
	;; [unrolled: 1-line block ×3, first 2 shown]
.LBB191_2:                              ; =>This Inner Loop Header: Depth=1
	global_load_dword v17, v[6:7], off
	global_load_dword v18, v[4:5], off
	v_add_co_u32_e32 v4, vcc, s8, v4
	v_addc_co_u32_e32 v5, vcc, v5, v16, vcc
	s_add_u32 s10, s10, 8
	v_add_co_u32_e32 v6, vcc, 32, v6
	v_addc_co_u32_e32 v7, vcc, 0, v7, vcc
	s_addc_u32 s11, s11, 0
	v_cmp_lt_i64_e32 vcc, s[10:11], v[8:9]
	s_and_b64 vcc, exec, vcc
	s_waitcnt vmcnt(1)
	ds_write_b32 v12, v17
	s_waitcnt vmcnt(0)
	ds_write_b32 v13, v18
	s_waitcnt lgkmcnt(0)
	s_barrier
	ds_read2_b32 v[34:35], v14 offset1:16
	ds_read2_b32 v[36:37], v14 offset0:32 offset1:48
	ds_read_b128 v[18:21], v15
	ds_read_b128 v[22:25], v15 offset:16
	ds_read2_b32 v[38:39], v14 offset0:64 offset1:80
	ds_read2_b32 v[40:41], v14 offset0:96 offset1:112
	;; [unrolled: 1-line block ×4, first 2 shown]
	ds_read_b128 v[26:29], v15 offset:512
	ds_read_b128 v[30:33], v15 offset:528
	ds_read2_b32 v[46:47], v14 offset0:192 offset1:208
	s_waitcnt lgkmcnt(10)
	v_mov_b32_e32 v50, v35
	s_waitcnt lgkmcnt(9)
	v_mov_b32_e32 v51, v37
	s_waitcnt lgkmcnt(8)
	v_mul_f32_e32 v49, v34, v18
	v_mul_f32_e32 v35, v36, v19
	s_waitcnt lgkmcnt(5)
	v_mov_b32_e32 v53, v41
	v_pk_mul_f32 v[18:19], v[50:51], v[18:19]
	ds_read2_b32 v[54:55], v14 offset0:224 offset1:240
	s_waitcnt lgkmcnt(3)
	v_mul_f32_e32 v41, v34, v26
	v_mul_f32_e32 v57, v36, v27
	v_pk_mul_f32 v[26:27], v[50:51], v[26:27]
	v_mov_b32_e32 v52, v39
	v_mul_f32_e32 v39, v40, v21
	v_mul_f32_e32 v61, v40, v29
	v_mov_b32_e32 v48, v18
	v_mov_b32_e32 v40, v26
	v_mul_f32_e32 v37, v38, v20
	v_pk_mul_f32 v[20:21], v[52:53], v[20:21]
	v_mul_f32_e32 v59, v38, v28
	v_pk_mul_f32 v[28:29], v[52:53], v[28:29]
	v_mov_b32_e32 v34, v19
	v_mov_b32_e32 v56, v27
	v_pk_add_f32 v[2:3], v[2:3], v[48:49]
	v_pk_add_f32 v[0:1], v[0:1], v[40:41]
	v_mov_b32_e32 v50, v43
	v_mov_b32_e32 v51, v45
	;; [unrolled: 1-line block ×4, first 2 shown]
	v_pk_add_f32 v[2:3], v[2:3], v[34:35]
	v_pk_add_f32 v[0:1], v[0:1], v[56:57]
	v_mul_f32_e32 v43, v42, v22
	v_mul_f32_e32 v45, v44, v23
	v_pk_mul_f32 v[22:23], v[50:51], v[22:23]
	s_waitcnt lgkmcnt(2)
	v_mul_f32_e32 v63, v42, v30
	v_mul_f32_e32 v65, v44, v31
	v_pk_mul_f32 v[30:31], v[50:51], v[30:31]
	v_mov_b32_e32 v38, v21
	v_mov_b32_e32 v60, v29
	v_pk_add_f32 v[2:3], v[2:3], v[36:37]
	v_pk_add_f32 v[0:1], v[0:1], v[58:59]
	s_waitcnt lgkmcnt(1)
	v_mov_b32_e32 v52, v47
	s_waitcnt lgkmcnt(0)
	v_mov_b32_e32 v53, v55
	v_mov_b32_e32 v42, v22
	;; [unrolled: 1-line block ×3, first 2 shown]
	v_pk_add_f32 v[2:3], v[2:3], v[38:39]
	v_pk_add_f32 v[0:1], v[0:1], v[60:61]
	v_mul_f32_e32 v47, v46, v24
	v_mul_f32_e32 v55, v54, v25
	v_pk_mul_f32 v[24:25], v[52:53], v[24:25]
	v_mul_f32_e32 v67, v46, v32
	v_mul_f32_e32 v69, v54, v33
	v_pk_mul_f32 v[32:33], v[52:53], v[32:33]
	v_mov_b32_e32 v44, v23
	v_mov_b32_e32 v64, v31
	v_pk_add_f32 v[2:3], v[2:3], v[42:43]
	v_pk_add_f32 v[0:1], v[0:1], v[62:63]
	v_mov_b32_e32 v46, v24
	v_mov_b32_e32 v66, v32
	v_pk_add_f32 v[2:3], v[2:3], v[44:45]
	v_pk_add_f32 v[0:1], v[0:1], v[64:65]
	;; [unrolled: 4-line block ×3, first 2 shown]
	v_pk_add_f32 v[2:3], v[2:3], v[54:55]
	v_pk_add_f32 v[0:1], v[0:1], v[68:69]
	s_barrier
	s_cbranch_vccnz .LBB191_2
	s_branch .LBB191_4
.LBB191_3:
	v_mov_b32_e32 v3, 0
	v_mov_b32_e32 v2, v3
	;; [unrolled: 1-line block ×4, first 2 shown]
.LBB191_4:
	s_load_dword s8, s[4:5], 0x18
	s_load_dword s9, s[4:5], 0x50
	v_mov_b32_e32 v4, s29
	v_add_co_u32_e32 v6, vcc, s28, v11
	s_lshl_b64 s[2:3], s[2:3], 2
	v_addc_co_u32_e32 v9, vcc, 0, v4, vcc
	s_waitcnt lgkmcnt(0)
	s_add_u32 s4, s18, s2
	v_mov_b32_e32 v5, s7
	v_add_co_u32_e32 v4, vcc, s6, v10
	s_addc_u32 s5, s19, s3
	v_cmp_neq_f32_e64 s[2:3], s9, 0
	v_addc_co_u32_e32 v5, vcc, 0, v5, vcc
	s_and_b64 vcc, exec, s[2:3]
	v_mul_lo_u32 v7, v9, s0
	v_mul_lo_u32 v8, v6, s1
	v_lshlrev_b64 v[4:5], 2, v[4:5]
	s_cbranch_vccnz .LBB191_8
; %bb.5:
	v_mad_u64_u32 v[10:11], s[2:3], v6, s0, 0
	v_add3_u32 v11, v11, v8, v7
	v_lshlrev_b64 v[10:11], 2, v[10:11]
	v_mov_b32_e32 v12, s5
	v_add_co_u32_e32 v10, vcc, s4, v10
	v_addc_co_u32_e32 v11, vcc, v12, v11, vcc
	v_add_co_u32_e32 v10, vcc, v10, v4
	v_mul_f32_e32 v12, s8, v3
	v_addc_co_u32_e32 v11, vcc, v11, v5, vcc
	global_store_dword v[10:11], v12, off
	v_mul_f32_e32 v12, s8, v2
	s_lshl_b64 s[2:3], s[0:1], 6
	global_store_dword v[10:11], v12, off offset:64
	v_mov_b32_e32 v13, s3
	v_add_co_u32_e32 v10, vcc, s2, v10
	v_mul_f32_e32 v12, s8, v1
	v_addc_co_u32_e32 v11, vcc, v11, v13, vcc
	global_store_dword v[10:11], v12, off
	v_mul_f32_e32 v12, s8, v0
	global_store_dword v[10:11], v12, off offset:64
	s_cbranch_execnz .LBB191_7
.LBB191_6:
	s_lshl_b64 s[2:3], s[16:17], 2
	s_add_u32 s6, s12, s2
	s_addc_u32 s7, s13, s3
	v_mul_lo_u32 v9, v9, s14
	v_mul_lo_u32 v12, v6, s15
	v_mad_u64_u32 v[10:11], s[2:3], v6, s14, 0
	v_add3_u32 v11, v11, v12, v9
	v_lshlrev_b64 v[10:11], 2, v[10:11]
	v_mov_b32_e32 v9, s7
	v_add_co_u32_e32 v10, vcc, s6, v10
	v_addc_co_u32_e32 v9, vcc, v9, v11, vcc
	v_add_co_u32_e32 v10, vcc, v10, v4
	v_addc_co_u32_e32 v11, vcc, v9, v5, vcc
	global_load_dword v9, v[10:11], off
	v_mad_u64_u32 v[12:13], s[2:3], v6, s0, 0
	v_add3_u32 v13, v13, v8, v7
	v_lshlrev_b64 v[6:7], 2, v[12:13]
	v_mov_b32_e32 v14, s5
	v_add_co_u32_e32 v6, vcc, s4, v6
	v_addc_co_u32_e32 v7, vcc, v14, v7, vcc
	v_add_co_u32_e32 v4, vcc, v6, v4
	v_addc_co_u32_e32 v5, vcc, v7, v5, vcc
	s_lshl_b64 s[2:3], s[14:15], 6
	v_mov_b32_e32 v7, s3
	s_lshl_b64 s[0:1], s[0:1], 6
	s_waitcnt vmcnt(0)
	v_mul_f32_e32 v6, s9, v9
	v_fmac_f32_e32 v6, s8, v3
	global_store_dword v[4:5], v6, off
	global_load_dword v3, v[10:11], off offset:64
	v_add_co_u32_e32 v6, vcc, s2, v10
	v_addc_co_u32_e32 v7, vcc, v11, v7, vcc
	s_waitcnt vmcnt(0)
	v_mul_f32_e32 v3, s9, v3
	v_fmac_f32_e32 v3, s8, v2
	global_store_dword v[4:5], v3, off offset:64
	global_load_dword v2, v[6:7], off
	v_mov_b32_e32 v3, s1
	s_waitcnt vmcnt(0)
	v_mul_f32_e32 v8, s9, v2
	v_add_co_u32_e32 v2, vcc, s0, v4
	v_fmac_f32_e32 v8, s8, v1
	v_addc_co_u32_e32 v3, vcc, v5, v3, vcc
	global_store_dword v[2:3], v8, off
	global_load_dword v1, v[6:7], off offset:64
	s_waitcnt vmcnt(0)
	v_mul_f32_e32 v1, s9, v1
	v_fmac_f32_e32 v1, s8, v0
	global_store_dword v[2:3], v1, off offset:64
.LBB191_7:
	s_endpgm
.LBB191_8:
	s_branch .LBB191_6
	.section	.rodata,"a",@progbits
	.p2align	6, 0x0
	.amdhsa_kernel _ZN12_GLOBAL__N_127rocblas_gemm_batched_kernelIfLi16ELi16ELi32ELi32ELi8ELi32ELi8ELi8ELi32ELc67ELc84EKPKfS3_KPfEEvlllT_PT11_llS8_llS6_PT12_llPT13_lli
		.amdhsa_group_segment_fixed_size 2048
		.amdhsa_private_segment_fixed_size 0
		.amdhsa_kernarg_size 140
		.amdhsa_user_sgpr_count 6
		.amdhsa_user_sgpr_private_segment_buffer 1
		.amdhsa_user_sgpr_dispatch_ptr 0
		.amdhsa_user_sgpr_queue_ptr 0
		.amdhsa_user_sgpr_kernarg_segment_ptr 1
		.amdhsa_user_sgpr_dispatch_id 0
		.amdhsa_user_sgpr_flat_scratch_init 0
		.amdhsa_user_sgpr_kernarg_preload_length 0
		.amdhsa_user_sgpr_kernarg_preload_offset 0
		.amdhsa_user_sgpr_private_segment_size 0
		.amdhsa_uses_dynamic_stack 0
		.amdhsa_system_sgpr_private_segment_wavefront_offset 0
		.amdhsa_system_sgpr_workgroup_id_x 1
		.amdhsa_system_sgpr_workgroup_id_y 1
		.amdhsa_system_sgpr_workgroup_id_z 1
		.amdhsa_system_sgpr_workgroup_info 0
		.amdhsa_system_vgpr_workitem_id 1
		.amdhsa_next_free_vgpr 70
		.amdhsa_next_free_sgpr 36
		.amdhsa_accum_offset 72
		.amdhsa_reserve_vcc 1
		.amdhsa_reserve_flat_scratch 0
		.amdhsa_float_round_mode_32 0
		.amdhsa_float_round_mode_16_64 0
		.amdhsa_float_denorm_mode_32 3
		.amdhsa_float_denorm_mode_16_64 3
		.amdhsa_dx10_clamp 1
		.amdhsa_ieee_mode 1
		.amdhsa_fp16_overflow 0
		.amdhsa_tg_split 0
		.amdhsa_exception_fp_ieee_invalid_op 0
		.amdhsa_exception_fp_denorm_src 0
		.amdhsa_exception_fp_ieee_div_zero 0
		.amdhsa_exception_fp_ieee_overflow 0
		.amdhsa_exception_fp_ieee_underflow 0
		.amdhsa_exception_fp_ieee_inexact 0
		.amdhsa_exception_int_div_zero 0
	.end_amdhsa_kernel
	.section	.text._ZN12_GLOBAL__N_127rocblas_gemm_batched_kernelIfLi16ELi16ELi32ELi32ELi8ELi32ELi8ELi8ELi32ELc67ELc84EKPKfS3_KPfEEvlllT_PT11_llS8_llS6_PT12_llPT13_lli,"axG",@progbits,_ZN12_GLOBAL__N_127rocblas_gemm_batched_kernelIfLi16ELi16ELi32ELi32ELi8ELi32ELi8ELi8ELi32ELc67ELc84EKPKfS3_KPfEEvlllT_PT11_llS8_llS6_PT12_llPT13_lli,comdat
.Lfunc_end191:
	.size	_ZN12_GLOBAL__N_127rocblas_gemm_batched_kernelIfLi16ELi16ELi32ELi32ELi8ELi32ELi8ELi8ELi32ELc67ELc84EKPKfS3_KPfEEvlllT_PT11_llS8_llS6_PT12_llPT13_lli, .Lfunc_end191-_ZN12_GLOBAL__N_127rocblas_gemm_batched_kernelIfLi16ELi16ELi32ELi32ELi8ELi32ELi8ELi8ELi32ELc67ELc84EKPKfS3_KPfEEvlllT_PT11_llS8_llS6_PT12_llPT13_lli
                                        ; -- End function
	.section	.AMDGPU.csdata,"",@progbits
; Kernel info:
; codeLenInByte = 1516
; NumSgprs: 40
; NumVgprs: 70
; NumAgprs: 0
; TotalNumVgprs: 70
; ScratchSize: 0
; MemoryBound: 0
; FloatMode: 240
; IeeeMode: 1
; LDSByteSize: 2048 bytes/workgroup (compile time only)
; SGPRBlocks: 4
; VGPRBlocks: 8
; NumSGPRsForWavesPerEU: 40
; NumVGPRsForWavesPerEU: 70
; AccumOffset: 72
; Occupancy: 7
; WaveLimiterHint : 1
; COMPUTE_PGM_RSRC2:SCRATCH_EN: 0
; COMPUTE_PGM_RSRC2:USER_SGPR: 6
; COMPUTE_PGM_RSRC2:TRAP_HANDLER: 0
; COMPUTE_PGM_RSRC2:TGID_X_EN: 1
; COMPUTE_PGM_RSRC2:TGID_Y_EN: 1
; COMPUTE_PGM_RSRC2:TGID_Z_EN: 1
; COMPUTE_PGM_RSRC2:TIDIG_COMP_CNT: 1
; COMPUTE_PGM_RSRC3_GFX90A:ACCUM_OFFSET: 17
; COMPUTE_PGM_RSRC3_GFX90A:TG_SPLIT: 0
	.section	.text._ZN12_GLOBAL__N_127rocblas_gemm_batched_kernelIfLi16ELi16ELi32ELi32ELi8ELi32ELi8ELi8ELi32ELc78ELc67EKPKfS3_KPfEEvlllT_PT11_llS8_llS6_PT12_llPT13_lli,"axG",@progbits,_ZN12_GLOBAL__N_127rocblas_gemm_batched_kernelIfLi16ELi16ELi32ELi32ELi8ELi32ELi8ELi8ELi32ELc78ELc67EKPKfS3_KPfEEvlllT_PT11_llS8_llS6_PT12_llPT13_lli,comdat
	.globl	_ZN12_GLOBAL__N_127rocblas_gemm_batched_kernelIfLi16ELi16ELi32ELi32ELi8ELi32ELi8ELi8ELi32ELc78ELc67EKPKfS3_KPfEEvlllT_PT11_llS8_llS6_PT12_llPT13_lli ; -- Begin function _ZN12_GLOBAL__N_127rocblas_gemm_batched_kernelIfLi16ELi16ELi32ELi32ELi8ELi32ELi8ELi8ELi32ELc78ELc67EKPKfS3_KPfEEvlllT_PT11_llS8_llS6_PT12_llPT13_lli
	.p2align	8
	.type	_ZN12_GLOBAL__N_127rocblas_gemm_batched_kernelIfLi16ELi16ELi32ELi32ELi8ELi32ELi8ELi8ELi32ELc78ELc67EKPKfS3_KPfEEvlllT_PT11_llS8_llS6_PT12_llPT13_lli,@function
_ZN12_GLOBAL__N_127rocblas_gemm_batched_kernelIfLi16ELi16ELi32ELi32ELi8ELi32ELi8ELi8ELi32ELc78ELc67EKPKfS3_KPfEEvlllT_PT11_llS8_llS6_PT12_llPT13_lli: ; @_ZN12_GLOBAL__N_127rocblas_gemm_batched_kernelIfLi16ELi16ELi32ELi32ELi8ELi32ELi8ELi8ELi32ELc78ELc67EKPKfS3_KPfEEvlllT_PT11_llS8_llS6_PT12_llPT13_lli
; %bb.0:
	s_load_dwordx2 s[30:31], s[4:5], 0x10
	s_load_dwordx4 s[0:3], s[4:5], 0x78
	s_load_dwordx8 s[12:19], s[4:5], 0x58
	s_mov_b32 s9, 0
	s_lshl_b64 s[34:35], s[8:9], 3
	s_mov_b32 s10, s7
	v_bfe_u32 v11, v0, 10, 10
	s_waitcnt lgkmcnt(0)
	s_add_u32 s8, s12, s34
	s_addc_u32 s9, s13, s35
	s_load_dwordx2 s[12:13], s[8:9], 0x0
	s_add_u32 s8, s18, s34
	s_addc_u32 s9, s19, s35
	s_load_dwordx2 s[18:19], s[8:9], 0x0
	s_ashr_i32 s7, s6, 31
	s_ashr_i32 s11, s10, 31
	v_cmp_lt_i64_e64 s[8:9], s[30:31], 1
	v_and_b32_e32 v10, 0x3ff, v0
	s_lshl_b64 s[6:7], s[6:7], 5
	s_lshl_b64 s[28:29], s[10:11], 5
	s_and_b64 vcc, exec, s[8:9]
	s_cbranch_vccnz .LBB192_3
; %bb.1:
	s_load_dwordx8 s[20:27], s[4:5], 0x20
	s_load_dwordx4 s[8:11], s[4:5], 0x40
	v_lshl_add_u32 v2, v11, 4, v10
	v_and_b32_e32 v8, 31, v2
	v_lshrrev_b32_e32 v0, 3, v2
	s_waitcnt lgkmcnt(0)
	s_add_u32 s20, s20, s34
	s_addc_u32 s21, s21, s35
	v_and_b32_e32 v4, 7, v10
	v_lshrrev_b32_e32 v6, 5, v2
	v_lshlrev_b32_e32 v2, 2, v8
	s_add_u32 s26, s26, s34
	v_lshl_or_b32 v12, v6, 7, v2
	v_lshlrev_b32_e32 v2, 2, v4
	s_addc_u32 s27, s27, s35
	v_lshl_or_b32 v2, v0, 5, v2
	s_load_dwordx2 s[26:27], s[26:27], 0x0
	v_mov_b32_e32 v1, 0
	v_add_u32_e32 v13, 0x400, v2
	v_mov_b32_e32 v2, 0x400
	v_lshl_add_u32 v15, v11, 5, v2
	v_mad_u64_u32 v[2:3], s[34:35], v4, s8, v[0:1]
	v_mov_b32_e32 v0, v3
	v_mad_u64_u32 v[4:5], s[34:35], v4, s9, v[0:1]
	s_lshl_b64 s[10:11], s[10:11], 2
	v_mov_b32_e32 v3, v4
	v_mov_b32_e32 v0, s29
	v_add_co_u32_e32 v2, vcc, s28, v2
	v_addc_co_u32_e32 v3, vcc, v3, v0, vcc
	s_waitcnt lgkmcnt(0)
	s_add_u32 s10, s26, s10
	v_lshlrev_b64 v[2:3], 2, v[2:3]
	s_addc_u32 s11, s27, s11
	v_mov_b32_e32 v0, s11
	v_add_co_u32_e32 v4, vcc, s10, v2
	s_load_dwordx2 s[20:21], s[20:21], 0x0
	v_addc_co_u32_e32 v5, vcc, v0, v3, vcc
	v_pk_mov_b32 v[2:3], s[6:7], s[6:7] op_sel:[0,1]
	s_lshl_b64 s[10:11], s[24:25], 2
	v_mad_u64_u32 v[2:3], s[24:25], v6, s22, v[2:3]
	v_mov_b32_e32 v0, v3
	v_mad_u64_u32 v[6:7], s[24:25], v6, s23, v[0:1]
	s_lshl_b64 s[8:9], s[8:9], 5
	v_mov_b32_e32 v3, v6
	v_add_co_u32_e32 v2, vcc, v2, v8
	v_addc_co_u32_e32 v3, vcc, 0, v3, vcc
	s_waitcnt lgkmcnt(0)
	s_add_u32 s10, s20, s10
	v_lshlrev_b64 v[2:3], 2, v[2:3]
	s_addc_u32 s11, s21, s11
	v_mov_b32_e32 v0, s11
	v_add_co_u32_e32 v6, vcc, s10, v2
	s_lshl_b64 s[10:11], s[22:23], 5
	v_lshlrev_b32_e32 v14, 2, v10
	v_addc_co_u32_e32 v7, vcc, v0, v3, vcc
	s_mov_b64 s[20:21], 0
	v_mov_b32_e32 v16, s9
	v_mov_b32_e32 v17, s11
	v_pk_mov_b32 v[8:9], s[30:31], s[30:31] op_sel:[0,1]
	v_mov_b32_e32 v0, v1
	v_mov_b32_e32 v2, v1
	;; [unrolled: 1-line block ×3, first 2 shown]
.LBB192_2:                              ; =>This Inner Loop Header: Depth=1
	global_load_dword v18, v[6:7], off
	global_load_dword v19, v[4:5], off
	v_add_co_u32_e32 v4, vcc, s8, v4
	v_addc_co_u32_e32 v5, vcc, v5, v16, vcc
	s_add_u32 s20, s20, 8
	v_add_co_u32_e32 v6, vcc, s10, v6
	v_addc_co_u32_e32 v7, vcc, v7, v17, vcc
	s_addc_u32 s21, s21, 0
	v_cmp_lt_i64_e32 vcc, s[20:21], v[8:9]
	s_and_b64 vcc, exec, vcc
	s_waitcnt vmcnt(1)
	ds_write_b32 v12, v18
	s_waitcnt vmcnt(0)
	ds_write_b32 v13, v19
	s_waitcnt lgkmcnt(0)
	s_barrier
	ds_read2_b32 v[34:35], v14 offset1:16
	ds_read2_b32 v[36:37], v14 offset0:32 offset1:48
	ds_read_b128 v[18:21], v15
	ds_read_b128 v[22:25], v15 offset:16
	ds_read2_b32 v[38:39], v14 offset0:64 offset1:80
	ds_read2_b32 v[40:41], v14 offset0:96 offset1:112
	;; [unrolled: 1-line block ×4, first 2 shown]
	ds_read_b128 v[26:29], v15 offset:512
	ds_read_b128 v[30:33], v15 offset:528
	ds_read2_b32 v[46:47], v14 offset0:192 offset1:208
	s_waitcnt lgkmcnt(10)
	v_mov_b32_e32 v50, v35
	s_waitcnt lgkmcnt(9)
	v_mov_b32_e32 v51, v37
	s_waitcnt lgkmcnt(8)
	v_mul_f32_e32 v49, v34, v18
	v_mul_f32_e32 v35, v36, v19
	s_waitcnt lgkmcnt(5)
	v_mov_b32_e32 v53, v41
	v_pk_mul_f32 v[18:19], v[50:51], v[18:19]
	ds_read2_b32 v[54:55], v14 offset0:224 offset1:240
	s_waitcnt lgkmcnt(3)
	v_mul_f32_e32 v41, v34, v26
	v_mul_f32_e32 v57, v36, v27
	v_pk_mul_f32 v[26:27], v[50:51], v[26:27]
	v_mov_b32_e32 v52, v39
	v_mul_f32_e32 v39, v40, v21
	v_mul_f32_e32 v61, v40, v29
	v_mov_b32_e32 v48, v18
	v_mov_b32_e32 v40, v26
	v_mul_f32_e32 v37, v38, v20
	v_pk_mul_f32 v[20:21], v[52:53], v[20:21]
	v_mul_f32_e32 v59, v38, v28
	v_pk_mul_f32 v[28:29], v[52:53], v[28:29]
	v_mov_b32_e32 v34, v19
	v_mov_b32_e32 v56, v27
	v_pk_add_f32 v[2:3], v[2:3], v[48:49]
	v_pk_add_f32 v[0:1], v[0:1], v[40:41]
	v_mov_b32_e32 v50, v43
	v_mov_b32_e32 v51, v45
	;; [unrolled: 1-line block ×4, first 2 shown]
	v_pk_add_f32 v[2:3], v[2:3], v[34:35]
	v_pk_add_f32 v[0:1], v[0:1], v[56:57]
	v_mul_f32_e32 v43, v42, v22
	v_mul_f32_e32 v45, v44, v23
	v_pk_mul_f32 v[22:23], v[50:51], v[22:23]
	s_waitcnt lgkmcnt(2)
	v_mul_f32_e32 v63, v42, v30
	v_mul_f32_e32 v65, v44, v31
	v_pk_mul_f32 v[30:31], v[50:51], v[30:31]
	v_mov_b32_e32 v38, v21
	v_mov_b32_e32 v60, v29
	v_pk_add_f32 v[2:3], v[2:3], v[36:37]
	v_pk_add_f32 v[0:1], v[0:1], v[58:59]
	s_waitcnt lgkmcnt(1)
	v_mov_b32_e32 v52, v47
	s_waitcnt lgkmcnt(0)
	v_mov_b32_e32 v53, v55
	v_mov_b32_e32 v42, v22
	;; [unrolled: 1-line block ×3, first 2 shown]
	v_pk_add_f32 v[2:3], v[2:3], v[38:39]
	v_pk_add_f32 v[0:1], v[0:1], v[60:61]
	v_mul_f32_e32 v47, v46, v24
	v_mul_f32_e32 v55, v54, v25
	v_pk_mul_f32 v[24:25], v[52:53], v[24:25]
	v_mul_f32_e32 v67, v46, v32
	v_mul_f32_e32 v69, v54, v33
	v_pk_mul_f32 v[32:33], v[52:53], v[32:33]
	v_mov_b32_e32 v44, v23
	v_mov_b32_e32 v64, v31
	v_pk_add_f32 v[2:3], v[2:3], v[42:43]
	v_pk_add_f32 v[0:1], v[0:1], v[62:63]
	v_mov_b32_e32 v46, v24
	v_mov_b32_e32 v66, v32
	v_pk_add_f32 v[2:3], v[2:3], v[44:45]
	v_pk_add_f32 v[0:1], v[0:1], v[64:65]
	;; [unrolled: 4-line block ×3, first 2 shown]
	v_pk_add_f32 v[2:3], v[2:3], v[54:55]
	v_pk_add_f32 v[0:1], v[0:1], v[68:69]
	s_barrier
	s_cbranch_vccnz .LBB192_2
	s_branch .LBB192_4
.LBB192_3:
	v_mov_b32_e32 v3, 0
	v_mov_b32_e32 v2, v3
	;; [unrolled: 1-line block ×4, first 2 shown]
.LBB192_4:
	s_load_dword s8, s[4:5], 0x18
	s_load_dword s9, s[4:5], 0x50
	v_mov_b32_e32 v4, s29
	v_add_co_u32_e32 v6, vcc, s28, v11
	s_lshl_b64 s[2:3], s[2:3], 2
	v_addc_co_u32_e32 v9, vcc, 0, v4, vcc
	s_waitcnt lgkmcnt(0)
	s_add_u32 s4, s18, s2
	v_mov_b32_e32 v5, s7
	v_add_co_u32_e32 v4, vcc, s6, v10
	s_addc_u32 s5, s19, s3
	v_cmp_neq_f32_e64 s[2:3], s9, 0
	v_addc_co_u32_e32 v5, vcc, 0, v5, vcc
	s_and_b64 vcc, exec, s[2:3]
	v_mul_lo_u32 v7, v9, s0
	v_mul_lo_u32 v8, v6, s1
	v_lshlrev_b64 v[4:5], 2, v[4:5]
	s_cbranch_vccnz .LBB192_8
; %bb.5:
	v_mad_u64_u32 v[10:11], s[2:3], v6, s0, 0
	v_add3_u32 v11, v11, v8, v7
	v_lshlrev_b64 v[10:11], 2, v[10:11]
	v_mov_b32_e32 v12, s5
	v_add_co_u32_e32 v10, vcc, s4, v10
	v_addc_co_u32_e32 v11, vcc, v12, v11, vcc
	v_add_co_u32_e32 v10, vcc, v10, v4
	v_mul_f32_e32 v12, s8, v3
	v_addc_co_u32_e32 v11, vcc, v11, v5, vcc
	global_store_dword v[10:11], v12, off
	v_mul_f32_e32 v12, s8, v2
	s_lshl_b64 s[2:3], s[0:1], 6
	global_store_dword v[10:11], v12, off offset:64
	v_mov_b32_e32 v13, s3
	v_add_co_u32_e32 v10, vcc, s2, v10
	v_mul_f32_e32 v12, s8, v1
	v_addc_co_u32_e32 v11, vcc, v11, v13, vcc
	global_store_dword v[10:11], v12, off
	v_mul_f32_e32 v12, s8, v0
	global_store_dword v[10:11], v12, off offset:64
	s_cbranch_execnz .LBB192_7
.LBB192_6:
	s_lshl_b64 s[2:3], s[16:17], 2
	s_add_u32 s6, s12, s2
	s_addc_u32 s7, s13, s3
	v_mul_lo_u32 v9, v9, s14
	v_mul_lo_u32 v12, v6, s15
	v_mad_u64_u32 v[10:11], s[2:3], v6, s14, 0
	v_add3_u32 v11, v11, v12, v9
	v_lshlrev_b64 v[10:11], 2, v[10:11]
	v_mov_b32_e32 v9, s7
	v_add_co_u32_e32 v10, vcc, s6, v10
	v_addc_co_u32_e32 v9, vcc, v9, v11, vcc
	v_add_co_u32_e32 v10, vcc, v10, v4
	v_addc_co_u32_e32 v11, vcc, v9, v5, vcc
	global_load_dword v9, v[10:11], off
	v_mad_u64_u32 v[12:13], s[2:3], v6, s0, 0
	v_add3_u32 v13, v13, v8, v7
	v_lshlrev_b64 v[6:7], 2, v[12:13]
	v_mov_b32_e32 v14, s5
	v_add_co_u32_e32 v6, vcc, s4, v6
	v_addc_co_u32_e32 v7, vcc, v14, v7, vcc
	v_add_co_u32_e32 v4, vcc, v6, v4
	v_addc_co_u32_e32 v5, vcc, v7, v5, vcc
	s_lshl_b64 s[2:3], s[14:15], 6
	v_mov_b32_e32 v7, s3
	s_lshl_b64 s[0:1], s[0:1], 6
	s_waitcnt vmcnt(0)
	v_mul_f32_e32 v6, s9, v9
	v_fmac_f32_e32 v6, s8, v3
	global_store_dword v[4:5], v6, off
	global_load_dword v3, v[10:11], off offset:64
	v_add_co_u32_e32 v6, vcc, s2, v10
	v_addc_co_u32_e32 v7, vcc, v11, v7, vcc
	s_waitcnt vmcnt(0)
	v_mul_f32_e32 v3, s9, v3
	v_fmac_f32_e32 v3, s8, v2
	global_store_dword v[4:5], v3, off offset:64
	global_load_dword v2, v[6:7], off
	v_mov_b32_e32 v3, s1
	s_waitcnt vmcnt(0)
	v_mul_f32_e32 v8, s9, v2
	v_add_co_u32_e32 v2, vcc, s0, v4
	v_fmac_f32_e32 v8, s8, v1
	v_addc_co_u32_e32 v3, vcc, v5, v3, vcc
	global_store_dword v[2:3], v8, off
	global_load_dword v1, v[6:7], off offset:64
	s_waitcnt vmcnt(0)
	v_mul_f32_e32 v1, s9, v1
	v_fmac_f32_e32 v1, s8, v0
	global_store_dword v[2:3], v1, off offset:64
.LBB192_7:
	s_endpgm
.LBB192_8:
	s_branch .LBB192_6
	.section	.rodata,"a",@progbits
	.p2align	6, 0x0
	.amdhsa_kernel _ZN12_GLOBAL__N_127rocblas_gemm_batched_kernelIfLi16ELi16ELi32ELi32ELi8ELi32ELi8ELi8ELi32ELc78ELc67EKPKfS3_KPfEEvlllT_PT11_llS8_llS6_PT12_llPT13_lli
		.amdhsa_group_segment_fixed_size 2048
		.amdhsa_private_segment_fixed_size 0
		.amdhsa_kernarg_size 140
		.amdhsa_user_sgpr_count 6
		.amdhsa_user_sgpr_private_segment_buffer 1
		.amdhsa_user_sgpr_dispatch_ptr 0
		.amdhsa_user_sgpr_queue_ptr 0
		.amdhsa_user_sgpr_kernarg_segment_ptr 1
		.amdhsa_user_sgpr_dispatch_id 0
		.amdhsa_user_sgpr_flat_scratch_init 0
		.amdhsa_user_sgpr_kernarg_preload_length 0
		.amdhsa_user_sgpr_kernarg_preload_offset 0
		.amdhsa_user_sgpr_private_segment_size 0
		.amdhsa_uses_dynamic_stack 0
		.amdhsa_system_sgpr_private_segment_wavefront_offset 0
		.amdhsa_system_sgpr_workgroup_id_x 1
		.amdhsa_system_sgpr_workgroup_id_y 1
		.amdhsa_system_sgpr_workgroup_id_z 1
		.amdhsa_system_sgpr_workgroup_info 0
		.amdhsa_system_vgpr_workitem_id 1
		.amdhsa_next_free_vgpr 70
		.amdhsa_next_free_sgpr 36
		.amdhsa_accum_offset 72
		.amdhsa_reserve_vcc 1
		.amdhsa_reserve_flat_scratch 0
		.amdhsa_float_round_mode_32 0
		.amdhsa_float_round_mode_16_64 0
		.amdhsa_float_denorm_mode_32 3
		.amdhsa_float_denorm_mode_16_64 3
		.amdhsa_dx10_clamp 1
		.amdhsa_ieee_mode 1
		.amdhsa_fp16_overflow 0
		.amdhsa_tg_split 0
		.amdhsa_exception_fp_ieee_invalid_op 0
		.amdhsa_exception_fp_denorm_src 0
		.amdhsa_exception_fp_ieee_div_zero 0
		.amdhsa_exception_fp_ieee_overflow 0
		.amdhsa_exception_fp_ieee_underflow 0
		.amdhsa_exception_fp_ieee_inexact 0
		.amdhsa_exception_int_div_zero 0
	.end_amdhsa_kernel
	.section	.text._ZN12_GLOBAL__N_127rocblas_gemm_batched_kernelIfLi16ELi16ELi32ELi32ELi8ELi32ELi8ELi8ELi32ELc78ELc67EKPKfS3_KPfEEvlllT_PT11_llS8_llS6_PT12_llPT13_lli,"axG",@progbits,_ZN12_GLOBAL__N_127rocblas_gemm_batched_kernelIfLi16ELi16ELi32ELi32ELi8ELi32ELi8ELi8ELi32ELc78ELc67EKPKfS3_KPfEEvlllT_PT11_llS8_llS6_PT12_llPT13_lli,comdat
.Lfunc_end192:
	.size	_ZN12_GLOBAL__N_127rocblas_gemm_batched_kernelIfLi16ELi16ELi32ELi32ELi8ELi32ELi8ELi8ELi32ELc78ELc67EKPKfS3_KPfEEvlllT_PT11_llS8_llS6_PT12_llPT13_lli, .Lfunc_end192-_ZN12_GLOBAL__N_127rocblas_gemm_batched_kernelIfLi16ELi16ELi32ELi32ELi8ELi32ELi8ELi8ELi32ELc78ELc67EKPKfS3_KPfEEvlllT_PT11_llS8_llS6_PT12_llPT13_lli
                                        ; -- End function
	.section	.AMDGPU.csdata,"",@progbits
; Kernel info:
; codeLenInByte = 1504
; NumSgprs: 40
; NumVgprs: 70
; NumAgprs: 0
; TotalNumVgprs: 70
; ScratchSize: 0
; MemoryBound: 0
; FloatMode: 240
; IeeeMode: 1
; LDSByteSize: 2048 bytes/workgroup (compile time only)
; SGPRBlocks: 4
; VGPRBlocks: 8
; NumSGPRsForWavesPerEU: 40
; NumVGPRsForWavesPerEU: 70
; AccumOffset: 72
; Occupancy: 7
; WaveLimiterHint : 1
; COMPUTE_PGM_RSRC2:SCRATCH_EN: 0
; COMPUTE_PGM_RSRC2:USER_SGPR: 6
; COMPUTE_PGM_RSRC2:TRAP_HANDLER: 0
; COMPUTE_PGM_RSRC2:TGID_X_EN: 1
; COMPUTE_PGM_RSRC2:TGID_Y_EN: 1
; COMPUTE_PGM_RSRC2:TGID_Z_EN: 1
; COMPUTE_PGM_RSRC2:TIDIG_COMP_CNT: 1
; COMPUTE_PGM_RSRC3_GFX90A:ACCUM_OFFSET: 17
; COMPUTE_PGM_RSRC3_GFX90A:TG_SPLIT: 0
	.section	.text._ZN12_GLOBAL__N_127rocblas_gemm_batched_kernelIfLi16ELi16ELi32ELi32ELi8ELi32ELi8ELi8ELi32ELc84ELc67EKPKfS3_KPfEEvlllT_PT11_llS8_llS6_PT12_llPT13_lli,"axG",@progbits,_ZN12_GLOBAL__N_127rocblas_gemm_batched_kernelIfLi16ELi16ELi32ELi32ELi8ELi32ELi8ELi8ELi32ELc84ELc67EKPKfS3_KPfEEvlllT_PT11_llS8_llS6_PT12_llPT13_lli,comdat
	.globl	_ZN12_GLOBAL__N_127rocblas_gemm_batched_kernelIfLi16ELi16ELi32ELi32ELi8ELi32ELi8ELi8ELi32ELc84ELc67EKPKfS3_KPfEEvlllT_PT11_llS8_llS6_PT12_llPT13_lli ; -- Begin function _ZN12_GLOBAL__N_127rocblas_gemm_batched_kernelIfLi16ELi16ELi32ELi32ELi8ELi32ELi8ELi8ELi32ELc84ELc67EKPKfS3_KPfEEvlllT_PT11_llS8_llS6_PT12_llPT13_lli
	.p2align	8
	.type	_ZN12_GLOBAL__N_127rocblas_gemm_batched_kernelIfLi16ELi16ELi32ELi32ELi8ELi32ELi8ELi8ELi32ELc84ELc67EKPKfS3_KPfEEvlllT_PT11_llS8_llS6_PT12_llPT13_lli,@function
_ZN12_GLOBAL__N_127rocblas_gemm_batched_kernelIfLi16ELi16ELi32ELi32ELi8ELi32ELi8ELi8ELi32ELc84ELc67EKPKfS3_KPfEEvlllT_PT11_llS8_llS6_PT12_llPT13_lli: ; @_ZN12_GLOBAL__N_127rocblas_gemm_batched_kernelIfLi16ELi16ELi32ELi32ELi8ELi32ELi8ELi8ELi32ELc84ELc67EKPKfS3_KPfEEvlllT_PT11_llS8_llS6_PT12_llPT13_lli
; %bb.0:
	s_load_dwordx2 s[30:31], s[4:5], 0x10
	s_load_dwordx4 s[0:3], s[4:5], 0x78
	s_load_dwordx8 s[12:19], s[4:5], 0x58
	s_mov_b32 s9, 0
	s_lshl_b64 s[34:35], s[8:9], 3
	s_mov_b32 s10, s7
	v_bfe_u32 v11, v0, 10, 10
	s_waitcnt lgkmcnt(0)
	s_add_u32 s8, s12, s34
	s_addc_u32 s9, s13, s35
	s_load_dwordx2 s[12:13], s[8:9], 0x0
	s_add_u32 s8, s18, s34
	s_addc_u32 s9, s19, s35
	s_load_dwordx2 s[18:19], s[8:9], 0x0
	s_ashr_i32 s7, s6, 31
	s_ashr_i32 s11, s10, 31
	v_cmp_lt_i64_e64 s[8:9], s[30:31], 1
	v_and_b32_e32 v10, 0x3ff, v0
	s_lshl_b64 s[6:7], s[6:7], 5
	s_lshl_b64 s[28:29], s[10:11], 5
	s_and_b64 vcc, exec, s[8:9]
	s_cbranch_vccnz .LBB193_3
; %bb.1:
	s_load_dwordx8 s[20:27], s[4:5], 0x20
	s_load_dwordx4 s[8:11], s[4:5], 0x40
	v_lshl_add_u32 v2, v11, 4, v10
	v_and_b32_e32 v6, 31, v2
	v_lshrrev_b32_e32 v0, 3, v2
	s_waitcnt lgkmcnt(0)
	s_add_u32 s20, s20, s34
	s_addc_u32 s21, s21, s35
	v_and_b32_e32 v4, 7, v10
	v_lshrrev_b32_e32 v7, 5, v2
	v_lshlrev_b32_e32 v2, 2, v6
	s_add_u32 s26, s26, s34
	v_lshl_or_b32 v12, v7, 7, v2
	v_lshlrev_b32_e32 v2, 2, v4
	s_addc_u32 s27, s27, s35
	v_lshl_or_b32 v2, v0, 5, v2
	s_load_dwordx2 s[26:27], s[26:27], 0x0
	v_mov_b32_e32 v1, 0
	v_add_u32_e32 v13, 0x400, v2
	v_mov_b32_e32 v2, 0x400
	v_lshl_add_u32 v15, v11, 5, v2
	v_mad_u64_u32 v[2:3], s[34:35], v4, s8, v[0:1]
	v_mov_b32_e32 v0, v3
	v_mad_u64_u32 v[4:5], s[34:35], v4, s9, v[0:1]
	s_lshl_b64 s[10:11], s[10:11], 2
	v_mov_b32_e32 v3, v4
	v_mov_b32_e32 v0, s29
	v_add_co_u32_e32 v2, vcc, s28, v2
	v_addc_co_u32_e32 v3, vcc, v3, v0, vcc
	s_waitcnt lgkmcnt(0)
	s_add_u32 s10, s26, s10
	v_lshlrev_b64 v[2:3], 2, v[2:3]
	s_addc_u32 s11, s27, s11
	v_mov_b32_e32 v0, s11
	v_add_co_u32_e32 v4, vcc, s10, v2
	v_addc_co_u32_e32 v5, vcc, v0, v3, vcc
	v_mov_b32_e32 v0, s7
	v_add_co_u32_e32 v2, vcc, s6, v6
	v_addc_co_u32_e32 v0, vcc, 0, v0, vcc
	v_mul_lo_u32 v6, s23, v2
	v_mul_lo_u32 v0, s22, v0
	v_mad_u64_u32 v[2:3], s[10:11], s22, v2, 0
	v_add3_u32 v3, v3, v0, v6
	s_load_dwordx2 s[20:21], s[20:21], 0x0
	v_lshlrev_b64 v[2:3], 2, v[2:3]
	s_lshl_b64 s[10:11], s[24:25], 2
	v_mov_b32_e32 v0, s11
	v_add_co_u32_e32 v2, vcc, s10, v2
	v_addc_co_u32_e32 v0, vcc, v3, v0, vcc
	v_lshlrev_b32_e32 v3, 2, v7
	v_add_co_u32_e32 v2, vcc, v2, v3
	v_addc_co_u32_e32 v0, vcc, 0, v0, vcc
	s_lshl_b64 s[8:9], s[8:9], 5
	s_waitcnt lgkmcnt(0)
	v_mov_b32_e32 v3, s21
	v_add_co_u32_e32 v6, vcc, s20, v2
	v_lshlrev_b32_e32 v14, 2, v10
	v_addc_co_u32_e32 v7, vcc, v3, v0, vcc
	s_mov_b64 s[10:11], 0
	v_mov_b32_e32 v16, s9
	v_pk_mov_b32 v[8:9], s[30:31], s[30:31] op_sel:[0,1]
	v_mov_b32_e32 v0, v1
	v_mov_b32_e32 v2, v1
	;; [unrolled: 1-line block ×3, first 2 shown]
.LBB193_2:                              ; =>This Inner Loop Header: Depth=1
	global_load_dword v17, v[6:7], off
	global_load_dword v18, v[4:5], off
	v_add_co_u32_e32 v4, vcc, s8, v4
	v_addc_co_u32_e32 v5, vcc, v5, v16, vcc
	s_add_u32 s10, s10, 8
	v_add_co_u32_e32 v6, vcc, 32, v6
	v_addc_co_u32_e32 v7, vcc, 0, v7, vcc
	s_addc_u32 s11, s11, 0
	v_cmp_lt_i64_e32 vcc, s[10:11], v[8:9]
	s_and_b64 vcc, exec, vcc
	s_waitcnt vmcnt(1)
	ds_write_b32 v12, v17
	s_waitcnt vmcnt(0)
	ds_write_b32 v13, v18
	s_waitcnt lgkmcnt(0)
	s_barrier
	ds_read2_b32 v[34:35], v14 offset1:16
	ds_read2_b32 v[36:37], v14 offset0:32 offset1:48
	ds_read_b128 v[18:21], v15
	ds_read_b128 v[22:25], v15 offset:16
	ds_read2_b32 v[38:39], v14 offset0:64 offset1:80
	ds_read2_b32 v[40:41], v14 offset0:96 offset1:112
	;; [unrolled: 1-line block ×4, first 2 shown]
	ds_read_b128 v[26:29], v15 offset:512
	ds_read_b128 v[30:33], v15 offset:528
	ds_read2_b32 v[46:47], v14 offset0:192 offset1:208
	s_waitcnt lgkmcnt(10)
	v_mov_b32_e32 v50, v35
	s_waitcnt lgkmcnt(9)
	v_mov_b32_e32 v51, v37
	s_waitcnt lgkmcnt(8)
	v_mul_f32_e32 v49, v34, v18
	v_mul_f32_e32 v35, v36, v19
	s_waitcnt lgkmcnt(5)
	v_mov_b32_e32 v53, v41
	v_pk_mul_f32 v[18:19], v[50:51], v[18:19]
	ds_read2_b32 v[54:55], v14 offset0:224 offset1:240
	s_waitcnt lgkmcnt(3)
	v_mul_f32_e32 v41, v34, v26
	v_mul_f32_e32 v57, v36, v27
	v_pk_mul_f32 v[26:27], v[50:51], v[26:27]
	v_mov_b32_e32 v52, v39
	v_mul_f32_e32 v39, v40, v21
	v_mul_f32_e32 v61, v40, v29
	v_mov_b32_e32 v48, v18
	v_mov_b32_e32 v40, v26
	v_mul_f32_e32 v37, v38, v20
	v_pk_mul_f32 v[20:21], v[52:53], v[20:21]
	v_mul_f32_e32 v59, v38, v28
	v_pk_mul_f32 v[28:29], v[52:53], v[28:29]
	v_mov_b32_e32 v34, v19
	v_mov_b32_e32 v56, v27
	v_pk_add_f32 v[2:3], v[2:3], v[48:49]
	v_pk_add_f32 v[0:1], v[0:1], v[40:41]
	v_mov_b32_e32 v50, v43
	v_mov_b32_e32 v51, v45
	;; [unrolled: 1-line block ×4, first 2 shown]
	v_pk_add_f32 v[2:3], v[2:3], v[34:35]
	v_pk_add_f32 v[0:1], v[0:1], v[56:57]
	v_mul_f32_e32 v43, v42, v22
	v_mul_f32_e32 v45, v44, v23
	v_pk_mul_f32 v[22:23], v[50:51], v[22:23]
	s_waitcnt lgkmcnt(2)
	v_mul_f32_e32 v63, v42, v30
	v_mul_f32_e32 v65, v44, v31
	v_pk_mul_f32 v[30:31], v[50:51], v[30:31]
	v_mov_b32_e32 v38, v21
	v_mov_b32_e32 v60, v29
	v_pk_add_f32 v[2:3], v[2:3], v[36:37]
	v_pk_add_f32 v[0:1], v[0:1], v[58:59]
	s_waitcnt lgkmcnt(1)
	v_mov_b32_e32 v52, v47
	s_waitcnt lgkmcnt(0)
	v_mov_b32_e32 v53, v55
	v_mov_b32_e32 v42, v22
	;; [unrolled: 1-line block ×3, first 2 shown]
	v_pk_add_f32 v[2:3], v[2:3], v[38:39]
	v_pk_add_f32 v[0:1], v[0:1], v[60:61]
	v_mul_f32_e32 v47, v46, v24
	v_mul_f32_e32 v55, v54, v25
	v_pk_mul_f32 v[24:25], v[52:53], v[24:25]
	v_mul_f32_e32 v67, v46, v32
	v_mul_f32_e32 v69, v54, v33
	v_pk_mul_f32 v[32:33], v[52:53], v[32:33]
	v_mov_b32_e32 v44, v23
	v_mov_b32_e32 v64, v31
	v_pk_add_f32 v[2:3], v[2:3], v[42:43]
	v_pk_add_f32 v[0:1], v[0:1], v[62:63]
	v_mov_b32_e32 v46, v24
	v_mov_b32_e32 v66, v32
	v_pk_add_f32 v[2:3], v[2:3], v[44:45]
	v_pk_add_f32 v[0:1], v[0:1], v[64:65]
	;; [unrolled: 4-line block ×3, first 2 shown]
	v_pk_add_f32 v[2:3], v[2:3], v[54:55]
	v_pk_add_f32 v[0:1], v[0:1], v[68:69]
	s_barrier
	s_cbranch_vccnz .LBB193_2
	s_branch .LBB193_4
.LBB193_3:
	v_mov_b32_e32 v3, 0
	v_mov_b32_e32 v2, v3
	;; [unrolled: 1-line block ×4, first 2 shown]
.LBB193_4:
	s_load_dword s8, s[4:5], 0x18
	s_load_dword s9, s[4:5], 0x50
	v_mov_b32_e32 v4, s29
	v_add_co_u32_e32 v6, vcc, s28, v11
	s_lshl_b64 s[2:3], s[2:3], 2
	v_addc_co_u32_e32 v9, vcc, 0, v4, vcc
	s_waitcnt lgkmcnt(0)
	s_add_u32 s4, s18, s2
	v_mov_b32_e32 v5, s7
	v_add_co_u32_e32 v4, vcc, s6, v10
	s_addc_u32 s5, s19, s3
	v_cmp_neq_f32_e64 s[2:3], s9, 0
	v_addc_co_u32_e32 v5, vcc, 0, v5, vcc
	s_and_b64 vcc, exec, s[2:3]
	v_mul_lo_u32 v7, v9, s0
	v_mul_lo_u32 v8, v6, s1
	v_lshlrev_b64 v[4:5], 2, v[4:5]
	s_cbranch_vccnz .LBB193_8
; %bb.5:
	v_mad_u64_u32 v[10:11], s[2:3], v6, s0, 0
	v_add3_u32 v11, v11, v8, v7
	v_lshlrev_b64 v[10:11], 2, v[10:11]
	v_mov_b32_e32 v12, s5
	v_add_co_u32_e32 v10, vcc, s4, v10
	v_addc_co_u32_e32 v11, vcc, v12, v11, vcc
	v_add_co_u32_e32 v10, vcc, v10, v4
	v_mul_f32_e32 v12, s8, v3
	v_addc_co_u32_e32 v11, vcc, v11, v5, vcc
	global_store_dword v[10:11], v12, off
	v_mul_f32_e32 v12, s8, v2
	s_lshl_b64 s[2:3], s[0:1], 6
	global_store_dword v[10:11], v12, off offset:64
	v_mov_b32_e32 v13, s3
	v_add_co_u32_e32 v10, vcc, s2, v10
	v_mul_f32_e32 v12, s8, v1
	v_addc_co_u32_e32 v11, vcc, v11, v13, vcc
	global_store_dword v[10:11], v12, off
	v_mul_f32_e32 v12, s8, v0
	global_store_dword v[10:11], v12, off offset:64
	s_cbranch_execnz .LBB193_7
.LBB193_6:
	s_lshl_b64 s[2:3], s[16:17], 2
	s_add_u32 s6, s12, s2
	s_addc_u32 s7, s13, s3
	v_mul_lo_u32 v9, v9, s14
	v_mul_lo_u32 v12, v6, s15
	v_mad_u64_u32 v[10:11], s[2:3], v6, s14, 0
	v_add3_u32 v11, v11, v12, v9
	v_lshlrev_b64 v[10:11], 2, v[10:11]
	v_mov_b32_e32 v9, s7
	v_add_co_u32_e32 v10, vcc, s6, v10
	v_addc_co_u32_e32 v9, vcc, v9, v11, vcc
	v_add_co_u32_e32 v10, vcc, v10, v4
	v_addc_co_u32_e32 v11, vcc, v9, v5, vcc
	global_load_dword v9, v[10:11], off
	v_mad_u64_u32 v[12:13], s[2:3], v6, s0, 0
	v_add3_u32 v13, v13, v8, v7
	v_lshlrev_b64 v[6:7], 2, v[12:13]
	v_mov_b32_e32 v14, s5
	v_add_co_u32_e32 v6, vcc, s4, v6
	v_addc_co_u32_e32 v7, vcc, v14, v7, vcc
	v_add_co_u32_e32 v4, vcc, v6, v4
	v_addc_co_u32_e32 v5, vcc, v7, v5, vcc
	s_lshl_b64 s[2:3], s[14:15], 6
	v_mov_b32_e32 v7, s3
	s_lshl_b64 s[0:1], s[0:1], 6
	s_waitcnt vmcnt(0)
	v_mul_f32_e32 v6, s9, v9
	v_fmac_f32_e32 v6, s8, v3
	global_store_dword v[4:5], v6, off
	global_load_dword v3, v[10:11], off offset:64
	v_add_co_u32_e32 v6, vcc, s2, v10
	v_addc_co_u32_e32 v7, vcc, v11, v7, vcc
	s_waitcnt vmcnt(0)
	v_mul_f32_e32 v3, s9, v3
	v_fmac_f32_e32 v3, s8, v2
	global_store_dword v[4:5], v3, off offset:64
	global_load_dword v2, v[6:7], off
	v_mov_b32_e32 v3, s1
	s_waitcnt vmcnt(0)
	v_mul_f32_e32 v8, s9, v2
	v_add_co_u32_e32 v2, vcc, s0, v4
	v_fmac_f32_e32 v8, s8, v1
	v_addc_co_u32_e32 v3, vcc, v5, v3, vcc
	global_store_dword v[2:3], v8, off
	global_load_dword v1, v[6:7], off offset:64
	s_waitcnt vmcnt(0)
	v_mul_f32_e32 v1, s9, v1
	v_fmac_f32_e32 v1, s8, v0
	global_store_dword v[2:3], v1, off offset:64
.LBB193_7:
	s_endpgm
.LBB193_8:
	s_branch .LBB193_6
	.section	.rodata,"a",@progbits
	.p2align	6, 0x0
	.amdhsa_kernel _ZN12_GLOBAL__N_127rocblas_gemm_batched_kernelIfLi16ELi16ELi32ELi32ELi8ELi32ELi8ELi8ELi32ELc84ELc67EKPKfS3_KPfEEvlllT_PT11_llS8_llS6_PT12_llPT13_lli
		.amdhsa_group_segment_fixed_size 2048
		.amdhsa_private_segment_fixed_size 0
		.amdhsa_kernarg_size 140
		.amdhsa_user_sgpr_count 6
		.amdhsa_user_sgpr_private_segment_buffer 1
		.amdhsa_user_sgpr_dispatch_ptr 0
		.amdhsa_user_sgpr_queue_ptr 0
		.amdhsa_user_sgpr_kernarg_segment_ptr 1
		.amdhsa_user_sgpr_dispatch_id 0
		.amdhsa_user_sgpr_flat_scratch_init 0
		.amdhsa_user_sgpr_kernarg_preload_length 0
		.amdhsa_user_sgpr_kernarg_preload_offset 0
		.amdhsa_user_sgpr_private_segment_size 0
		.amdhsa_uses_dynamic_stack 0
		.amdhsa_system_sgpr_private_segment_wavefront_offset 0
		.amdhsa_system_sgpr_workgroup_id_x 1
		.amdhsa_system_sgpr_workgroup_id_y 1
		.amdhsa_system_sgpr_workgroup_id_z 1
		.amdhsa_system_sgpr_workgroup_info 0
		.amdhsa_system_vgpr_workitem_id 1
		.amdhsa_next_free_vgpr 70
		.amdhsa_next_free_sgpr 36
		.amdhsa_accum_offset 72
		.amdhsa_reserve_vcc 1
		.amdhsa_reserve_flat_scratch 0
		.amdhsa_float_round_mode_32 0
		.amdhsa_float_round_mode_16_64 0
		.amdhsa_float_denorm_mode_32 3
		.amdhsa_float_denorm_mode_16_64 3
		.amdhsa_dx10_clamp 1
		.amdhsa_ieee_mode 1
		.amdhsa_fp16_overflow 0
		.amdhsa_tg_split 0
		.amdhsa_exception_fp_ieee_invalid_op 0
		.amdhsa_exception_fp_denorm_src 0
		.amdhsa_exception_fp_ieee_div_zero 0
		.amdhsa_exception_fp_ieee_overflow 0
		.amdhsa_exception_fp_ieee_underflow 0
		.amdhsa_exception_fp_ieee_inexact 0
		.amdhsa_exception_int_div_zero 0
	.end_amdhsa_kernel
	.section	.text._ZN12_GLOBAL__N_127rocblas_gemm_batched_kernelIfLi16ELi16ELi32ELi32ELi8ELi32ELi8ELi8ELi32ELc84ELc67EKPKfS3_KPfEEvlllT_PT11_llS8_llS6_PT12_llPT13_lli,"axG",@progbits,_ZN12_GLOBAL__N_127rocblas_gemm_batched_kernelIfLi16ELi16ELi32ELi32ELi8ELi32ELi8ELi8ELi32ELc84ELc67EKPKfS3_KPfEEvlllT_PT11_llS8_llS6_PT12_llPT13_lli,comdat
.Lfunc_end193:
	.size	_ZN12_GLOBAL__N_127rocblas_gemm_batched_kernelIfLi16ELi16ELi32ELi32ELi8ELi32ELi8ELi8ELi32ELc84ELc67EKPKfS3_KPfEEvlllT_PT11_llS8_llS6_PT12_llPT13_lli, .Lfunc_end193-_ZN12_GLOBAL__N_127rocblas_gemm_batched_kernelIfLi16ELi16ELi32ELi32ELi8ELi32ELi8ELi8ELi32ELc84ELc67EKPKfS3_KPfEEvlllT_PT11_llS8_llS6_PT12_llPT13_lli
                                        ; -- End function
	.section	.AMDGPU.csdata,"",@progbits
; Kernel info:
; codeLenInByte = 1516
; NumSgprs: 40
; NumVgprs: 70
; NumAgprs: 0
; TotalNumVgprs: 70
; ScratchSize: 0
; MemoryBound: 0
; FloatMode: 240
; IeeeMode: 1
; LDSByteSize: 2048 bytes/workgroup (compile time only)
; SGPRBlocks: 4
; VGPRBlocks: 8
; NumSGPRsForWavesPerEU: 40
; NumVGPRsForWavesPerEU: 70
; AccumOffset: 72
; Occupancy: 7
; WaveLimiterHint : 1
; COMPUTE_PGM_RSRC2:SCRATCH_EN: 0
; COMPUTE_PGM_RSRC2:USER_SGPR: 6
; COMPUTE_PGM_RSRC2:TRAP_HANDLER: 0
; COMPUTE_PGM_RSRC2:TGID_X_EN: 1
; COMPUTE_PGM_RSRC2:TGID_Y_EN: 1
; COMPUTE_PGM_RSRC2:TGID_Z_EN: 1
; COMPUTE_PGM_RSRC2:TIDIG_COMP_CNT: 1
; COMPUTE_PGM_RSRC3_GFX90A:ACCUM_OFFSET: 17
; COMPUTE_PGM_RSRC3_GFX90A:TG_SPLIT: 0
	.section	.text._ZN12_GLOBAL__N_135rocblas_gemm_batched_general_kernelIfLi16ELi16ELi32ELi32ELi8ELi32ELi8ELi8ELi32ELc78ELc78EKPKfS3_KPfEEvlllT_PT11_llS8_llS6_PT12_llPT13_lli,"axG",@progbits,_ZN12_GLOBAL__N_135rocblas_gemm_batched_general_kernelIfLi16ELi16ELi32ELi32ELi8ELi32ELi8ELi8ELi32ELc78ELc78EKPKfS3_KPfEEvlllT_PT11_llS8_llS6_PT12_llPT13_lli,comdat
	.globl	_ZN12_GLOBAL__N_135rocblas_gemm_batched_general_kernelIfLi16ELi16ELi32ELi32ELi8ELi32ELi8ELi8ELi32ELc78ELc78EKPKfS3_KPfEEvlllT_PT11_llS8_llS6_PT12_llPT13_lli ; -- Begin function _ZN12_GLOBAL__N_135rocblas_gemm_batched_general_kernelIfLi16ELi16ELi32ELi32ELi8ELi32ELi8ELi8ELi32ELc78ELc78EKPKfS3_KPfEEvlllT_PT11_llS8_llS6_PT12_llPT13_lli
	.p2align	8
	.type	_ZN12_GLOBAL__N_135rocblas_gemm_batched_general_kernelIfLi16ELi16ELi32ELi32ELi8ELi32ELi8ELi8ELi32ELc78ELc78EKPKfS3_KPfEEvlllT_PT11_llS8_llS6_PT12_llPT13_lli,@function
_ZN12_GLOBAL__N_135rocblas_gemm_batched_general_kernelIfLi16ELi16ELi32ELi32ELi8ELi32ELi8ELi8ELi32ELc78ELc78EKPKfS3_KPfEEvlllT_PT11_llS8_llS6_PT12_llPT13_lli: ; @_ZN12_GLOBAL__N_135rocblas_gemm_batched_general_kernelIfLi16ELi16ELi32ELi32ELi8ELi32ELi8ELi8ELi32ELc78ELc78EKPKfS3_KPfEEvlllT_PT11_llS8_llS6_PT12_llPT13_lli
; %bb.0:
	s_load_dwordx4 s[36:39], s[4:5], 0x0
	s_load_dwordx2 s[34:35], s[4:5], 0x10
	s_load_dwordx4 s[28:31], s[4:5], 0x78
	s_load_dwordx8 s[12:19], s[4:5], 0x58
	s_mov_b32 s9, 0
	s_lshl_b64 s[0:1], s[8:9], 3
	s_mov_b32 s2, s7
	v_mov_b32_e32 v3, 0
	s_waitcnt lgkmcnt(0)
	s_add_u32 s8, s12, s0
	s_addc_u32 s9, s13, s1
	s_load_dwordx2 s[12:13], s[8:9], 0x0
	s_add_u32 s8, s18, s0
	s_addc_u32 s9, s19, s1
	s_load_dwordx2 s[40:41], s[8:9], 0x0
	s_ashr_i32 s3, s2, 31
	s_ashr_i32 s7, s6, 31
	s_lshl_b64 s[42:43], s[2:3], 5
	v_cmp_lt_i64_e64 s[2:3], s[34:35], 1
	v_and_b32_e32 v14, 0x3ff, v0
	v_bfe_u32 v5, v0, 10, 10
	s_lshl_b64 s[18:19], s[6:7], 5
	s_and_b64 vcc, exec, s[2:3]
	v_mov_b32_e32 v2, v3
	v_mov_b32_e32 v1, v3
	;; [unrolled: 1-line block ×3, first 2 shown]
	s_cbranch_vccnz .LBB194_7
; %bb.1:
	s_load_dwordx8 s[20:27], s[4:5], 0x20
	s_load_dwordx4 s[8:11], s[4:5], 0x40
	v_lshl_add_u32 v1, v5, 4, v14
	v_lshrrev_b32_e32 v4, 5, v1
	v_lshrrev_b32_e32 v10, 3, v1
	s_waitcnt lgkmcnt(0)
	s_add_u32 s2, s26, s0
	s_addc_u32 s3, s27, s1
	s_add_u32 s0, s20, s0
	v_and_b32_e32 v1, 31, v1
	v_and_b32_e32 v6, 7, v14
	s_addc_u32 s1, s21, s1
	v_mov_b32_e32 v9, s19
	v_or_b32_e32 v8, s18, v1
	s_load_dwordx2 s[20:21], s[0:1], 0x0
	v_cmp_gt_i64_e64 s[0:1], s[36:37], v[8:9]
	v_lshlrev_b32_e32 v8, 2, v6
	v_mov_b32_e32 v3, s43
	v_add_co_u32_e32 v2, vcc, s42, v10
	v_lshl_or_b32 v9, v10, 5, v8
	v_addc_co_u32_e32 v3, vcc, 0, v3, vcc
	v_add_u32_e32 v15, 0x400, v9
	v_mov_b32_e32 v9, 0x400
	s_load_dwordx2 s[26:27], s[2:3], 0x0
	v_cmp_gt_i64_e64 s[2:3], s[38:39], v[2:3]
	v_lshl_add_u32 v17, v5, 5, v9
	v_mul_lo_u32 v9, s9, v2
	v_mul_lo_u32 v10, s8, v3
	v_mad_u64_u32 v[2:3], s[8:9], s8, v2, 0
	v_add3_u32 v3, v3, v10, v9
	v_lshlrev_b64 v[2:3], 2, v[2:3]
	s_lshl_b64 s[8:9], s[10:11], 2
	v_mov_b32_e32 v9, s9
	v_add_co_u32_e32 v2, vcc, s8, v2
	v_addc_co_u32_e32 v3, vcc, v3, v9, vcc
	v_add_co_u32_e32 v2, vcc, v2, v8
	v_addc_co_u32_e32 v3, vcc, 0, v3, vcc
	s_waitcnt lgkmcnt(0)
	v_mov_b32_e32 v9, s27
	v_add_co_u32_e32 v8, vcc, s26, v2
	v_addc_co_u32_e32 v9, vcc, v9, v3, vcc
	v_mad_u64_u32 v[2:3], s[8:9], s22, v4, 0
	v_mov_b32_e32 v10, v3
	v_mad_u64_u32 v[10:11], s[8:9], s23, v4, v[10:11]
	s_lshl_b64 s[6:7], s[6:7], 7
	s_lshl_b64 s[8:9], s[24:25], 2
	v_mov_b32_e32 v3, v10
	s_add_u32 s6, s8, s6
	v_lshlrev_b64 v[2:3], 2, v[2:3]
	s_addc_u32 s7, s9, s7
	v_mov_b32_e32 v10, s7
	v_add_co_u32_e32 v2, vcc, s6, v2
	v_lshlrev_b32_e32 v1, 2, v1
	v_addc_co_u32_e32 v3, vcc, v10, v3, vcc
	v_lshl_or_b32 v7, v4, 7, v1
	v_add_co_u32_e32 v1, vcc, v2, v1
	v_addc_co_u32_e32 v2, vcc, 0, v3, vcc
	v_mov_b32_e32 v0, 0
	v_mov_b32_e32 v3, s21
	v_add_co_u32_e32 v10, vcc, s20, v1
	s_lshl_b64 s[6:7], s[22:23], 5
	v_lshlrev_b32_e32 v16, 2, v14
	v_addc_co_u32_e32 v11, vcc, v3, v2, vcc
	s_mov_b64 s[8:9], 0
	v_mov_b32_e32 v18, s7
	v_pk_mov_b32 v[12:13], s[34:35], s[34:35] op_sel:[0,1]
	v_mov_b32_e32 v1, v0
	v_mov_b32_e32 v2, v0
	;; [unrolled: 1-line block ×3, first 2 shown]
	s_branch .LBB194_3
.LBB194_2:                              ;   in Loop: Header=BB194_3 Depth=1
	s_or_b64 exec, exec, s[10:11]
	s_waitcnt vmcnt(0)
	ds_write_b32 v15, v19
	s_waitcnt lgkmcnt(0)
	s_barrier
	ds_read_b128 v[20:23], v17
	ds_read_b128 v[24:27], v17 offset:16
	ds_read2_b32 v[36:37], v16 offset1:16
	ds_read2_b32 v[38:39], v16 offset0:32 offset1:48
	ds_read2_b32 v[40:41], v16 offset0:64 offset1:80
	;; [unrolled: 1-line block ×4, first 2 shown]
	ds_read_b128 v[28:31], v17 offset:512
	ds_read_b128 v[32:35], v17 offset:528
	ds_read2_b32 v[46:47], v16 offset0:160 offset1:176
	ds_read2_b32 v[48:49], v16 offset0:192 offset1:208
	;; [unrolled: 1-line block ×3, first 2 shown]
	s_waitcnt lgkmcnt(9)
	v_pk_fma_f32 v[2:3], v[36:37], v[20:21], v[2:3] op_sel_hi:[1,0,1]
	s_waitcnt lgkmcnt(8)
	v_pk_fma_f32 v[2:3], v[38:39], v[20:21], v[2:3] op_sel:[0,1,0]
	s_waitcnt lgkmcnt(7)
	v_pk_fma_f32 v[2:3], v[40:41], v[22:23], v[2:3] op_sel_hi:[1,0,1]
	v_mov_b32_e32 v20, v23
	s_waitcnt lgkmcnt(6)
	v_pk_fma_f32 v[2:3], v[42:43], v[20:21], v[2:3] op_sel_hi:[1,0,1]
	s_waitcnt lgkmcnt(5)
	v_pk_fma_f32 v[2:3], v[44:45], v[24:25], v[2:3] op_sel_hi:[1,0,1]
	s_waitcnt lgkmcnt(2)
	v_pk_fma_f32 v[2:3], v[46:47], v[24:25], v[2:3] op_sel:[0,1,0]
	v_pk_fma_f32 v[0:1], v[36:37], v[28:29], v[0:1] op_sel_hi:[1,0,1]
	s_waitcnt lgkmcnt(1)
	v_pk_fma_f32 v[2:3], v[48:49], v[26:27], v[2:3] op_sel_hi:[1,0,1]
	v_mov_b32_e32 v20, v27
	v_pk_fma_f32 v[0:1], v[38:39], v[28:29], v[0:1] op_sel:[0,1,0]
	s_waitcnt lgkmcnt(0)
	v_pk_fma_f32 v[2:3], v[50:51], v[20:21], v[2:3] op_sel_hi:[1,0,1]
	v_pk_fma_f32 v[0:1], v[40:41], v[30:31], v[0:1] op_sel_hi:[1,0,1]
	v_mov_b32_e32 v20, v31
	v_add_co_u32_e32 v8, vcc, 32, v8
	v_pk_fma_f32 v[0:1], v[42:43], v[20:21], v[0:1] op_sel_hi:[1,0,1]
	v_addc_co_u32_e32 v9, vcc, 0, v9, vcc
	v_pk_fma_f32 v[0:1], v[44:45], v[32:33], v[0:1] op_sel_hi:[1,0,1]
	s_add_u32 s8, s8, 8
	v_add_co_u32_e32 v10, vcc, s6, v10
	v_pk_fma_f32 v[0:1], v[46:47], v[32:33], v[0:1] op_sel:[0,1,0]
	s_addc_u32 s9, s9, 0
	v_addc_co_u32_e32 v11, vcc, v11, v18, vcc
	v_pk_fma_f32 v[0:1], v[48:49], v[34:35], v[0:1] op_sel_hi:[1,0,1]
	v_mov_b32_e32 v20, v35
	v_cmp_lt_i64_e32 vcc, s[8:9], v[12:13]
	v_pk_fma_f32 v[0:1], v[50:51], v[20:21], v[0:1] op_sel_hi:[1,0,1]
	s_barrier
	s_cbranch_vccz .LBB194_7
.LBB194_3:                              ; =>This Inner Loop Header: Depth=1
	v_mov_b32_e32 v19, s9
	v_add_co_u32_e32 v20, vcc, s8, v4
	v_addc_co_u32_e32 v21, vcc, 0, v19, vcc
	v_cmp_gt_i64_e32 vcc, s[34:35], v[20:21]
	s_and_b64 s[20:21], s[0:1], vcc
	v_mov_b32_e32 v19, 0
	s_and_saveexec_b64 s[10:11], s[20:21]
	s_cbranch_execz .LBB194_5
; %bb.4:                                ;   in Loop: Header=BB194_3 Depth=1
	global_load_dword v19, v[10:11], off
.LBB194_5:                              ;   in Loop: Header=BB194_3 Depth=1
	s_or_b64 exec, exec, s[10:11]
	s_waitcnt vmcnt(0)
	ds_write_b32 v7, v19
	v_mov_b32_e32 v19, s9
	v_add_co_u32_e32 v20, vcc, s8, v6
	v_addc_co_u32_e32 v21, vcc, 0, v19, vcc
	v_cmp_gt_i64_e32 vcc, s[34:35], v[20:21]
	s_and_b64 s[20:21], vcc, s[2:3]
	v_mov_b32_e32 v19, 0
	s_and_saveexec_b64 s[10:11], s[20:21]
	s_cbranch_execz .LBB194_2
; %bb.6:                                ;   in Loop: Header=BB194_3 Depth=1
	global_load_dword v19, v[8:9], off
	s_branch .LBB194_2
.LBB194_7:
	s_load_dword s10, s[4:5], 0x18
	s_load_dword s11, s[4:5], 0x50
	s_lshl_b64 s[0:1], s[30:31], 2
	v_mov_b32_e32 v6, s43
	v_add_co_u32_e32 v4, vcc, s42, v5
	s_waitcnt lgkmcnt(0)
	s_add_u32 s20, s40, s0
	v_addc_co_u32_e32 v5, vcc, 0, v6, vcc
	v_cmp_neq_f32_e64 s[2:3], s11, 0
	s_addc_u32 s21, s41, s1
	v_cmp_gt_i64_e64 s[0:1], s[38:39], v[4:5]
	s_and_b64 vcc, exec, s[2:3]
	s_cbranch_vccnz .LBB194_20
; %bb.8:
	s_and_saveexec_b64 s[6:7], s[0:1]
	s_cbranch_execz .LBB194_18
; %bb.9:
	v_mov_b32_e32 v6, s19
	v_add_co_u32_e32 v8, vcc, s18, v14
	v_addc_co_u32_e32 v9, vcc, 0, v6, vcc
	v_mul_lo_u32 v10, v5, s28
	v_mul_lo_u32 v11, v4, s29
	v_mad_u64_u32 v[6:7], s[2:3], v4, s28, 0
	v_add3_u32 v7, v7, v11, v10
	v_lshlrev_b64 v[6:7], 2, v[6:7]
	v_mov_b32_e32 v11, s21
	v_add_co_u32_e64 v10, s[2:3], s20, v6
	v_cmp_gt_i64_e32 vcc, s[36:37], v[8:9]
	v_addc_co_u32_e64 v11, s[2:3], v11, v7, s[2:3]
	v_lshlrev_b64 v[6:7], 2, v[8:9]
	s_and_saveexec_b64 s[4:5], vcc
	s_cbranch_execz .LBB194_11
; %bb.10:
	v_add_co_u32_e64 v12, s[2:3], v10, v6
	v_addc_co_u32_e64 v13, s[2:3], v11, v7, s[2:3]
	v_mul_f32_e32 v15, s10, v2
	global_store_dword v[12:13], v15, off
.LBB194_11:
	s_or_b64 exec, exec, s[4:5]
	v_add_co_u32_e64 v8, s[2:3], 16, v8
	v_addc_co_u32_e64 v9, s[2:3], 0, v9, s[2:3]
	v_cmp_gt_i64_e64 s[2:3], s[36:37], v[8:9]
	s_and_saveexec_b64 s[8:9], s[2:3]
	s_cbranch_execz .LBB194_13
; %bb.12:
	v_add_co_u32_e64 v8, s[4:5], v10, v6
	v_addc_co_u32_e64 v9, s[4:5], v11, v7, s[4:5]
	v_mul_f32_e32 v12, s10, v3
	global_store_dword v[8:9], v12, off offset:64
.LBB194_13:
	s_or_b64 exec, exec, s[8:9]
	v_add_co_u32_e64 v8, s[4:5], 16, v4
	v_addc_co_u32_e64 v9, s[4:5], 0, v5, s[4:5]
	v_cmp_gt_i64_e64 s[4:5], s[38:39], v[8:9]
	s_and_b64 exec, exec, s[4:5]
	s_cbranch_execz .LBB194_18
; %bb.14:
	s_lshl_b64 s[4:5], s[28:29], 6
	v_mov_b32_e32 v8, s5
	v_add_co_u32_e64 v9, s[4:5], s4, v10
	v_addc_co_u32_e64 v8, s[4:5], v11, v8, s[4:5]
	v_add_co_u32_e64 v6, s[4:5], v9, v6
	v_addc_co_u32_e64 v7, s[4:5], v8, v7, s[4:5]
	s_and_saveexec_b64 s[4:5], vcc
	s_cbranch_execz .LBB194_16
; %bb.15:
	v_mul_f32_e32 v8, s10, v0
	global_store_dword v[6:7], v8, off
.LBB194_16:
	s_or_b64 exec, exec, s[4:5]
	s_and_b64 exec, exec, s[2:3]
	s_cbranch_execz .LBB194_18
; %bb.17:
	v_mul_f32_e32 v8, s10, v1
	global_store_dword v[6:7], v8, off offset:64
.LBB194_18:
	s_or_b64 exec, exec, s[6:7]
	s_cbranch_execz .LBB194_21
.LBB194_19:
	s_endpgm
.LBB194_20:
.LBB194_21:
	s_and_saveexec_b64 s[2:3], s[0:1]
	s_cbranch_execz .LBB194_19
; %bb.22:
	s_lshl_b64 s[0:1], s[16:17], 2
	s_add_u32 s2, s12, s0
	v_mov_b32_e32 v6, s19
	v_add_co_u32_e32 v8, vcc, s18, v14
	s_addc_u32 s3, s13, s1
	v_addc_co_u32_e32 v9, vcc, 0, v6, vcc
	v_mul_lo_u32 v10, v5, s14
	v_mul_lo_u32 v11, v4, s15
	v_mad_u64_u32 v[6:7], s[0:1], v4, s14, 0
	v_add3_u32 v7, v7, v11, v10
	v_mul_lo_u32 v10, v5, s28
	v_mul_lo_u32 v11, v4, s29
	v_mad_u64_u32 v[12:13], s[0:1], v4, s28, 0
	v_lshlrev_b64 v[6:7], 2, v[6:7]
	v_add3_u32 v13, v13, v11, v10
	v_mov_b32_e32 v11, s3
	v_add_co_u32_e64 v10, s[0:1], s2, v6
	v_addc_co_u32_e64 v11, s[0:1], v11, v7, s[0:1]
	v_lshlrev_b64 v[6:7], 2, v[12:13]
	v_mov_b32_e32 v13, s21
	v_add_co_u32_e64 v12, s[0:1], s20, v6
	v_cmp_gt_i64_e32 vcc, s[36:37], v[8:9]
	v_addc_co_u32_e64 v13, s[0:1], v13, v7, s[0:1]
	v_lshlrev_b64 v[6:7], 2, v[8:9]
	s_and_saveexec_b64 s[2:3], vcc
	s_cbranch_execz .LBB194_24
; %bb.23:
	v_add_co_u32_e64 v14, s[0:1], v10, v6
	v_addc_co_u32_e64 v15, s[0:1], v11, v7, s[0:1]
	global_load_dword v14, v[14:15], off
	s_waitcnt vmcnt(0)
	v_mul_f32_e32 v16, s11, v14
	v_add_co_u32_e64 v14, s[0:1], v12, v6
	v_fmac_f32_e32 v16, s10, v2
	v_addc_co_u32_e64 v15, s[0:1], v13, v7, s[0:1]
	global_store_dword v[14:15], v16, off
.LBB194_24:
	s_or_b64 exec, exec, s[2:3]
	v_add_co_u32_e64 v8, s[0:1], 16, v8
	v_addc_co_u32_e64 v9, s[0:1], 0, v9, s[0:1]
	v_cmp_gt_i64_e64 s[0:1], s[36:37], v[8:9]
	s_and_saveexec_b64 s[4:5], s[0:1]
	s_cbranch_execz .LBB194_26
; %bb.25:
	v_add_co_u32_e64 v8, s[2:3], v10, v6
	v_addc_co_u32_e64 v9, s[2:3], v11, v7, s[2:3]
	global_load_dword v2, v[8:9], off offset:64
	s_waitcnt vmcnt(0)
	v_mul_f32_e32 v8, s11, v2
	v_add_co_u32_e64 v2, s[2:3], v12, v6
	v_fmac_f32_e32 v8, s10, v3
	v_addc_co_u32_e64 v3, s[2:3], v13, v7, s[2:3]
	global_store_dword v[2:3], v8, off offset:64
.LBB194_26:
	s_or_b64 exec, exec, s[4:5]
	v_add_co_u32_e64 v2, s[2:3], 16, v4
	v_addc_co_u32_e64 v3, s[2:3], 0, v5, s[2:3]
	v_cmp_gt_i64_e64 s[2:3], s[38:39], v[2:3]
	s_and_b64 exec, exec, s[2:3]
	s_cbranch_execz .LBB194_19
; %bb.27:
	s_lshl_b64 s[2:3], s[14:15], 6
	v_mov_b32_e32 v2, s3
	v_add_co_u32_e64 v3, s[2:3], s2, v10
	v_addc_co_u32_e64 v4, s[2:3], v11, v2, s[2:3]
	s_lshl_b64 s[2:3], s[28:29], 6
	v_mov_b32_e32 v2, s3
	v_add_co_u32_e64 v5, s[2:3], s2, v12
	v_addc_co_u32_e64 v8, s[2:3], v13, v2, s[2:3]
	v_add_co_u32_e64 v2, s[2:3], v3, v6
	v_addc_co_u32_e64 v3, s[2:3], v4, v7, s[2:3]
	;; [unrolled: 2-line block ×3, first 2 shown]
	s_and_saveexec_b64 s[2:3], vcc
	s_cbranch_execz .LBB194_29
; %bb.28:
	global_load_dword v6, v[2:3], off
	s_waitcnt vmcnt(0)
	v_mul_f32_e32 v6, s11, v6
	v_fmac_f32_e32 v6, s10, v0
	global_store_dword v[4:5], v6, off
.LBB194_29:
	s_or_b64 exec, exec, s[2:3]
	s_and_b64 exec, exec, s[0:1]
	s_cbranch_execz .LBB194_19
; %bb.30:
	global_load_dword v0, v[2:3], off offset:64
	s_waitcnt vmcnt(0)
	v_mul_f32_e32 v0, s11, v0
	v_fmac_f32_e32 v0, s10, v1
	global_store_dword v[4:5], v0, off offset:64
	s_endpgm
	.section	.rodata,"a",@progbits
	.p2align	6, 0x0
	.amdhsa_kernel _ZN12_GLOBAL__N_135rocblas_gemm_batched_general_kernelIfLi16ELi16ELi32ELi32ELi8ELi32ELi8ELi8ELi32ELc78ELc78EKPKfS3_KPfEEvlllT_PT11_llS8_llS6_PT12_llPT13_lli
		.amdhsa_group_segment_fixed_size 2048
		.amdhsa_private_segment_fixed_size 0
		.amdhsa_kernarg_size 140
		.amdhsa_user_sgpr_count 6
		.amdhsa_user_sgpr_private_segment_buffer 1
		.amdhsa_user_sgpr_dispatch_ptr 0
		.amdhsa_user_sgpr_queue_ptr 0
		.amdhsa_user_sgpr_kernarg_segment_ptr 1
		.amdhsa_user_sgpr_dispatch_id 0
		.amdhsa_user_sgpr_flat_scratch_init 0
		.amdhsa_user_sgpr_kernarg_preload_length 0
		.amdhsa_user_sgpr_kernarg_preload_offset 0
		.amdhsa_user_sgpr_private_segment_size 0
		.amdhsa_uses_dynamic_stack 0
		.amdhsa_system_sgpr_private_segment_wavefront_offset 0
		.amdhsa_system_sgpr_workgroup_id_x 1
		.amdhsa_system_sgpr_workgroup_id_y 1
		.amdhsa_system_sgpr_workgroup_id_z 1
		.amdhsa_system_sgpr_workgroup_info 0
		.amdhsa_system_vgpr_workitem_id 1
		.amdhsa_next_free_vgpr 52
		.amdhsa_next_free_sgpr 44
		.amdhsa_accum_offset 52
		.amdhsa_reserve_vcc 1
		.amdhsa_reserve_flat_scratch 0
		.amdhsa_float_round_mode_32 0
		.amdhsa_float_round_mode_16_64 0
		.amdhsa_float_denorm_mode_32 3
		.amdhsa_float_denorm_mode_16_64 3
		.amdhsa_dx10_clamp 1
		.amdhsa_ieee_mode 1
		.amdhsa_fp16_overflow 0
		.amdhsa_tg_split 0
		.amdhsa_exception_fp_ieee_invalid_op 0
		.amdhsa_exception_fp_denorm_src 0
		.amdhsa_exception_fp_ieee_div_zero 0
		.amdhsa_exception_fp_ieee_overflow 0
		.amdhsa_exception_fp_ieee_underflow 0
		.amdhsa_exception_fp_ieee_inexact 0
		.amdhsa_exception_int_div_zero 0
	.end_amdhsa_kernel
	.section	.text._ZN12_GLOBAL__N_135rocblas_gemm_batched_general_kernelIfLi16ELi16ELi32ELi32ELi8ELi32ELi8ELi8ELi32ELc78ELc78EKPKfS3_KPfEEvlllT_PT11_llS8_llS6_PT12_llPT13_lli,"axG",@progbits,_ZN12_GLOBAL__N_135rocblas_gemm_batched_general_kernelIfLi16ELi16ELi32ELi32ELi8ELi32ELi8ELi8ELi32ELc78ELc78EKPKfS3_KPfEEvlllT_PT11_llS8_llS6_PT12_llPT13_lli,comdat
.Lfunc_end194:
	.size	_ZN12_GLOBAL__N_135rocblas_gemm_batched_general_kernelIfLi16ELi16ELi32ELi32ELi8ELi32ELi8ELi8ELi32ELc78ELc78EKPKfS3_KPfEEvlllT_PT11_llS8_llS6_PT12_llPT13_lli, .Lfunc_end194-_ZN12_GLOBAL__N_135rocblas_gemm_batched_general_kernelIfLi16ELi16ELi32ELi32ELi8ELi32ELi8ELi8ELi32ELc78ELc78EKPKfS3_KPfEEvlllT_PT11_llS8_llS6_PT12_llPT13_lli
                                        ; -- End function
	.section	.AMDGPU.csdata,"",@progbits
; Kernel info:
; codeLenInByte = 1856
; NumSgprs: 48
; NumVgprs: 52
; NumAgprs: 0
; TotalNumVgprs: 52
; ScratchSize: 0
; MemoryBound: 0
; FloatMode: 240
; IeeeMode: 1
; LDSByteSize: 2048 bytes/workgroup (compile time only)
; SGPRBlocks: 5
; VGPRBlocks: 6
; NumSGPRsForWavesPerEU: 48
; NumVGPRsForWavesPerEU: 52
; AccumOffset: 52
; Occupancy: 8
; WaveLimiterHint : 1
; COMPUTE_PGM_RSRC2:SCRATCH_EN: 0
; COMPUTE_PGM_RSRC2:USER_SGPR: 6
; COMPUTE_PGM_RSRC2:TRAP_HANDLER: 0
; COMPUTE_PGM_RSRC2:TGID_X_EN: 1
; COMPUTE_PGM_RSRC2:TGID_Y_EN: 1
; COMPUTE_PGM_RSRC2:TGID_Z_EN: 1
; COMPUTE_PGM_RSRC2:TIDIG_COMP_CNT: 1
; COMPUTE_PGM_RSRC3_GFX90A:ACCUM_OFFSET: 12
; COMPUTE_PGM_RSRC3_GFX90A:TG_SPLIT: 0
	.section	.text._ZN12_GLOBAL__N_135rocblas_gemm_batched_general_kernelIfLi16ELi16ELi32ELi32ELi8ELi32ELi8ELi8ELi32ELc84ELc78EKPKfS3_KPfEEvlllT_PT11_llS8_llS6_PT12_llPT13_lli,"axG",@progbits,_ZN12_GLOBAL__N_135rocblas_gemm_batched_general_kernelIfLi16ELi16ELi32ELi32ELi8ELi32ELi8ELi8ELi32ELc84ELc78EKPKfS3_KPfEEvlllT_PT11_llS8_llS6_PT12_llPT13_lli,comdat
	.globl	_ZN12_GLOBAL__N_135rocblas_gemm_batched_general_kernelIfLi16ELi16ELi32ELi32ELi8ELi32ELi8ELi8ELi32ELc84ELc78EKPKfS3_KPfEEvlllT_PT11_llS8_llS6_PT12_llPT13_lli ; -- Begin function _ZN12_GLOBAL__N_135rocblas_gemm_batched_general_kernelIfLi16ELi16ELi32ELi32ELi8ELi32ELi8ELi8ELi32ELc84ELc78EKPKfS3_KPfEEvlllT_PT11_llS8_llS6_PT12_llPT13_lli
	.p2align	8
	.type	_ZN12_GLOBAL__N_135rocblas_gemm_batched_general_kernelIfLi16ELi16ELi32ELi32ELi8ELi32ELi8ELi8ELi32ELc84ELc78EKPKfS3_KPfEEvlllT_PT11_llS8_llS6_PT12_llPT13_lli,@function
_ZN12_GLOBAL__N_135rocblas_gemm_batched_general_kernelIfLi16ELi16ELi32ELi32ELi8ELi32ELi8ELi8ELi32ELc84ELc78EKPKfS3_KPfEEvlllT_PT11_llS8_llS6_PT12_llPT13_lli: ; @_ZN12_GLOBAL__N_135rocblas_gemm_batched_general_kernelIfLi16ELi16ELi32ELi32ELi8ELi32ELi8ELi8ELi32ELc84ELc78EKPKfS3_KPfEEvlllT_PT11_llS8_llS6_PT12_llPT13_lli
; %bb.0:
	s_load_dwordx4 s[36:39], s[4:5], 0x0
	s_load_dwordx2 s[34:35], s[4:5], 0x10
	s_load_dwordx4 s[28:31], s[4:5], 0x78
	s_load_dwordx8 s[12:19], s[4:5], 0x58
	s_mov_b32 s9, 0
	s_lshl_b64 s[0:1], s[8:9], 3
	s_mov_b32 s2, s7
	v_mov_b32_e32 v3, 0
	s_waitcnt lgkmcnt(0)
	s_add_u32 s8, s12, s0
	s_addc_u32 s9, s13, s1
	s_load_dwordx2 s[12:13], s[8:9], 0x0
	s_add_u32 s8, s18, s0
	s_addc_u32 s9, s19, s1
	s_load_dwordx2 s[18:19], s[8:9], 0x0
	s_ashr_i32 s3, s2, 31
	s_ashr_i32 s7, s6, 31
	s_lshl_b64 s[40:41], s[2:3], 5
	v_cmp_lt_i64_e64 s[2:3], s[34:35], 1
	v_and_b32_e32 v14, 0x3ff, v0
	v_bfe_u32 v5, v0, 10, 10
	s_lshl_b64 s[6:7], s[6:7], 5
	s_and_b64 vcc, exec, s[2:3]
	v_mov_b32_e32 v2, v3
	v_mov_b32_e32 v1, v3
	;; [unrolled: 1-line block ×3, first 2 shown]
	s_cbranch_vccnz .LBB195_7
; %bb.1:
	s_load_dwordx8 s[20:27], s[4:5], 0x20
	s_load_dwordx4 s[8:11], s[4:5], 0x40
	v_lshl_add_u32 v1, v5, 4, v14
	v_lshrrev_b32_e32 v4, 5, v1
	v_lshrrev_b32_e32 v10, 3, v1
	s_waitcnt lgkmcnt(0)
	s_add_u32 s2, s26, s0
	s_addc_u32 s3, s27, s1
	s_add_u32 s0, s20, s0
	v_and_b32_e32 v1, 31, v1
	v_and_b32_e32 v6, 7, v14
	s_addc_u32 s1, s21, s1
	v_mov_b32_e32 v9, s7
	v_or_b32_e32 v8, s6, v1
	s_load_dwordx2 s[20:21], s[0:1], 0x0
	v_cmp_gt_i64_e64 s[0:1], s[36:37], v[8:9]
	v_lshlrev_b32_e32 v8, 2, v6
	v_mov_b32_e32 v3, s41
	v_add_co_u32_e32 v2, vcc, s40, v10
	v_lshl_or_b32 v9, v10, 5, v8
	v_addc_co_u32_e32 v3, vcc, 0, v3, vcc
	v_add_u32_e32 v15, 0x400, v9
	v_mov_b32_e32 v9, 0x400
	s_load_dwordx2 s[26:27], s[2:3], 0x0
	v_cmp_gt_i64_e64 s[2:3], s[38:39], v[2:3]
	v_lshl_add_u32 v17, v5, 5, v9
	v_mul_lo_u32 v9, s9, v2
	v_mul_lo_u32 v10, s8, v3
	v_mad_u64_u32 v[2:3], s[8:9], s8, v2, 0
	v_add3_u32 v3, v3, v10, v9
	v_lshlrev_b64 v[2:3], 2, v[2:3]
	s_lshl_b64 s[8:9], s[10:11], 2
	v_mov_b32_e32 v9, s9
	v_add_co_u32_e32 v2, vcc, s8, v2
	v_addc_co_u32_e32 v3, vcc, v3, v9, vcc
	v_add_co_u32_e32 v2, vcc, v2, v8
	v_addc_co_u32_e32 v3, vcc, 0, v3, vcc
	s_waitcnt lgkmcnt(0)
	v_mov_b32_e32 v9, s27
	v_add_co_u32_e32 v8, vcc, s26, v2
	v_addc_co_u32_e32 v9, vcc, v9, v3, vcc
	v_lshlrev_b32_e32 v7, 2, v1
	v_mov_b32_e32 v2, s7
	v_add_co_u32_e32 v1, vcc, s6, v1
	v_addc_co_u32_e32 v2, vcc, 0, v2, vcc
	v_mul_lo_u32 v10, s23, v1
	v_mul_lo_u32 v11, s22, v2
	v_mad_u64_u32 v[2:3], s[8:9], s22, v1, 0
	v_add3_u32 v3, v3, v11, v10
	v_lshlrev_b64 v[2:3], 2, v[2:3]
	s_lshl_b64 s[8:9], s[24:25], 2
	v_mov_b32_e32 v1, s9
	v_add_co_u32_e32 v2, vcc, s8, v2
	v_addc_co_u32_e32 v1, vcc, v3, v1, vcc
	v_lshlrev_b32_e32 v3, 2, v4
	v_add_co_u32_e32 v2, vcc, v2, v3
	v_addc_co_u32_e32 v1, vcc, 0, v1, vcc
	v_mov_b32_e32 v0, 0
	v_mov_b32_e32 v3, s21
	v_add_co_u32_e32 v10, vcc, s20, v2
	v_lshl_or_b32 v7, v4, 7, v7
	v_lshlrev_b32_e32 v16, 2, v14
	v_addc_co_u32_e32 v11, vcc, v3, v1, vcc
	s_mov_b64 s[8:9], 0
	v_pk_mov_b32 v[12:13], s[34:35], s[34:35] op_sel:[0,1]
	v_mov_b32_e32 v1, v0
	v_mov_b32_e32 v2, v0
	v_mov_b32_e32 v3, v0
	s_branch .LBB195_3
.LBB195_2:                              ;   in Loop: Header=BB195_3 Depth=1
	s_or_b64 exec, exec, s[10:11]
	s_waitcnt vmcnt(0)
	ds_write_b32 v15, v18
	s_waitcnt lgkmcnt(0)
	s_barrier
	ds_read_b128 v[18:21], v17
	ds_read_b128 v[22:25], v17 offset:16
	ds_read2_b32 v[34:35], v16 offset1:16
	ds_read2_b32 v[36:37], v16 offset0:32 offset1:48
	ds_read2_b32 v[38:39], v16 offset0:64 offset1:80
	ds_read2_b32 v[40:41], v16 offset0:96 offset1:112
	ds_read2_b32 v[42:43], v16 offset0:128 offset1:144
	ds_read_b128 v[26:29], v17 offset:512
	ds_read_b128 v[30:33], v17 offset:528
	ds_read2_b32 v[44:45], v16 offset0:160 offset1:176
	ds_read2_b32 v[46:47], v16 offset0:192 offset1:208
	;; [unrolled: 1-line block ×3, first 2 shown]
	s_waitcnt lgkmcnt(9)
	v_pk_fma_f32 v[2:3], v[34:35], v[18:19], v[2:3] op_sel_hi:[1,0,1]
	s_waitcnt lgkmcnt(8)
	v_pk_fma_f32 v[2:3], v[36:37], v[18:19], v[2:3] op_sel:[0,1,0]
	s_waitcnt lgkmcnt(7)
	v_pk_fma_f32 v[2:3], v[38:39], v[20:21], v[2:3] op_sel_hi:[1,0,1]
	v_mov_b32_e32 v18, v21
	s_waitcnt lgkmcnt(6)
	v_pk_fma_f32 v[2:3], v[40:41], v[18:19], v[2:3] op_sel_hi:[1,0,1]
	s_waitcnt lgkmcnt(5)
	v_pk_fma_f32 v[2:3], v[42:43], v[22:23], v[2:3] op_sel_hi:[1,0,1]
	s_waitcnt lgkmcnt(2)
	v_pk_fma_f32 v[2:3], v[44:45], v[22:23], v[2:3] op_sel:[0,1,0]
	v_pk_fma_f32 v[0:1], v[34:35], v[26:27], v[0:1] op_sel_hi:[1,0,1]
	s_waitcnt lgkmcnt(1)
	v_pk_fma_f32 v[2:3], v[46:47], v[24:25], v[2:3] op_sel_hi:[1,0,1]
	v_mov_b32_e32 v18, v25
	v_pk_fma_f32 v[0:1], v[36:37], v[26:27], v[0:1] op_sel:[0,1,0]
	s_waitcnt lgkmcnt(0)
	v_pk_fma_f32 v[2:3], v[48:49], v[18:19], v[2:3] op_sel_hi:[1,0,1]
	v_pk_fma_f32 v[0:1], v[38:39], v[28:29], v[0:1] op_sel_hi:[1,0,1]
	v_mov_b32_e32 v18, v29
	v_add_co_u32_e32 v8, vcc, 32, v8
	v_pk_fma_f32 v[0:1], v[40:41], v[18:19], v[0:1] op_sel_hi:[1,0,1]
	v_addc_co_u32_e32 v9, vcc, 0, v9, vcc
	v_pk_fma_f32 v[0:1], v[42:43], v[30:31], v[0:1] op_sel_hi:[1,0,1]
	s_add_u32 s8, s8, 8
	v_add_co_u32_e32 v10, vcc, 32, v10
	v_pk_fma_f32 v[0:1], v[44:45], v[30:31], v[0:1] op_sel:[0,1,0]
	s_addc_u32 s9, s9, 0
	v_addc_co_u32_e32 v11, vcc, 0, v11, vcc
	v_pk_fma_f32 v[0:1], v[46:47], v[32:33], v[0:1] op_sel_hi:[1,0,1]
	v_mov_b32_e32 v18, v33
	v_cmp_lt_i64_e32 vcc, s[8:9], v[12:13]
	v_pk_fma_f32 v[0:1], v[48:49], v[18:19], v[0:1] op_sel_hi:[1,0,1]
	s_barrier
	s_cbranch_vccz .LBB195_7
.LBB195_3:                              ; =>This Inner Loop Header: Depth=1
	v_mov_b32_e32 v19, s9
	v_add_co_u32_e32 v18, vcc, s8, v4
	v_addc_co_u32_e32 v19, vcc, 0, v19, vcc
	v_cmp_gt_i64_e32 vcc, s[34:35], v[18:19]
	s_and_b64 s[20:21], s[0:1], vcc
	v_mov_b32_e32 v18, 0
	s_and_saveexec_b64 s[10:11], s[20:21]
	s_cbranch_execz .LBB195_5
; %bb.4:                                ;   in Loop: Header=BB195_3 Depth=1
	global_load_dword v18, v[10:11], off
.LBB195_5:                              ;   in Loop: Header=BB195_3 Depth=1
	s_or_b64 exec, exec, s[10:11]
	s_waitcnt vmcnt(0)
	ds_write_b32 v7, v18
	v_mov_b32_e32 v19, s9
	v_add_co_u32_e32 v18, vcc, s8, v6
	v_addc_co_u32_e32 v19, vcc, 0, v19, vcc
	v_cmp_gt_i64_e32 vcc, s[34:35], v[18:19]
	s_and_b64 s[20:21], vcc, s[2:3]
	v_mov_b32_e32 v18, 0
	s_and_saveexec_b64 s[10:11], s[20:21]
	s_cbranch_execz .LBB195_2
; %bb.6:                                ;   in Loop: Header=BB195_3 Depth=1
	global_load_dword v18, v[8:9], off
	s_branch .LBB195_2
.LBB195_7:
	s_load_dword s20, s[4:5], 0x18
	s_load_dword s21, s[4:5], 0x50
	s_lshl_b64 s[0:1], s[30:31], 2
	v_mov_b32_e32 v6, s41
	v_add_co_u32_e32 v4, vcc, s40, v5
	s_waitcnt lgkmcnt(0)
	s_add_u32 s18, s18, s0
	v_addc_co_u32_e32 v5, vcc, 0, v6, vcc
	v_cmp_neq_f32_e64 s[2:3], s21, 0
	s_addc_u32 s19, s19, s1
	v_cmp_gt_i64_e64 s[0:1], s[38:39], v[4:5]
	s_and_b64 vcc, exec, s[2:3]
	s_cbranch_vccnz .LBB195_20
; %bb.8:
	s_and_saveexec_b64 s[8:9], s[0:1]
	s_cbranch_execz .LBB195_18
; %bb.9:
	v_mov_b32_e32 v6, s7
	v_add_co_u32_e32 v8, vcc, s6, v14
	v_addc_co_u32_e32 v9, vcc, 0, v6, vcc
	v_mul_lo_u32 v10, v5, s28
	v_mul_lo_u32 v11, v4, s29
	v_mad_u64_u32 v[6:7], s[2:3], v4, s28, 0
	v_add3_u32 v7, v7, v11, v10
	v_lshlrev_b64 v[6:7], 2, v[6:7]
	v_mov_b32_e32 v11, s19
	v_add_co_u32_e64 v10, s[2:3], s18, v6
	v_cmp_gt_i64_e32 vcc, s[36:37], v[8:9]
	v_addc_co_u32_e64 v11, s[2:3], v11, v7, s[2:3]
	v_lshlrev_b64 v[6:7], 2, v[8:9]
	s_and_saveexec_b64 s[4:5], vcc
	s_cbranch_execz .LBB195_11
; %bb.10:
	v_add_co_u32_e64 v12, s[2:3], v10, v6
	v_addc_co_u32_e64 v13, s[2:3], v11, v7, s[2:3]
	v_mul_f32_e32 v15, s20, v2
	global_store_dword v[12:13], v15, off
.LBB195_11:
	s_or_b64 exec, exec, s[4:5]
	v_add_co_u32_e64 v8, s[2:3], 16, v8
	v_addc_co_u32_e64 v9, s[2:3], 0, v9, s[2:3]
	v_cmp_gt_i64_e64 s[2:3], s[36:37], v[8:9]
	s_and_saveexec_b64 s[10:11], s[2:3]
	s_cbranch_execz .LBB195_13
; %bb.12:
	v_add_co_u32_e64 v8, s[4:5], v10, v6
	v_addc_co_u32_e64 v9, s[4:5], v11, v7, s[4:5]
	v_mul_f32_e32 v12, s20, v3
	global_store_dword v[8:9], v12, off offset:64
.LBB195_13:
	s_or_b64 exec, exec, s[10:11]
	v_add_co_u32_e64 v8, s[4:5], 16, v4
	v_addc_co_u32_e64 v9, s[4:5], 0, v5, s[4:5]
	v_cmp_gt_i64_e64 s[4:5], s[38:39], v[8:9]
	s_and_b64 exec, exec, s[4:5]
	s_cbranch_execz .LBB195_18
; %bb.14:
	s_lshl_b64 s[4:5], s[28:29], 6
	v_mov_b32_e32 v8, s5
	v_add_co_u32_e64 v9, s[4:5], s4, v10
	v_addc_co_u32_e64 v8, s[4:5], v11, v8, s[4:5]
	v_add_co_u32_e64 v6, s[4:5], v9, v6
	v_addc_co_u32_e64 v7, s[4:5], v8, v7, s[4:5]
	s_and_saveexec_b64 s[4:5], vcc
	s_cbranch_execz .LBB195_16
; %bb.15:
	v_mul_f32_e32 v8, s20, v0
	global_store_dword v[6:7], v8, off
.LBB195_16:
	s_or_b64 exec, exec, s[4:5]
	s_and_b64 exec, exec, s[2:3]
	s_cbranch_execz .LBB195_18
; %bb.17:
	v_mul_f32_e32 v8, s20, v1
	global_store_dword v[6:7], v8, off offset:64
.LBB195_18:
	s_or_b64 exec, exec, s[8:9]
	s_cbranch_execz .LBB195_21
.LBB195_19:
	s_endpgm
.LBB195_20:
.LBB195_21:
	s_and_saveexec_b64 s[2:3], s[0:1]
	s_cbranch_execz .LBB195_19
; %bb.22:
	s_lshl_b64 s[0:1], s[16:17], 2
	s_add_u32 s2, s12, s0
	v_mov_b32_e32 v6, s7
	v_add_co_u32_e32 v8, vcc, s6, v14
	s_addc_u32 s3, s13, s1
	v_addc_co_u32_e32 v9, vcc, 0, v6, vcc
	v_mul_lo_u32 v10, v5, s14
	v_mul_lo_u32 v11, v4, s15
	v_mad_u64_u32 v[6:7], s[0:1], v4, s14, 0
	v_add3_u32 v7, v7, v11, v10
	v_mul_lo_u32 v10, v5, s28
	v_mul_lo_u32 v11, v4, s29
	v_mad_u64_u32 v[12:13], s[0:1], v4, s28, 0
	v_lshlrev_b64 v[6:7], 2, v[6:7]
	v_add3_u32 v13, v13, v11, v10
	v_mov_b32_e32 v11, s3
	v_add_co_u32_e64 v10, s[0:1], s2, v6
	v_addc_co_u32_e64 v11, s[0:1], v11, v7, s[0:1]
	v_lshlrev_b64 v[6:7], 2, v[12:13]
	v_mov_b32_e32 v13, s19
	v_add_co_u32_e64 v12, s[0:1], s18, v6
	v_cmp_gt_i64_e32 vcc, s[36:37], v[8:9]
	v_addc_co_u32_e64 v13, s[0:1], v13, v7, s[0:1]
	v_lshlrev_b64 v[6:7], 2, v[8:9]
	s_and_saveexec_b64 s[2:3], vcc
	s_cbranch_execz .LBB195_24
; %bb.23:
	v_add_co_u32_e64 v14, s[0:1], v10, v6
	v_addc_co_u32_e64 v15, s[0:1], v11, v7, s[0:1]
	global_load_dword v14, v[14:15], off
	s_waitcnt vmcnt(0)
	v_mul_f32_e32 v16, s21, v14
	v_add_co_u32_e64 v14, s[0:1], v12, v6
	v_fmac_f32_e32 v16, s20, v2
	v_addc_co_u32_e64 v15, s[0:1], v13, v7, s[0:1]
	global_store_dword v[14:15], v16, off
.LBB195_24:
	s_or_b64 exec, exec, s[2:3]
	v_add_co_u32_e64 v8, s[0:1], 16, v8
	v_addc_co_u32_e64 v9, s[0:1], 0, v9, s[0:1]
	v_cmp_gt_i64_e64 s[0:1], s[36:37], v[8:9]
	s_and_saveexec_b64 s[4:5], s[0:1]
	s_cbranch_execz .LBB195_26
; %bb.25:
	v_add_co_u32_e64 v8, s[2:3], v10, v6
	v_addc_co_u32_e64 v9, s[2:3], v11, v7, s[2:3]
	global_load_dword v2, v[8:9], off offset:64
	s_waitcnt vmcnt(0)
	v_mul_f32_e32 v8, s21, v2
	v_add_co_u32_e64 v2, s[2:3], v12, v6
	v_fmac_f32_e32 v8, s20, v3
	v_addc_co_u32_e64 v3, s[2:3], v13, v7, s[2:3]
	global_store_dword v[2:3], v8, off offset:64
.LBB195_26:
	s_or_b64 exec, exec, s[4:5]
	v_add_co_u32_e64 v2, s[2:3], 16, v4
	v_addc_co_u32_e64 v3, s[2:3], 0, v5, s[2:3]
	v_cmp_gt_i64_e64 s[2:3], s[38:39], v[2:3]
	s_and_b64 exec, exec, s[2:3]
	s_cbranch_execz .LBB195_19
; %bb.27:
	s_lshl_b64 s[2:3], s[14:15], 6
	v_mov_b32_e32 v2, s3
	v_add_co_u32_e64 v3, s[2:3], s2, v10
	v_addc_co_u32_e64 v4, s[2:3], v11, v2, s[2:3]
	s_lshl_b64 s[2:3], s[28:29], 6
	v_mov_b32_e32 v2, s3
	v_add_co_u32_e64 v5, s[2:3], s2, v12
	v_addc_co_u32_e64 v8, s[2:3], v13, v2, s[2:3]
	v_add_co_u32_e64 v2, s[2:3], v3, v6
	v_addc_co_u32_e64 v3, s[2:3], v4, v7, s[2:3]
	;; [unrolled: 2-line block ×3, first 2 shown]
	s_and_saveexec_b64 s[2:3], vcc
	s_cbranch_execz .LBB195_29
; %bb.28:
	global_load_dword v6, v[2:3], off
	s_waitcnt vmcnt(0)
	v_mul_f32_e32 v6, s21, v6
	v_fmac_f32_e32 v6, s20, v0
	global_store_dword v[4:5], v6, off
.LBB195_29:
	s_or_b64 exec, exec, s[2:3]
	s_and_b64 exec, exec, s[0:1]
	s_cbranch_execz .LBB195_19
; %bb.30:
	global_load_dword v0, v[2:3], off offset:64
	s_waitcnt vmcnt(0)
	v_mul_f32_e32 v0, s21, v0
	v_fmac_f32_e32 v0, s20, v1
	global_store_dword v[4:5], v0, off offset:64
	s_endpgm
	.section	.rodata,"a",@progbits
	.p2align	6, 0x0
	.amdhsa_kernel _ZN12_GLOBAL__N_135rocblas_gemm_batched_general_kernelIfLi16ELi16ELi32ELi32ELi8ELi32ELi8ELi8ELi32ELc84ELc78EKPKfS3_KPfEEvlllT_PT11_llS8_llS6_PT12_llPT13_lli
		.amdhsa_group_segment_fixed_size 2048
		.amdhsa_private_segment_fixed_size 0
		.amdhsa_kernarg_size 140
		.amdhsa_user_sgpr_count 6
		.amdhsa_user_sgpr_private_segment_buffer 1
		.amdhsa_user_sgpr_dispatch_ptr 0
		.amdhsa_user_sgpr_queue_ptr 0
		.amdhsa_user_sgpr_kernarg_segment_ptr 1
		.amdhsa_user_sgpr_dispatch_id 0
		.amdhsa_user_sgpr_flat_scratch_init 0
		.amdhsa_user_sgpr_kernarg_preload_length 0
		.amdhsa_user_sgpr_kernarg_preload_offset 0
		.amdhsa_user_sgpr_private_segment_size 0
		.amdhsa_uses_dynamic_stack 0
		.amdhsa_system_sgpr_private_segment_wavefront_offset 0
		.amdhsa_system_sgpr_workgroup_id_x 1
		.amdhsa_system_sgpr_workgroup_id_y 1
		.amdhsa_system_sgpr_workgroup_id_z 1
		.amdhsa_system_sgpr_workgroup_info 0
		.amdhsa_system_vgpr_workitem_id 1
		.amdhsa_next_free_vgpr 50
		.amdhsa_next_free_sgpr 42
		.amdhsa_accum_offset 52
		.amdhsa_reserve_vcc 1
		.amdhsa_reserve_flat_scratch 0
		.amdhsa_float_round_mode_32 0
		.amdhsa_float_round_mode_16_64 0
		.amdhsa_float_denorm_mode_32 3
		.amdhsa_float_denorm_mode_16_64 3
		.amdhsa_dx10_clamp 1
		.amdhsa_ieee_mode 1
		.amdhsa_fp16_overflow 0
		.amdhsa_tg_split 0
		.amdhsa_exception_fp_ieee_invalid_op 0
		.amdhsa_exception_fp_denorm_src 0
		.amdhsa_exception_fp_ieee_div_zero 0
		.amdhsa_exception_fp_ieee_overflow 0
		.amdhsa_exception_fp_ieee_underflow 0
		.amdhsa_exception_fp_ieee_inexact 0
		.amdhsa_exception_int_div_zero 0
	.end_amdhsa_kernel
	.section	.text._ZN12_GLOBAL__N_135rocblas_gemm_batched_general_kernelIfLi16ELi16ELi32ELi32ELi8ELi32ELi8ELi8ELi32ELc84ELc78EKPKfS3_KPfEEvlllT_PT11_llS8_llS6_PT12_llPT13_lli,"axG",@progbits,_ZN12_GLOBAL__N_135rocblas_gemm_batched_general_kernelIfLi16ELi16ELi32ELi32ELi8ELi32ELi8ELi8ELi32ELc84ELc78EKPKfS3_KPfEEvlllT_PT11_llS8_llS6_PT12_llPT13_lli,comdat
.Lfunc_end195:
	.size	_ZN12_GLOBAL__N_135rocblas_gemm_batched_general_kernelIfLi16ELi16ELi32ELi32ELi8ELi32ELi8ELi8ELi32ELc84ELc78EKPKfS3_KPfEEvlllT_PT11_llS8_llS6_PT12_llPT13_lli, .Lfunc_end195-_ZN12_GLOBAL__N_135rocblas_gemm_batched_general_kernelIfLi16ELi16ELi32ELi32ELi8ELi32ELi8ELi8ELi32ELc84ELc78EKPKfS3_KPfEEvlllT_PT11_llS8_llS6_PT12_llPT13_lli
                                        ; -- End function
	.section	.AMDGPU.csdata,"",@progbits
; Kernel info:
; codeLenInByte = 1860
; NumSgprs: 46
; NumVgprs: 50
; NumAgprs: 0
; TotalNumVgprs: 50
; ScratchSize: 0
; MemoryBound: 0
; FloatMode: 240
; IeeeMode: 1
; LDSByteSize: 2048 bytes/workgroup (compile time only)
; SGPRBlocks: 5
; VGPRBlocks: 6
; NumSGPRsForWavesPerEU: 46
; NumVGPRsForWavesPerEU: 50
; AccumOffset: 52
; Occupancy: 8
; WaveLimiterHint : 1
; COMPUTE_PGM_RSRC2:SCRATCH_EN: 0
; COMPUTE_PGM_RSRC2:USER_SGPR: 6
; COMPUTE_PGM_RSRC2:TRAP_HANDLER: 0
; COMPUTE_PGM_RSRC2:TGID_X_EN: 1
; COMPUTE_PGM_RSRC2:TGID_Y_EN: 1
; COMPUTE_PGM_RSRC2:TGID_Z_EN: 1
; COMPUTE_PGM_RSRC2:TIDIG_COMP_CNT: 1
; COMPUTE_PGM_RSRC3_GFX90A:ACCUM_OFFSET: 12
; COMPUTE_PGM_RSRC3_GFX90A:TG_SPLIT: 0
	.section	.text._ZN12_GLOBAL__N_135rocblas_gemm_batched_general_kernelIfLi16ELi16ELi32ELi32ELi8ELi32ELi8ELi8ELi32ELc78ELc84EKPKfS3_KPfEEvlllT_PT11_llS8_llS6_PT12_llPT13_lli,"axG",@progbits,_ZN12_GLOBAL__N_135rocblas_gemm_batched_general_kernelIfLi16ELi16ELi32ELi32ELi8ELi32ELi8ELi8ELi32ELc78ELc84EKPKfS3_KPfEEvlllT_PT11_llS8_llS6_PT12_llPT13_lli,comdat
	.globl	_ZN12_GLOBAL__N_135rocblas_gemm_batched_general_kernelIfLi16ELi16ELi32ELi32ELi8ELi32ELi8ELi8ELi32ELc78ELc84EKPKfS3_KPfEEvlllT_PT11_llS8_llS6_PT12_llPT13_lli ; -- Begin function _ZN12_GLOBAL__N_135rocblas_gemm_batched_general_kernelIfLi16ELi16ELi32ELi32ELi8ELi32ELi8ELi8ELi32ELc78ELc84EKPKfS3_KPfEEvlllT_PT11_llS8_llS6_PT12_llPT13_lli
	.p2align	8
	.type	_ZN12_GLOBAL__N_135rocblas_gemm_batched_general_kernelIfLi16ELi16ELi32ELi32ELi8ELi32ELi8ELi8ELi32ELc78ELc84EKPKfS3_KPfEEvlllT_PT11_llS8_llS6_PT12_llPT13_lli,@function
_ZN12_GLOBAL__N_135rocblas_gemm_batched_general_kernelIfLi16ELi16ELi32ELi32ELi8ELi32ELi8ELi8ELi32ELc78ELc84EKPKfS3_KPfEEvlllT_PT11_llS8_llS6_PT12_llPT13_lli: ; @_ZN12_GLOBAL__N_135rocblas_gemm_batched_general_kernelIfLi16ELi16ELi32ELi32ELi8ELi32ELi8ELi8ELi32ELc78ELc84EKPKfS3_KPfEEvlllT_PT11_llS8_llS6_PT12_llPT13_lli
; %bb.0:
	s_load_dwordx4 s[36:39], s[4:5], 0x0
	s_load_dwordx2 s[34:35], s[4:5], 0x10
	s_load_dwordx4 s[28:31], s[4:5], 0x78
	s_load_dwordx8 s[12:19], s[4:5], 0x58
	s_mov_b32 s9, 0
	s_lshl_b64 s[0:1], s[8:9], 3
	s_mov_b32 s44, s7
	v_mov_b32_e32 v3, 0
	s_waitcnt lgkmcnt(0)
	s_add_u32 s2, s12, s0
	s_addc_u32 s3, s13, s1
	s_load_dwordx2 s[12:13], s[2:3], 0x0
	s_add_u32 s2, s18, s0
	s_addc_u32 s3, s19, s1
	s_load_dwordx2 s[40:41], s[2:3], 0x0
	s_ashr_i32 s7, s6, 31
	s_ashr_i32 s45, s44, 31
	v_cmp_lt_i64_e64 s[2:3], s[34:35], 1
	v_and_b32_e32 v14, 0x3ff, v0
	v_bfe_u32 v5, v0, 10, 10
	s_lshl_b64 s[18:19], s[6:7], 5
	s_lshl_b64 s[42:43], s[44:45], 5
	s_and_b64 vcc, exec, s[2:3]
	v_mov_b32_e32 v2, v3
	v_mov_b32_e32 v1, v3
	v_mov_b32_e32 v0, v3
	s_cbranch_vccnz .LBB196_7
; %bb.1:
	s_load_dwordx8 s[20:27], s[4:5], 0x20
	s_load_dwordx4 s[8:11], s[4:5], 0x40
	v_lshl_add_u32 v1, v5, 4, v14
	v_lshrrev_b32_e32 v10, 3, v1
	v_mov_b32_e32 v3, s43
	s_waitcnt lgkmcnt(0)
	s_add_u32 s2, s26, s0
	v_add_co_u32_e32 v2, vcc, s42, v10
	s_addc_u32 s3, s27, s1
	v_and_b32_e32 v6, 7, v14
	v_addc_co_u32_e32 v3, vcc, 0, v3, vcc
	s_load_dwordx2 s[26:27], s[2:3], 0x0
	v_cmp_gt_i64_e64 s[2:3], s[38:39], v[2:3]
	v_lshlrev_b32_e32 v2, 2, v6
	v_lshl_or_b32 v2, v10, 5, v2
	v_lshrrev_b32_e32 v4, 5, v1
	s_add_u32 s0, s20, s0
	v_and_b32_e32 v1, 31, v1
	v_add_u32_e32 v15, 0x400, v2
	v_mov_b32_e32 v2, 0x400
	s_addc_u32 s1, s21, s1
	v_mov_b32_e32 v9, s19
	v_or_b32_e32 v8, s18, v1
	v_lshl_add_u32 v17, v5, 5, v2
	v_mad_u64_u32 v[2:3], s[46:47], s8, v6, 0
	s_load_dwordx2 s[20:21], s[0:1], 0x0
	v_cmp_gt_i64_e64 s[0:1], s[36:37], v[8:9]
	v_mov_b32_e32 v8, v3
	v_mad_u64_u32 v[8:9], s[46:47], s9, v6, v[8:9]
	s_lshl_b64 s[44:45], s[44:45], 7
	s_lshl_b64 s[10:11], s[10:11], 2
	v_mov_b32_e32 v3, v8
	s_add_u32 s10, s10, s44
	v_lshlrev_b64 v[2:3], 2, v[2:3]
	s_addc_u32 s11, s11, s45
	v_mov_b32_e32 v8, s11
	v_add_co_u32_e32 v2, vcc, s10, v2
	v_addc_co_u32_e32 v3, vcc, v8, v3, vcc
	v_lshlrev_b32_e32 v8, 2, v10
	v_add_co_u32_e32 v2, vcc, v2, v8
	v_addc_co_u32_e32 v3, vcc, 0, v3, vcc
	s_waitcnt lgkmcnt(0)
	v_mov_b32_e32 v9, s27
	v_add_co_u32_e32 v8, vcc, s26, v2
	v_addc_co_u32_e32 v9, vcc, v9, v3, vcc
	v_mad_u64_u32 v[2:3], s[10:11], s22, v4, 0
	v_mov_b32_e32 v10, v3
	v_mad_u64_u32 v[10:11], s[10:11], s23, v4, v[10:11]
	s_lshl_b64 s[8:9], s[8:9], 5
	s_lshl_b64 s[6:7], s[6:7], 7
	;; [unrolled: 1-line block ×3, first 2 shown]
	v_mov_b32_e32 v3, v10
	s_add_u32 s6, s10, s6
	v_lshlrev_b64 v[2:3], 2, v[2:3]
	s_addc_u32 s7, s11, s7
	v_mov_b32_e32 v10, s7
	v_add_co_u32_e32 v2, vcc, s6, v2
	v_lshlrev_b32_e32 v1, 2, v1
	v_addc_co_u32_e32 v3, vcc, v10, v3, vcc
	v_lshl_or_b32 v7, v4, 7, v1
	v_add_co_u32_e32 v1, vcc, v2, v1
	v_addc_co_u32_e32 v2, vcc, 0, v3, vcc
	v_mov_b32_e32 v0, 0
	v_mov_b32_e32 v3, s21
	v_add_co_u32_e32 v10, vcc, s20, v1
	s_lshl_b64 s[6:7], s[22:23], 5
	v_lshlrev_b32_e32 v16, 2, v14
	v_addc_co_u32_e32 v11, vcc, v3, v2, vcc
	s_mov_b64 s[10:11], 0
	v_mov_b32_e32 v18, s9
	v_mov_b32_e32 v19, s7
	v_pk_mov_b32 v[12:13], s[34:35], s[34:35] op_sel:[0,1]
	v_mov_b32_e32 v1, v0
	v_mov_b32_e32 v2, v0
	;; [unrolled: 1-line block ×3, first 2 shown]
	s_branch .LBB196_3
.LBB196_2:                              ;   in Loop: Header=BB196_3 Depth=1
	s_or_b64 exec, exec, s[20:21]
	s_waitcnt vmcnt(0)
	ds_write_b32 v15, v20
	s_waitcnt lgkmcnt(0)
	s_barrier
	ds_read_b128 v[20:23], v17
	ds_read_b128 v[24:27], v17 offset:16
	ds_read2_b32 v[36:37], v16 offset1:16
	ds_read2_b32 v[38:39], v16 offset0:32 offset1:48
	ds_read2_b32 v[40:41], v16 offset0:64 offset1:80
	;; [unrolled: 1-line block ×4, first 2 shown]
	ds_read_b128 v[28:31], v17 offset:512
	ds_read_b128 v[32:35], v17 offset:528
	ds_read2_b32 v[46:47], v16 offset0:160 offset1:176
	ds_read2_b32 v[48:49], v16 offset0:192 offset1:208
	;; [unrolled: 1-line block ×3, first 2 shown]
	s_waitcnt lgkmcnt(9)
	v_pk_fma_f32 v[2:3], v[36:37], v[20:21], v[2:3] op_sel_hi:[1,0,1]
	s_waitcnt lgkmcnt(8)
	v_pk_fma_f32 v[2:3], v[38:39], v[20:21], v[2:3] op_sel:[0,1,0]
	s_waitcnt lgkmcnt(7)
	v_pk_fma_f32 v[2:3], v[40:41], v[22:23], v[2:3] op_sel_hi:[1,0,1]
	v_mov_b32_e32 v20, v23
	s_waitcnt lgkmcnt(6)
	v_pk_fma_f32 v[2:3], v[42:43], v[20:21], v[2:3] op_sel_hi:[1,0,1]
	s_waitcnt lgkmcnt(5)
	v_pk_fma_f32 v[2:3], v[44:45], v[24:25], v[2:3] op_sel_hi:[1,0,1]
	s_waitcnt lgkmcnt(2)
	v_pk_fma_f32 v[2:3], v[46:47], v[24:25], v[2:3] op_sel:[0,1,0]
	v_pk_fma_f32 v[0:1], v[36:37], v[28:29], v[0:1] op_sel_hi:[1,0,1]
	s_waitcnt lgkmcnt(1)
	v_pk_fma_f32 v[2:3], v[48:49], v[26:27], v[2:3] op_sel_hi:[1,0,1]
	v_mov_b32_e32 v20, v27
	v_pk_fma_f32 v[0:1], v[38:39], v[28:29], v[0:1] op_sel:[0,1,0]
	s_waitcnt lgkmcnt(0)
	v_pk_fma_f32 v[2:3], v[50:51], v[20:21], v[2:3] op_sel_hi:[1,0,1]
	v_pk_fma_f32 v[0:1], v[40:41], v[30:31], v[0:1] op_sel_hi:[1,0,1]
	v_mov_b32_e32 v20, v31
	v_add_co_u32_e32 v8, vcc, s8, v8
	v_pk_fma_f32 v[0:1], v[42:43], v[20:21], v[0:1] op_sel_hi:[1,0,1]
	v_addc_co_u32_e32 v9, vcc, v9, v18, vcc
	v_pk_fma_f32 v[0:1], v[44:45], v[32:33], v[0:1] op_sel_hi:[1,0,1]
	s_add_u32 s10, s10, 8
	v_add_co_u32_e32 v10, vcc, s6, v10
	v_pk_fma_f32 v[0:1], v[46:47], v[32:33], v[0:1] op_sel:[0,1,0]
	s_addc_u32 s11, s11, 0
	v_addc_co_u32_e32 v11, vcc, v11, v19, vcc
	v_pk_fma_f32 v[0:1], v[48:49], v[34:35], v[0:1] op_sel_hi:[1,0,1]
	v_mov_b32_e32 v20, v35
	v_cmp_lt_i64_e32 vcc, s[10:11], v[12:13]
	v_pk_fma_f32 v[0:1], v[50:51], v[20:21], v[0:1] op_sel_hi:[1,0,1]
	s_barrier
	s_cbranch_vccz .LBB196_7
.LBB196_3:                              ; =>This Inner Loop Header: Depth=1
	v_mov_b32_e32 v21, s11
	v_add_co_u32_e32 v20, vcc, s10, v4
	v_addc_co_u32_e32 v21, vcc, 0, v21, vcc
	v_cmp_gt_i64_e32 vcc, s[34:35], v[20:21]
	s_and_b64 s[22:23], s[0:1], vcc
	v_mov_b32_e32 v20, 0
	s_and_saveexec_b64 s[20:21], s[22:23]
	s_cbranch_execz .LBB196_5
; %bb.4:                                ;   in Loop: Header=BB196_3 Depth=1
	global_load_dword v20, v[10:11], off
.LBB196_5:                              ;   in Loop: Header=BB196_3 Depth=1
	s_or_b64 exec, exec, s[20:21]
	s_waitcnt vmcnt(0)
	ds_write_b32 v7, v20
	v_mov_b32_e32 v21, s11
	v_add_co_u32_e32 v20, vcc, s10, v6
	v_addc_co_u32_e32 v21, vcc, 0, v21, vcc
	v_cmp_gt_i64_e32 vcc, s[34:35], v[20:21]
	s_and_b64 s[22:23], vcc, s[2:3]
	v_mov_b32_e32 v20, 0
	s_and_saveexec_b64 s[20:21], s[22:23]
	s_cbranch_execz .LBB196_2
; %bb.6:                                ;   in Loop: Header=BB196_3 Depth=1
	global_load_dword v20, v[8:9], off
	s_branch .LBB196_2
.LBB196_7:
	s_load_dword s10, s[4:5], 0x18
	s_load_dword s11, s[4:5], 0x50
	s_lshl_b64 s[0:1], s[30:31], 2
	v_mov_b32_e32 v6, s43
	v_add_co_u32_e32 v4, vcc, s42, v5
	s_waitcnt lgkmcnt(0)
	s_add_u32 s20, s40, s0
	v_addc_co_u32_e32 v5, vcc, 0, v6, vcc
	v_cmp_neq_f32_e64 s[2:3], s11, 0
	s_addc_u32 s21, s41, s1
	v_cmp_gt_i64_e64 s[0:1], s[38:39], v[4:5]
	s_and_b64 vcc, exec, s[2:3]
	s_cbranch_vccnz .LBB196_20
; %bb.8:
	s_and_saveexec_b64 s[6:7], s[0:1]
	s_cbranch_execz .LBB196_18
; %bb.9:
	v_mov_b32_e32 v6, s19
	v_add_co_u32_e32 v8, vcc, s18, v14
	v_addc_co_u32_e32 v9, vcc, 0, v6, vcc
	v_mul_lo_u32 v10, v5, s28
	v_mul_lo_u32 v11, v4, s29
	v_mad_u64_u32 v[6:7], s[2:3], v4, s28, 0
	v_add3_u32 v7, v7, v11, v10
	v_lshlrev_b64 v[6:7], 2, v[6:7]
	v_mov_b32_e32 v11, s21
	v_add_co_u32_e64 v10, s[2:3], s20, v6
	v_cmp_gt_i64_e32 vcc, s[36:37], v[8:9]
	v_addc_co_u32_e64 v11, s[2:3], v11, v7, s[2:3]
	v_lshlrev_b64 v[6:7], 2, v[8:9]
	s_and_saveexec_b64 s[4:5], vcc
	s_cbranch_execz .LBB196_11
; %bb.10:
	v_add_co_u32_e64 v12, s[2:3], v10, v6
	v_addc_co_u32_e64 v13, s[2:3], v11, v7, s[2:3]
	v_mul_f32_e32 v15, s10, v2
	global_store_dword v[12:13], v15, off
.LBB196_11:
	s_or_b64 exec, exec, s[4:5]
	v_add_co_u32_e64 v8, s[2:3], 16, v8
	v_addc_co_u32_e64 v9, s[2:3], 0, v9, s[2:3]
	v_cmp_gt_i64_e64 s[2:3], s[36:37], v[8:9]
	s_and_saveexec_b64 s[8:9], s[2:3]
	s_cbranch_execz .LBB196_13
; %bb.12:
	v_add_co_u32_e64 v8, s[4:5], v10, v6
	v_addc_co_u32_e64 v9, s[4:5], v11, v7, s[4:5]
	v_mul_f32_e32 v12, s10, v3
	global_store_dword v[8:9], v12, off offset:64
.LBB196_13:
	s_or_b64 exec, exec, s[8:9]
	v_add_co_u32_e64 v8, s[4:5], 16, v4
	v_addc_co_u32_e64 v9, s[4:5], 0, v5, s[4:5]
	v_cmp_gt_i64_e64 s[4:5], s[38:39], v[8:9]
	s_and_b64 exec, exec, s[4:5]
	s_cbranch_execz .LBB196_18
; %bb.14:
	s_lshl_b64 s[4:5], s[28:29], 6
	v_mov_b32_e32 v8, s5
	v_add_co_u32_e64 v9, s[4:5], s4, v10
	v_addc_co_u32_e64 v8, s[4:5], v11, v8, s[4:5]
	v_add_co_u32_e64 v6, s[4:5], v9, v6
	v_addc_co_u32_e64 v7, s[4:5], v8, v7, s[4:5]
	s_and_saveexec_b64 s[4:5], vcc
	s_cbranch_execz .LBB196_16
; %bb.15:
	v_mul_f32_e32 v8, s10, v0
	global_store_dword v[6:7], v8, off
.LBB196_16:
	s_or_b64 exec, exec, s[4:5]
	s_and_b64 exec, exec, s[2:3]
	s_cbranch_execz .LBB196_18
; %bb.17:
	v_mul_f32_e32 v8, s10, v1
	global_store_dword v[6:7], v8, off offset:64
.LBB196_18:
	s_or_b64 exec, exec, s[6:7]
	s_cbranch_execz .LBB196_21
.LBB196_19:
	s_endpgm
.LBB196_20:
.LBB196_21:
	s_and_saveexec_b64 s[2:3], s[0:1]
	s_cbranch_execz .LBB196_19
; %bb.22:
	s_lshl_b64 s[0:1], s[16:17], 2
	s_add_u32 s2, s12, s0
	v_mov_b32_e32 v6, s19
	v_add_co_u32_e32 v8, vcc, s18, v14
	s_addc_u32 s3, s13, s1
	v_addc_co_u32_e32 v9, vcc, 0, v6, vcc
	v_mul_lo_u32 v10, v5, s14
	v_mul_lo_u32 v11, v4, s15
	v_mad_u64_u32 v[6:7], s[0:1], v4, s14, 0
	v_add3_u32 v7, v7, v11, v10
	v_mul_lo_u32 v10, v5, s28
	v_mul_lo_u32 v11, v4, s29
	v_mad_u64_u32 v[12:13], s[0:1], v4, s28, 0
	v_lshlrev_b64 v[6:7], 2, v[6:7]
	v_add3_u32 v13, v13, v11, v10
	v_mov_b32_e32 v11, s3
	v_add_co_u32_e64 v10, s[0:1], s2, v6
	v_addc_co_u32_e64 v11, s[0:1], v11, v7, s[0:1]
	v_lshlrev_b64 v[6:7], 2, v[12:13]
	v_mov_b32_e32 v13, s21
	v_add_co_u32_e64 v12, s[0:1], s20, v6
	v_cmp_gt_i64_e32 vcc, s[36:37], v[8:9]
	v_addc_co_u32_e64 v13, s[0:1], v13, v7, s[0:1]
	v_lshlrev_b64 v[6:7], 2, v[8:9]
	s_and_saveexec_b64 s[2:3], vcc
	s_cbranch_execz .LBB196_24
; %bb.23:
	v_add_co_u32_e64 v14, s[0:1], v10, v6
	v_addc_co_u32_e64 v15, s[0:1], v11, v7, s[0:1]
	global_load_dword v14, v[14:15], off
	s_waitcnt vmcnt(0)
	v_mul_f32_e32 v16, s11, v14
	v_add_co_u32_e64 v14, s[0:1], v12, v6
	v_fmac_f32_e32 v16, s10, v2
	v_addc_co_u32_e64 v15, s[0:1], v13, v7, s[0:1]
	global_store_dword v[14:15], v16, off
.LBB196_24:
	s_or_b64 exec, exec, s[2:3]
	v_add_co_u32_e64 v8, s[0:1], 16, v8
	v_addc_co_u32_e64 v9, s[0:1], 0, v9, s[0:1]
	v_cmp_gt_i64_e64 s[0:1], s[36:37], v[8:9]
	s_and_saveexec_b64 s[4:5], s[0:1]
	s_cbranch_execz .LBB196_26
; %bb.25:
	v_add_co_u32_e64 v8, s[2:3], v10, v6
	v_addc_co_u32_e64 v9, s[2:3], v11, v7, s[2:3]
	global_load_dword v2, v[8:9], off offset:64
	s_waitcnt vmcnt(0)
	v_mul_f32_e32 v8, s11, v2
	v_add_co_u32_e64 v2, s[2:3], v12, v6
	v_fmac_f32_e32 v8, s10, v3
	v_addc_co_u32_e64 v3, s[2:3], v13, v7, s[2:3]
	global_store_dword v[2:3], v8, off offset:64
.LBB196_26:
	s_or_b64 exec, exec, s[4:5]
	v_add_co_u32_e64 v2, s[2:3], 16, v4
	v_addc_co_u32_e64 v3, s[2:3], 0, v5, s[2:3]
	v_cmp_gt_i64_e64 s[2:3], s[38:39], v[2:3]
	s_and_b64 exec, exec, s[2:3]
	s_cbranch_execz .LBB196_19
; %bb.27:
	s_lshl_b64 s[2:3], s[14:15], 6
	v_mov_b32_e32 v2, s3
	v_add_co_u32_e64 v3, s[2:3], s2, v10
	v_addc_co_u32_e64 v4, s[2:3], v11, v2, s[2:3]
	s_lshl_b64 s[2:3], s[28:29], 6
	v_mov_b32_e32 v2, s3
	v_add_co_u32_e64 v5, s[2:3], s2, v12
	v_addc_co_u32_e64 v8, s[2:3], v13, v2, s[2:3]
	v_add_co_u32_e64 v2, s[2:3], v3, v6
	v_addc_co_u32_e64 v3, s[2:3], v4, v7, s[2:3]
	v_add_co_u32_e64 v4, s[2:3], v5, v6
	v_addc_co_u32_e64 v5, s[2:3], v8, v7, s[2:3]
	s_and_saveexec_b64 s[2:3], vcc
	s_cbranch_execz .LBB196_29
; %bb.28:
	global_load_dword v6, v[2:3], off
	s_waitcnt vmcnt(0)
	v_mul_f32_e32 v6, s11, v6
	v_fmac_f32_e32 v6, s10, v0
	global_store_dword v[4:5], v6, off
.LBB196_29:
	s_or_b64 exec, exec, s[2:3]
	s_and_b64 exec, exec, s[0:1]
	s_cbranch_execz .LBB196_19
; %bb.30:
	global_load_dword v0, v[2:3], off offset:64
	s_waitcnt vmcnt(0)
	v_mul_f32_e32 v0, s11, v0
	v_fmac_f32_e32 v0, s10, v1
	global_store_dword v[4:5], v0, off offset:64
	s_endpgm
	.section	.rodata,"a",@progbits
	.p2align	6, 0x0
	.amdhsa_kernel _ZN12_GLOBAL__N_135rocblas_gemm_batched_general_kernelIfLi16ELi16ELi32ELi32ELi8ELi32ELi8ELi8ELi32ELc78ELc84EKPKfS3_KPfEEvlllT_PT11_llS8_llS6_PT12_llPT13_lli
		.amdhsa_group_segment_fixed_size 2048
		.amdhsa_private_segment_fixed_size 0
		.amdhsa_kernarg_size 140
		.amdhsa_user_sgpr_count 6
		.amdhsa_user_sgpr_private_segment_buffer 1
		.amdhsa_user_sgpr_dispatch_ptr 0
		.amdhsa_user_sgpr_queue_ptr 0
		.amdhsa_user_sgpr_kernarg_segment_ptr 1
		.amdhsa_user_sgpr_dispatch_id 0
		.amdhsa_user_sgpr_flat_scratch_init 0
		.amdhsa_user_sgpr_kernarg_preload_length 0
		.amdhsa_user_sgpr_kernarg_preload_offset 0
		.amdhsa_user_sgpr_private_segment_size 0
		.amdhsa_uses_dynamic_stack 0
		.amdhsa_system_sgpr_private_segment_wavefront_offset 0
		.amdhsa_system_sgpr_workgroup_id_x 1
		.amdhsa_system_sgpr_workgroup_id_y 1
		.amdhsa_system_sgpr_workgroup_id_z 1
		.amdhsa_system_sgpr_workgroup_info 0
		.amdhsa_system_vgpr_workitem_id 1
		.amdhsa_next_free_vgpr 52
		.amdhsa_next_free_sgpr 48
		.amdhsa_accum_offset 52
		.amdhsa_reserve_vcc 1
		.amdhsa_reserve_flat_scratch 0
		.amdhsa_float_round_mode_32 0
		.amdhsa_float_round_mode_16_64 0
		.amdhsa_float_denorm_mode_32 3
		.amdhsa_float_denorm_mode_16_64 3
		.amdhsa_dx10_clamp 1
		.amdhsa_ieee_mode 1
		.amdhsa_fp16_overflow 0
		.amdhsa_tg_split 0
		.amdhsa_exception_fp_ieee_invalid_op 0
		.amdhsa_exception_fp_denorm_src 0
		.amdhsa_exception_fp_ieee_div_zero 0
		.amdhsa_exception_fp_ieee_overflow 0
		.amdhsa_exception_fp_ieee_underflow 0
		.amdhsa_exception_fp_ieee_inexact 0
		.amdhsa_exception_int_div_zero 0
	.end_amdhsa_kernel
	.section	.text._ZN12_GLOBAL__N_135rocblas_gemm_batched_general_kernelIfLi16ELi16ELi32ELi32ELi8ELi32ELi8ELi8ELi32ELc78ELc84EKPKfS3_KPfEEvlllT_PT11_llS8_llS6_PT12_llPT13_lli,"axG",@progbits,_ZN12_GLOBAL__N_135rocblas_gemm_batched_general_kernelIfLi16ELi16ELi32ELi32ELi8ELi32ELi8ELi8ELi32ELc78ELc84EKPKfS3_KPfEEvlllT_PT11_llS8_llS6_PT12_llPT13_lli,comdat
.Lfunc_end196:
	.size	_ZN12_GLOBAL__N_135rocblas_gemm_batched_general_kernelIfLi16ELi16ELi32ELi32ELi8ELi32ELi8ELi8ELi32ELc78ELc84EKPKfS3_KPfEEvlllT_PT11_llS8_llS6_PT12_llPT13_lli, .Lfunc_end196-_ZN12_GLOBAL__N_135rocblas_gemm_batched_general_kernelIfLi16ELi16ELi32ELi32ELi8ELi32ELi8ELi8ELi32ELc78ELc84EKPKfS3_KPfEEvlllT_PT11_llS8_llS6_PT12_llPT13_lli
                                        ; -- End function
	.section	.AMDGPU.csdata,"",@progbits
; Kernel info:
; codeLenInByte = 1872
; NumSgprs: 52
; NumVgprs: 52
; NumAgprs: 0
; TotalNumVgprs: 52
; ScratchSize: 0
; MemoryBound: 0
; FloatMode: 240
; IeeeMode: 1
; LDSByteSize: 2048 bytes/workgroup (compile time only)
; SGPRBlocks: 6
; VGPRBlocks: 6
; NumSGPRsForWavesPerEU: 52
; NumVGPRsForWavesPerEU: 52
; AccumOffset: 52
; Occupancy: 8
; WaveLimiterHint : 1
; COMPUTE_PGM_RSRC2:SCRATCH_EN: 0
; COMPUTE_PGM_RSRC2:USER_SGPR: 6
; COMPUTE_PGM_RSRC2:TRAP_HANDLER: 0
; COMPUTE_PGM_RSRC2:TGID_X_EN: 1
; COMPUTE_PGM_RSRC2:TGID_Y_EN: 1
; COMPUTE_PGM_RSRC2:TGID_Z_EN: 1
; COMPUTE_PGM_RSRC2:TIDIG_COMP_CNT: 1
; COMPUTE_PGM_RSRC3_GFX90A:ACCUM_OFFSET: 12
; COMPUTE_PGM_RSRC3_GFX90A:TG_SPLIT: 0
	.section	.text._ZN12_GLOBAL__N_135rocblas_gemm_batched_general_kernelIfLi16ELi16ELi32ELi32ELi8ELi32ELi8ELi8ELi32ELc84ELc84EKPKfS3_KPfEEvlllT_PT11_llS8_llS6_PT12_llPT13_lli,"axG",@progbits,_ZN12_GLOBAL__N_135rocblas_gemm_batched_general_kernelIfLi16ELi16ELi32ELi32ELi8ELi32ELi8ELi8ELi32ELc84ELc84EKPKfS3_KPfEEvlllT_PT11_llS8_llS6_PT12_llPT13_lli,comdat
	.globl	_ZN12_GLOBAL__N_135rocblas_gemm_batched_general_kernelIfLi16ELi16ELi32ELi32ELi8ELi32ELi8ELi8ELi32ELc84ELc84EKPKfS3_KPfEEvlllT_PT11_llS8_llS6_PT12_llPT13_lli ; -- Begin function _ZN12_GLOBAL__N_135rocblas_gemm_batched_general_kernelIfLi16ELi16ELi32ELi32ELi8ELi32ELi8ELi8ELi32ELc84ELc84EKPKfS3_KPfEEvlllT_PT11_llS8_llS6_PT12_llPT13_lli
	.p2align	8
	.type	_ZN12_GLOBAL__N_135rocblas_gemm_batched_general_kernelIfLi16ELi16ELi32ELi32ELi8ELi32ELi8ELi8ELi32ELc84ELc84EKPKfS3_KPfEEvlllT_PT11_llS8_llS6_PT12_llPT13_lli,@function
_ZN12_GLOBAL__N_135rocblas_gemm_batched_general_kernelIfLi16ELi16ELi32ELi32ELi8ELi32ELi8ELi8ELi32ELc84ELc84EKPKfS3_KPfEEvlllT_PT11_llS8_llS6_PT12_llPT13_lli: ; @_ZN12_GLOBAL__N_135rocblas_gemm_batched_general_kernelIfLi16ELi16ELi32ELi32ELi8ELi32ELi8ELi8ELi32ELc84ELc84EKPKfS3_KPfEEvlllT_PT11_llS8_llS6_PT12_llPT13_lli
; %bb.0:
	s_load_dwordx4 s[36:39], s[4:5], 0x0
	s_load_dwordx2 s[34:35], s[4:5], 0x10
	s_load_dwordx4 s[28:31], s[4:5], 0x78
	s_load_dwordx8 s[12:19], s[4:5], 0x58
	s_mov_b32 s9, 0
	s_lshl_b64 s[0:1], s[8:9], 3
	s_mov_b32 s42, s7
	v_mov_b32_e32 v3, 0
	s_waitcnt lgkmcnt(0)
	s_add_u32 s2, s12, s0
	s_addc_u32 s3, s13, s1
	s_load_dwordx2 s[12:13], s[2:3], 0x0
	s_add_u32 s2, s18, s0
	s_addc_u32 s3, s19, s1
	s_load_dwordx2 s[18:19], s[2:3], 0x0
	s_ashr_i32 s7, s6, 31
	s_ashr_i32 s43, s42, 31
	v_cmp_lt_i64_e64 s[2:3], s[34:35], 1
	v_and_b32_e32 v14, 0x3ff, v0
	v_bfe_u32 v5, v0, 10, 10
	s_lshl_b64 s[6:7], s[6:7], 5
	s_lshl_b64 s[40:41], s[42:43], 5
	s_and_b64 vcc, exec, s[2:3]
	v_mov_b32_e32 v2, v3
	v_mov_b32_e32 v1, v3
	;; [unrolled: 1-line block ×3, first 2 shown]
	s_cbranch_vccnz .LBB197_7
; %bb.1:
	s_load_dwordx8 s[20:27], s[4:5], 0x20
	s_load_dwordx4 s[8:11], s[4:5], 0x40
	v_lshl_add_u32 v1, v5, 4, v14
	v_lshrrev_b32_e32 v10, 3, v1
	v_mov_b32_e32 v3, s41
	s_waitcnt lgkmcnt(0)
	s_add_u32 s2, s26, s0
	v_add_co_u32_e32 v2, vcc, s40, v10
	s_addc_u32 s3, s27, s1
	v_and_b32_e32 v6, 7, v14
	v_addc_co_u32_e32 v3, vcc, 0, v3, vcc
	s_load_dwordx2 s[26:27], s[2:3], 0x0
	v_cmp_gt_i64_e64 s[2:3], s[38:39], v[2:3]
	v_lshlrev_b32_e32 v2, 2, v6
	v_lshl_or_b32 v2, v10, 5, v2
	v_lshrrev_b32_e32 v4, 5, v1
	s_add_u32 s0, s20, s0
	v_and_b32_e32 v1, 31, v1
	v_add_u32_e32 v15, 0x400, v2
	v_mov_b32_e32 v2, 0x400
	s_addc_u32 s1, s21, s1
	v_mov_b32_e32 v9, s7
	v_or_b32_e32 v8, s6, v1
	v_lshl_add_u32 v17, v5, 5, v2
	v_mad_u64_u32 v[2:3], s[44:45], s8, v6, 0
	s_load_dwordx2 s[20:21], s[0:1], 0x0
	v_cmp_gt_i64_e64 s[0:1], s[36:37], v[8:9]
	v_mov_b32_e32 v8, v3
	v_mad_u64_u32 v[8:9], s[44:45], s9, v6, v[8:9]
	s_lshl_b64 s[42:43], s[42:43], 7
	s_lshl_b64 s[10:11], s[10:11], 2
	v_mov_b32_e32 v3, v8
	s_add_u32 s10, s10, s42
	v_lshlrev_b64 v[2:3], 2, v[2:3]
	s_addc_u32 s11, s11, s43
	v_mov_b32_e32 v8, s11
	v_add_co_u32_e32 v2, vcc, s10, v2
	v_addc_co_u32_e32 v3, vcc, v8, v3, vcc
	v_lshlrev_b32_e32 v8, 2, v10
	v_add_co_u32_e32 v2, vcc, v2, v8
	v_addc_co_u32_e32 v3, vcc, 0, v3, vcc
	s_waitcnt lgkmcnt(0)
	v_mov_b32_e32 v9, s27
	v_add_co_u32_e32 v8, vcc, s26, v2
	v_addc_co_u32_e32 v9, vcc, v9, v3, vcc
	v_lshlrev_b32_e32 v7, 2, v1
	v_mov_b32_e32 v2, s7
	v_add_co_u32_e32 v1, vcc, s6, v1
	v_addc_co_u32_e32 v2, vcc, 0, v2, vcc
	v_mul_lo_u32 v10, s23, v1
	v_mul_lo_u32 v11, s22, v2
	v_mad_u64_u32 v[2:3], s[10:11], s22, v1, 0
	v_add3_u32 v3, v3, v11, v10
	v_lshlrev_b64 v[2:3], 2, v[2:3]
	s_lshl_b64 s[10:11], s[24:25], 2
	v_mov_b32_e32 v1, s11
	v_add_co_u32_e32 v2, vcc, s10, v2
	v_addc_co_u32_e32 v1, vcc, v3, v1, vcc
	v_lshlrev_b32_e32 v3, 2, v4
	v_add_co_u32_e32 v2, vcc, v2, v3
	v_addc_co_u32_e32 v1, vcc, 0, v1, vcc
	v_mov_b32_e32 v0, 0
	s_lshl_b64 s[8:9], s[8:9], 5
	v_mov_b32_e32 v3, s21
	v_add_co_u32_e32 v10, vcc, s20, v2
	v_lshl_or_b32 v7, v4, 7, v7
	v_lshlrev_b32_e32 v16, 2, v14
	v_addc_co_u32_e32 v11, vcc, v3, v1, vcc
	s_mov_b64 s[10:11], 0
	v_mov_b32_e32 v18, s9
	v_pk_mov_b32 v[12:13], s[34:35], s[34:35] op_sel:[0,1]
	v_mov_b32_e32 v1, v0
	v_mov_b32_e32 v2, v0
	;; [unrolled: 1-line block ×3, first 2 shown]
	s_branch .LBB197_3
.LBB197_2:                              ;   in Loop: Header=BB197_3 Depth=1
	s_or_b64 exec, exec, s[20:21]
	s_waitcnt vmcnt(0)
	ds_write_b32 v15, v19
	s_waitcnt lgkmcnt(0)
	s_barrier
	ds_read_b128 v[20:23], v17
	ds_read_b128 v[24:27], v17 offset:16
	ds_read2_b32 v[36:37], v16 offset1:16
	ds_read2_b32 v[38:39], v16 offset0:32 offset1:48
	ds_read2_b32 v[40:41], v16 offset0:64 offset1:80
	;; [unrolled: 1-line block ×4, first 2 shown]
	ds_read_b128 v[28:31], v17 offset:512
	ds_read_b128 v[32:35], v17 offset:528
	ds_read2_b32 v[46:47], v16 offset0:160 offset1:176
	ds_read2_b32 v[48:49], v16 offset0:192 offset1:208
	;; [unrolled: 1-line block ×3, first 2 shown]
	s_waitcnt lgkmcnt(9)
	v_pk_fma_f32 v[2:3], v[36:37], v[20:21], v[2:3] op_sel_hi:[1,0,1]
	s_waitcnt lgkmcnt(8)
	v_pk_fma_f32 v[2:3], v[38:39], v[20:21], v[2:3] op_sel:[0,1,0]
	s_waitcnt lgkmcnt(7)
	v_pk_fma_f32 v[2:3], v[40:41], v[22:23], v[2:3] op_sel_hi:[1,0,1]
	v_mov_b32_e32 v20, v23
	s_waitcnt lgkmcnt(6)
	v_pk_fma_f32 v[2:3], v[42:43], v[20:21], v[2:3] op_sel_hi:[1,0,1]
	s_waitcnt lgkmcnt(5)
	v_pk_fma_f32 v[2:3], v[44:45], v[24:25], v[2:3] op_sel_hi:[1,0,1]
	s_waitcnt lgkmcnt(2)
	v_pk_fma_f32 v[2:3], v[46:47], v[24:25], v[2:3] op_sel:[0,1,0]
	v_pk_fma_f32 v[0:1], v[36:37], v[28:29], v[0:1] op_sel_hi:[1,0,1]
	s_waitcnt lgkmcnt(1)
	v_pk_fma_f32 v[2:3], v[48:49], v[26:27], v[2:3] op_sel_hi:[1,0,1]
	v_mov_b32_e32 v20, v27
	v_pk_fma_f32 v[0:1], v[38:39], v[28:29], v[0:1] op_sel:[0,1,0]
	s_waitcnt lgkmcnt(0)
	v_pk_fma_f32 v[2:3], v[50:51], v[20:21], v[2:3] op_sel_hi:[1,0,1]
	v_pk_fma_f32 v[0:1], v[40:41], v[30:31], v[0:1] op_sel_hi:[1,0,1]
	v_mov_b32_e32 v20, v31
	v_add_co_u32_e32 v8, vcc, s8, v8
	v_pk_fma_f32 v[0:1], v[42:43], v[20:21], v[0:1] op_sel_hi:[1,0,1]
	v_addc_co_u32_e32 v9, vcc, v9, v18, vcc
	v_pk_fma_f32 v[0:1], v[44:45], v[32:33], v[0:1] op_sel_hi:[1,0,1]
	s_add_u32 s10, s10, 8
	v_add_co_u32_e32 v10, vcc, 32, v10
	v_pk_fma_f32 v[0:1], v[46:47], v[32:33], v[0:1] op_sel:[0,1,0]
	s_addc_u32 s11, s11, 0
	v_addc_co_u32_e32 v11, vcc, 0, v11, vcc
	v_pk_fma_f32 v[0:1], v[48:49], v[34:35], v[0:1] op_sel_hi:[1,0,1]
	v_mov_b32_e32 v20, v35
	v_cmp_lt_i64_e32 vcc, s[10:11], v[12:13]
	v_pk_fma_f32 v[0:1], v[50:51], v[20:21], v[0:1] op_sel_hi:[1,0,1]
	s_barrier
	s_cbranch_vccz .LBB197_7
.LBB197_3:                              ; =>This Inner Loop Header: Depth=1
	v_mov_b32_e32 v19, s11
	v_add_co_u32_e32 v20, vcc, s10, v4
	v_addc_co_u32_e32 v21, vcc, 0, v19, vcc
	v_cmp_gt_i64_e32 vcc, s[34:35], v[20:21]
	s_and_b64 s[22:23], s[0:1], vcc
	v_mov_b32_e32 v19, 0
	s_and_saveexec_b64 s[20:21], s[22:23]
	s_cbranch_execz .LBB197_5
; %bb.4:                                ;   in Loop: Header=BB197_3 Depth=1
	global_load_dword v19, v[10:11], off
.LBB197_5:                              ;   in Loop: Header=BB197_3 Depth=1
	s_or_b64 exec, exec, s[20:21]
	s_waitcnt vmcnt(0)
	ds_write_b32 v7, v19
	v_mov_b32_e32 v19, s11
	v_add_co_u32_e32 v20, vcc, s10, v6
	v_addc_co_u32_e32 v21, vcc, 0, v19, vcc
	v_cmp_gt_i64_e32 vcc, s[34:35], v[20:21]
	s_and_b64 s[22:23], vcc, s[2:3]
	v_mov_b32_e32 v19, 0
	s_and_saveexec_b64 s[20:21], s[22:23]
	s_cbranch_execz .LBB197_2
; %bb.6:                                ;   in Loop: Header=BB197_3 Depth=1
	global_load_dword v19, v[8:9], off
	s_branch .LBB197_2
.LBB197_7:
	s_load_dword s20, s[4:5], 0x18
	s_load_dword s21, s[4:5], 0x50
	s_lshl_b64 s[0:1], s[30:31], 2
	v_mov_b32_e32 v6, s41
	v_add_co_u32_e32 v4, vcc, s40, v5
	s_waitcnt lgkmcnt(0)
	s_add_u32 s18, s18, s0
	v_addc_co_u32_e32 v5, vcc, 0, v6, vcc
	v_cmp_neq_f32_e64 s[2:3], s21, 0
	s_addc_u32 s19, s19, s1
	v_cmp_gt_i64_e64 s[0:1], s[38:39], v[4:5]
	s_and_b64 vcc, exec, s[2:3]
	s_cbranch_vccnz .LBB197_20
; %bb.8:
	s_and_saveexec_b64 s[8:9], s[0:1]
	s_cbranch_execz .LBB197_18
; %bb.9:
	v_mov_b32_e32 v6, s7
	v_add_co_u32_e32 v8, vcc, s6, v14
	v_addc_co_u32_e32 v9, vcc, 0, v6, vcc
	v_mul_lo_u32 v10, v5, s28
	v_mul_lo_u32 v11, v4, s29
	v_mad_u64_u32 v[6:7], s[2:3], v4, s28, 0
	v_add3_u32 v7, v7, v11, v10
	v_lshlrev_b64 v[6:7], 2, v[6:7]
	v_mov_b32_e32 v11, s19
	v_add_co_u32_e64 v10, s[2:3], s18, v6
	v_cmp_gt_i64_e32 vcc, s[36:37], v[8:9]
	v_addc_co_u32_e64 v11, s[2:3], v11, v7, s[2:3]
	v_lshlrev_b64 v[6:7], 2, v[8:9]
	s_and_saveexec_b64 s[4:5], vcc
	s_cbranch_execz .LBB197_11
; %bb.10:
	v_add_co_u32_e64 v12, s[2:3], v10, v6
	v_addc_co_u32_e64 v13, s[2:3], v11, v7, s[2:3]
	v_mul_f32_e32 v15, s20, v2
	global_store_dword v[12:13], v15, off
.LBB197_11:
	s_or_b64 exec, exec, s[4:5]
	v_add_co_u32_e64 v8, s[2:3], 16, v8
	v_addc_co_u32_e64 v9, s[2:3], 0, v9, s[2:3]
	v_cmp_gt_i64_e64 s[2:3], s[36:37], v[8:9]
	s_and_saveexec_b64 s[10:11], s[2:3]
	s_cbranch_execz .LBB197_13
; %bb.12:
	v_add_co_u32_e64 v8, s[4:5], v10, v6
	v_addc_co_u32_e64 v9, s[4:5], v11, v7, s[4:5]
	v_mul_f32_e32 v12, s20, v3
	global_store_dword v[8:9], v12, off offset:64
.LBB197_13:
	s_or_b64 exec, exec, s[10:11]
	v_add_co_u32_e64 v8, s[4:5], 16, v4
	v_addc_co_u32_e64 v9, s[4:5], 0, v5, s[4:5]
	v_cmp_gt_i64_e64 s[4:5], s[38:39], v[8:9]
	s_and_b64 exec, exec, s[4:5]
	s_cbranch_execz .LBB197_18
; %bb.14:
	s_lshl_b64 s[4:5], s[28:29], 6
	v_mov_b32_e32 v8, s5
	v_add_co_u32_e64 v9, s[4:5], s4, v10
	v_addc_co_u32_e64 v8, s[4:5], v11, v8, s[4:5]
	v_add_co_u32_e64 v6, s[4:5], v9, v6
	v_addc_co_u32_e64 v7, s[4:5], v8, v7, s[4:5]
	s_and_saveexec_b64 s[4:5], vcc
	s_cbranch_execz .LBB197_16
; %bb.15:
	v_mul_f32_e32 v8, s20, v0
	global_store_dword v[6:7], v8, off
.LBB197_16:
	s_or_b64 exec, exec, s[4:5]
	s_and_b64 exec, exec, s[2:3]
	s_cbranch_execz .LBB197_18
; %bb.17:
	v_mul_f32_e32 v8, s20, v1
	global_store_dword v[6:7], v8, off offset:64
.LBB197_18:
	s_or_b64 exec, exec, s[8:9]
	s_cbranch_execz .LBB197_21
.LBB197_19:
	s_endpgm
.LBB197_20:
.LBB197_21:
	s_and_saveexec_b64 s[2:3], s[0:1]
	s_cbranch_execz .LBB197_19
; %bb.22:
	s_lshl_b64 s[0:1], s[16:17], 2
	s_add_u32 s2, s12, s0
	v_mov_b32_e32 v6, s7
	v_add_co_u32_e32 v8, vcc, s6, v14
	s_addc_u32 s3, s13, s1
	v_addc_co_u32_e32 v9, vcc, 0, v6, vcc
	v_mul_lo_u32 v10, v5, s14
	v_mul_lo_u32 v11, v4, s15
	v_mad_u64_u32 v[6:7], s[0:1], v4, s14, 0
	v_add3_u32 v7, v7, v11, v10
	v_mul_lo_u32 v10, v5, s28
	v_mul_lo_u32 v11, v4, s29
	v_mad_u64_u32 v[12:13], s[0:1], v4, s28, 0
	v_lshlrev_b64 v[6:7], 2, v[6:7]
	v_add3_u32 v13, v13, v11, v10
	v_mov_b32_e32 v11, s3
	v_add_co_u32_e64 v10, s[0:1], s2, v6
	v_addc_co_u32_e64 v11, s[0:1], v11, v7, s[0:1]
	v_lshlrev_b64 v[6:7], 2, v[12:13]
	v_mov_b32_e32 v13, s19
	v_add_co_u32_e64 v12, s[0:1], s18, v6
	v_cmp_gt_i64_e32 vcc, s[36:37], v[8:9]
	v_addc_co_u32_e64 v13, s[0:1], v13, v7, s[0:1]
	v_lshlrev_b64 v[6:7], 2, v[8:9]
	s_and_saveexec_b64 s[2:3], vcc
	s_cbranch_execz .LBB197_24
; %bb.23:
	v_add_co_u32_e64 v14, s[0:1], v10, v6
	v_addc_co_u32_e64 v15, s[0:1], v11, v7, s[0:1]
	global_load_dword v14, v[14:15], off
	s_waitcnt vmcnt(0)
	v_mul_f32_e32 v16, s21, v14
	v_add_co_u32_e64 v14, s[0:1], v12, v6
	v_fmac_f32_e32 v16, s20, v2
	v_addc_co_u32_e64 v15, s[0:1], v13, v7, s[0:1]
	global_store_dword v[14:15], v16, off
.LBB197_24:
	s_or_b64 exec, exec, s[2:3]
	v_add_co_u32_e64 v8, s[0:1], 16, v8
	v_addc_co_u32_e64 v9, s[0:1], 0, v9, s[0:1]
	v_cmp_gt_i64_e64 s[0:1], s[36:37], v[8:9]
	s_and_saveexec_b64 s[4:5], s[0:1]
	s_cbranch_execz .LBB197_26
; %bb.25:
	v_add_co_u32_e64 v8, s[2:3], v10, v6
	v_addc_co_u32_e64 v9, s[2:3], v11, v7, s[2:3]
	global_load_dword v2, v[8:9], off offset:64
	s_waitcnt vmcnt(0)
	v_mul_f32_e32 v8, s21, v2
	v_add_co_u32_e64 v2, s[2:3], v12, v6
	v_fmac_f32_e32 v8, s20, v3
	v_addc_co_u32_e64 v3, s[2:3], v13, v7, s[2:3]
	global_store_dword v[2:3], v8, off offset:64
.LBB197_26:
	s_or_b64 exec, exec, s[4:5]
	v_add_co_u32_e64 v2, s[2:3], 16, v4
	v_addc_co_u32_e64 v3, s[2:3], 0, v5, s[2:3]
	v_cmp_gt_i64_e64 s[2:3], s[38:39], v[2:3]
	s_and_b64 exec, exec, s[2:3]
	s_cbranch_execz .LBB197_19
; %bb.27:
	s_lshl_b64 s[2:3], s[14:15], 6
	v_mov_b32_e32 v2, s3
	v_add_co_u32_e64 v3, s[2:3], s2, v10
	v_addc_co_u32_e64 v4, s[2:3], v11, v2, s[2:3]
	s_lshl_b64 s[2:3], s[28:29], 6
	v_mov_b32_e32 v2, s3
	v_add_co_u32_e64 v5, s[2:3], s2, v12
	v_addc_co_u32_e64 v8, s[2:3], v13, v2, s[2:3]
	v_add_co_u32_e64 v2, s[2:3], v3, v6
	v_addc_co_u32_e64 v3, s[2:3], v4, v7, s[2:3]
	v_add_co_u32_e64 v4, s[2:3], v5, v6
	v_addc_co_u32_e64 v5, s[2:3], v8, v7, s[2:3]
	s_and_saveexec_b64 s[2:3], vcc
	s_cbranch_execz .LBB197_29
; %bb.28:
	global_load_dword v6, v[2:3], off
	s_waitcnt vmcnt(0)
	v_mul_f32_e32 v6, s21, v6
	v_fmac_f32_e32 v6, s20, v0
	global_store_dword v[4:5], v6, off
.LBB197_29:
	s_or_b64 exec, exec, s[2:3]
	s_and_b64 exec, exec, s[0:1]
	s_cbranch_execz .LBB197_19
; %bb.30:
	global_load_dword v0, v[2:3], off offset:64
	s_waitcnt vmcnt(0)
	v_mul_f32_e32 v0, s21, v0
	v_fmac_f32_e32 v0, s20, v1
	global_store_dword v[4:5], v0, off offset:64
	s_endpgm
	.section	.rodata,"a",@progbits
	.p2align	6, 0x0
	.amdhsa_kernel _ZN12_GLOBAL__N_135rocblas_gemm_batched_general_kernelIfLi16ELi16ELi32ELi32ELi8ELi32ELi8ELi8ELi32ELc84ELc84EKPKfS3_KPfEEvlllT_PT11_llS8_llS6_PT12_llPT13_lli
		.amdhsa_group_segment_fixed_size 2048
		.amdhsa_private_segment_fixed_size 0
		.amdhsa_kernarg_size 140
		.amdhsa_user_sgpr_count 6
		.amdhsa_user_sgpr_private_segment_buffer 1
		.amdhsa_user_sgpr_dispatch_ptr 0
		.amdhsa_user_sgpr_queue_ptr 0
		.amdhsa_user_sgpr_kernarg_segment_ptr 1
		.amdhsa_user_sgpr_dispatch_id 0
		.amdhsa_user_sgpr_flat_scratch_init 0
		.amdhsa_user_sgpr_kernarg_preload_length 0
		.amdhsa_user_sgpr_kernarg_preload_offset 0
		.amdhsa_user_sgpr_private_segment_size 0
		.amdhsa_uses_dynamic_stack 0
		.amdhsa_system_sgpr_private_segment_wavefront_offset 0
		.amdhsa_system_sgpr_workgroup_id_x 1
		.amdhsa_system_sgpr_workgroup_id_y 1
		.amdhsa_system_sgpr_workgroup_id_z 1
		.amdhsa_system_sgpr_workgroup_info 0
		.amdhsa_system_vgpr_workitem_id 1
		.amdhsa_next_free_vgpr 52
		.amdhsa_next_free_sgpr 46
		.amdhsa_accum_offset 52
		.amdhsa_reserve_vcc 1
		.amdhsa_reserve_flat_scratch 0
		.amdhsa_float_round_mode_32 0
		.amdhsa_float_round_mode_16_64 0
		.amdhsa_float_denorm_mode_32 3
		.amdhsa_float_denorm_mode_16_64 3
		.amdhsa_dx10_clamp 1
		.amdhsa_ieee_mode 1
		.amdhsa_fp16_overflow 0
		.amdhsa_tg_split 0
		.amdhsa_exception_fp_ieee_invalid_op 0
		.amdhsa_exception_fp_denorm_src 0
		.amdhsa_exception_fp_ieee_div_zero 0
		.amdhsa_exception_fp_ieee_overflow 0
		.amdhsa_exception_fp_ieee_underflow 0
		.amdhsa_exception_fp_ieee_inexact 0
		.amdhsa_exception_int_div_zero 0
	.end_amdhsa_kernel
	.section	.text._ZN12_GLOBAL__N_135rocblas_gemm_batched_general_kernelIfLi16ELi16ELi32ELi32ELi8ELi32ELi8ELi8ELi32ELc84ELc84EKPKfS3_KPfEEvlllT_PT11_llS8_llS6_PT12_llPT13_lli,"axG",@progbits,_ZN12_GLOBAL__N_135rocblas_gemm_batched_general_kernelIfLi16ELi16ELi32ELi32ELi8ELi32ELi8ELi8ELi32ELc84ELc84EKPKfS3_KPfEEvlllT_PT11_llS8_llS6_PT12_llPT13_lli,comdat
.Lfunc_end197:
	.size	_ZN12_GLOBAL__N_135rocblas_gemm_batched_general_kernelIfLi16ELi16ELi32ELi32ELi8ELi32ELi8ELi8ELi32ELc84ELc84EKPKfS3_KPfEEvlllT_PT11_llS8_llS6_PT12_llPT13_lli, .Lfunc_end197-_ZN12_GLOBAL__N_135rocblas_gemm_batched_general_kernelIfLi16ELi16ELi32ELi32ELi8ELi32ELi8ELi8ELi32ELc84ELc84EKPKfS3_KPfEEvlllT_PT11_llS8_llS6_PT12_llPT13_lli
                                        ; -- End function
	.section	.AMDGPU.csdata,"",@progbits
; Kernel info:
; codeLenInByte = 1876
; NumSgprs: 50
; NumVgprs: 52
; NumAgprs: 0
; TotalNumVgprs: 52
; ScratchSize: 0
; MemoryBound: 0
; FloatMode: 240
; IeeeMode: 1
; LDSByteSize: 2048 bytes/workgroup (compile time only)
; SGPRBlocks: 6
; VGPRBlocks: 6
; NumSGPRsForWavesPerEU: 50
; NumVGPRsForWavesPerEU: 52
; AccumOffset: 52
; Occupancy: 8
; WaveLimiterHint : 1
; COMPUTE_PGM_RSRC2:SCRATCH_EN: 0
; COMPUTE_PGM_RSRC2:USER_SGPR: 6
; COMPUTE_PGM_RSRC2:TRAP_HANDLER: 0
; COMPUTE_PGM_RSRC2:TGID_X_EN: 1
; COMPUTE_PGM_RSRC2:TGID_Y_EN: 1
; COMPUTE_PGM_RSRC2:TGID_Z_EN: 1
; COMPUTE_PGM_RSRC2:TIDIG_COMP_CNT: 1
; COMPUTE_PGM_RSRC3_GFX90A:ACCUM_OFFSET: 12
; COMPUTE_PGM_RSRC3_GFX90A:TG_SPLIT: 0
	.section	.text._ZN12_GLOBAL__N_135rocblas_gemm_batched_general_kernelIfLi16ELi16ELi32ELi32ELi8ELi32ELi8ELi8ELi32ELc67ELc67EKPKfS3_KPfEEvlllT_PT11_llS8_llS6_PT12_llPT13_lli,"axG",@progbits,_ZN12_GLOBAL__N_135rocblas_gemm_batched_general_kernelIfLi16ELi16ELi32ELi32ELi8ELi32ELi8ELi8ELi32ELc67ELc67EKPKfS3_KPfEEvlllT_PT11_llS8_llS6_PT12_llPT13_lli,comdat
	.globl	_ZN12_GLOBAL__N_135rocblas_gemm_batched_general_kernelIfLi16ELi16ELi32ELi32ELi8ELi32ELi8ELi8ELi32ELc67ELc67EKPKfS3_KPfEEvlllT_PT11_llS8_llS6_PT12_llPT13_lli ; -- Begin function _ZN12_GLOBAL__N_135rocblas_gemm_batched_general_kernelIfLi16ELi16ELi32ELi32ELi8ELi32ELi8ELi8ELi32ELc67ELc67EKPKfS3_KPfEEvlllT_PT11_llS8_llS6_PT12_llPT13_lli
	.p2align	8
	.type	_ZN12_GLOBAL__N_135rocblas_gemm_batched_general_kernelIfLi16ELi16ELi32ELi32ELi8ELi32ELi8ELi8ELi32ELc67ELc67EKPKfS3_KPfEEvlllT_PT11_llS8_llS6_PT12_llPT13_lli,@function
_ZN12_GLOBAL__N_135rocblas_gemm_batched_general_kernelIfLi16ELi16ELi32ELi32ELi8ELi32ELi8ELi8ELi32ELc67ELc67EKPKfS3_KPfEEvlllT_PT11_llS8_llS6_PT12_llPT13_lli: ; @_ZN12_GLOBAL__N_135rocblas_gemm_batched_general_kernelIfLi16ELi16ELi32ELi32ELi8ELi32ELi8ELi8ELi32ELc67ELc67EKPKfS3_KPfEEvlllT_PT11_llS8_llS6_PT12_llPT13_lli
; %bb.0:
	s_load_dwordx4 s[36:39], s[4:5], 0x0
	s_load_dwordx2 s[34:35], s[4:5], 0x10
	s_load_dwordx4 s[28:31], s[4:5], 0x78
	s_load_dwordx8 s[12:19], s[4:5], 0x58
	s_mov_b32 s9, 0
	s_lshl_b64 s[0:1], s[8:9], 3
	s_mov_b32 s42, s7
	v_mov_b32_e32 v3, 0
	s_waitcnt lgkmcnt(0)
	s_add_u32 s2, s12, s0
	s_addc_u32 s3, s13, s1
	s_load_dwordx2 s[12:13], s[2:3], 0x0
	s_add_u32 s2, s18, s0
	s_addc_u32 s3, s19, s1
	s_load_dwordx2 s[18:19], s[2:3], 0x0
	s_ashr_i32 s7, s6, 31
	s_ashr_i32 s43, s42, 31
	v_cmp_lt_i64_e64 s[2:3], s[34:35], 1
	v_and_b32_e32 v14, 0x3ff, v0
	v_bfe_u32 v5, v0, 10, 10
	s_lshl_b64 s[6:7], s[6:7], 5
	s_lshl_b64 s[40:41], s[42:43], 5
	s_and_b64 vcc, exec, s[2:3]
	v_mov_b32_e32 v2, v3
	v_mov_b32_e32 v1, v3
	;; [unrolled: 1-line block ×3, first 2 shown]
	s_cbranch_vccnz .LBB198_7
; %bb.1:
	s_load_dwordx8 s[20:27], s[4:5], 0x20
	s_load_dwordx4 s[8:11], s[4:5], 0x40
	v_lshl_add_u32 v1, v5, 4, v14
	v_lshrrev_b32_e32 v10, 3, v1
	v_mov_b32_e32 v3, s41
	s_waitcnt lgkmcnt(0)
	s_add_u32 s2, s26, s0
	v_add_co_u32_e32 v2, vcc, s40, v10
	s_addc_u32 s3, s27, s1
	v_and_b32_e32 v6, 7, v14
	v_addc_co_u32_e32 v3, vcc, 0, v3, vcc
	s_load_dwordx2 s[26:27], s[2:3], 0x0
	v_cmp_gt_i64_e64 s[2:3], s[38:39], v[2:3]
	v_lshlrev_b32_e32 v2, 2, v6
	v_lshl_or_b32 v2, v10, 5, v2
	v_lshrrev_b32_e32 v4, 5, v1
	s_add_u32 s0, s20, s0
	v_and_b32_e32 v1, 31, v1
	v_add_u32_e32 v15, 0x400, v2
	v_mov_b32_e32 v2, 0x400
	s_addc_u32 s1, s21, s1
	v_mov_b32_e32 v9, s7
	v_or_b32_e32 v8, s6, v1
	v_lshl_add_u32 v17, v5, 5, v2
	v_mad_u64_u32 v[2:3], s[44:45], s8, v6, 0
	s_load_dwordx2 s[20:21], s[0:1], 0x0
	v_cmp_gt_i64_e64 s[0:1], s[36:37], v[8:9]
	v_mov_b32_e32 v8, v3
	v_mad_u64_u32 v[8:9], s[44:45], s9, v6, v[8:9]
	s_lshl_b64 s[42:43], s[42:43], 7
	s_lshl_b64 s[10:11], s[10:11], 2
	v_mov_b32_e32 v3, v8
	s_add_u32 s10, s10, s42
	v_lshlrev_b64 v[2:3], 2, v[2:3]
	s_addc_u32 s11, s11, s43
	v_mov_b32_e32 v8, s11
	v_add_co_u32_e32 v2, vcc, s10, v2
	v_addc_co_u32_e32 v3, vcc, v8, v3, vcc
	v_lshlrev_b32_e32 v8, 2, v10
	v_add_co_u32_e32 v2, vcc, v2, v8
	v_addc_co_u32_e32 v3, vcc, 0, v3, vcc
	s_waitcnt lgkmcnt(0)
	v_mov_b32_e32 v9, s27
	v_add_co_u32_e32 v8, vcc, s26, v2
	v_addc_co_u32_e32 v9, vcc, v9, v3, vcc
	v_lshlrev_b32_e32 v7, 2, v1
	v_mov_b32_e32 v2, s7
	v_add_co_u32_e32 v1, vcc, s6, v1
	v_addc_co_u32_e32 v2, vcc, 0, v2, vcc
	v_mul_lo_u32 v10, s23, v1
	v_mul_lo_u32 v11, s22, v2
	v_mad_u64_u32 v[2:3], s[10:11], s22, v1, 0
	v_add3_u32 v3, v3, v11, v10
	v_lshlrev_b64 v[2:3], 2, v[2:3]
	s_lshl_b64 s[10:11], s[24:25], 2
	v_mov_b32_e32 v1, s11
	v_add_co_u32_e32 v2, vcc, s10, v2
	v_addc_co_u32_e32 v1, vcc, v3, v1, vcc
	v_lshlrev_b32_e32 v3, 2, v4
	v_add_co_u32_e32 v2, vcc, v2, v3
	v_addc_co_u32_e32 v1, vcc, 0, v1, vcc
	v_mov_b32_e32 v0, 0
	s_lshl_b64 s[8:9], s[8:9], 5
	v_mov_b32_e32 v3, s21
	v_add_co_u32_e32 v10, vcc, s20, v2
	v_lshl_or_b32 v7, v4, 7, v7
	v_lshlrev_b32_e32 v16, 2, v14
	v_addc_co_u32_e32 v11, vcc, v3, v1, vcc
	s_mov_b64 s[10:11], 0
	v_mov_b32_e32 v18, s9
	v_pk_mov_b32 v[12:13], s[34:35], s[34:35] op_sel:[0,1]
	v_mov_b32_e32 v1, v0
	v_mov_b32_e32 v2, v0
	;; [unrolled: 1-line block ×3, first 2 shown]
	s_branch .LBB198_3
.LBB198_2:                              ;   in Loop: Header=BB198_3 Depth=1
	s_or_b64 exec, exec, s[20:21]
	s_waitcnt vmcnt(0)
	ds_write_b32 v15, v19
	s_waitcnt lgkmcnt(0)
	s_barrier
	ds_read_b128 v[20:23], v17
	ds_read_b128 v[24:27], v17 offset:16
	ds_read2_b32 v[36:37], v16 offset1:16
	ds_read2_b32 v[38:39], v16 offset0:32 offset1:48
	ds_read2_b32 v[40:41], v16 offset0:64 offset1:80
	;; [unrolled: 1-line block ×4, first 2 shown]
	ds_read_b128 v[28:31], v17 offset:512
	ds_read_b128 v[32:35], v17 offset:528
	ds_read2_b32 v[46:47], v16 offset0:160 offset1:176
	ds_read2_b32 v[48:49], v16 offset0:192 offset1:208
	ds_read2_b32 v[50:51], v16 offset0:224 offset1:240
	s_waitcnt lgkmcnt(9)
	v_pk_fma_f32 v[2:3], v[36:37], v[20:21], v[2:3] op_sel_hi:[1,0,1]
	s_waitcnt lgkmcnt(8)
	v_pk_fma_f32 v[2:3], v[38:39], v[20:21], v[2:3] op_sel:[0,1,0]
	s_waitcnt lgkmcnt(7)
	v_pk_fma_f32 v[2:3], v[40:41], v[22:23], v[2:3] op_sel_hi:[1,0,1]
	v_mov_b32_e32 v20, v23
	s_waitcnt lgkmcnt(6)
	v_pk_fma_f32 v[2:3], v[42:43], v[20:21], v[2:3] op_sel_hi:[1,0,1]
	s_waitcnt lgkmcnt(5)
	v_pk_fma_f32 v[2:3], v[44:45], v[24:25], v[2:3] op_sel_hi:[1,0,1]
	s_waitcnt lgkmcnt(2)
	v_pk_fma_f32 v[2:3], v[46:47], v[24:25], v[2:3] op_sel:[0,1,0]
	v_pk_fma_f32 v[0:1], v[36:37], v[28:29], v[0:1] op_sel_hi:[1,0,1]
	s_waitcnt lgkmcnt(1)
	v_pk_fma_f32 v[2:3], v[48:49], v[26:27], v[2:3] op_sel_hi:[1,0,1]
	v_mov_b32_e32 v20, v27
	v_pk_fma_f32 v[0:1], v[38:39], v[28:29], v[0:1] op_sel:[0,1,0]
	s_waitcnt lgkmcnt(0)
	v_pk_fma_f32 v[2:3], v[50:51], v[20:21], v[2:3] op_sel_hi:[1,0,1]
	v_pk_fma_f32 v[0:1], v[40:41], v[30:31], v[0:1] op_sel_hi:[1,0,1]
	v_mov_b32_e32 v20, v31
	v_add_co_u32_e32 v8, vcc, s8, v8
	v_pk_fma_f32 v[0:1], v[42:43], v[20:21], v[0:1] op_sel_hi:[1,0,1]
	v_addc_co_u32_e32 v9, vcc, v9, v18, vcc
	v_pk_fma_f32 v[0:1], v[44:45], v[32:33], v[0:1] op_sel_hi:[1,0,1]
	s_add_u32 s10, s10, 8
	v_add_co_u32_e32 v10, vcc, 32, v10
	v_pk_fma_f32 v[0:1], v[46:47], v[32:33], v[0:1] op_sel:[0,1,0]
	s_addc_u32 s11, s11, 0
	v_addc_co_u32_e32 v11, vcc, 0, v11, vcc
	v_pk_fma_f32 v[0:1], v[48:49], v[34:35], v[0:1] op_sel_hi:[1,0,1]
	v_mov_b32_e32 v20, v35
	v_cmp_lt_i64_e32 vcc, s[10:11], v[12:13]
	v_pk_fma_f32 v[0:1], v[50:51], v[20:21], v[0:1] op_sel_hi:[1,0,1]
	s_barrier
	s_cbranch_vccz .LBB198_7
.LBB198_3:                              ; =>This Inner Loop Header: Depth=1
	v_mov_b32_e32 v19, s11
	v_add_co_u32_e32 v20, vcc, s10, v4
	v_addc_co_u32_e32 v21, vcc, 0, v19, vcc
	v_cmp_gt_i64_e32 vcc, s[34:35], v[20:21]
	s_and_b64 s[22:23], s[0:1], vcc
	v_mov_b32_e32 v19, 0
	s_and_saveexec_b64 s[20:21], s[22:23]
	s_cbranch_execz .LBB198_5
; %bb.4:                                ;   in Loop: Header=BB198_3 Depth=1
	global_load_dword v19, v[10:11], off
.LBB198_5:                              ;   in Loop: Header=BB198_3 Depth=1
	s_or_b64 exec, exec, s[20:21]
	s_waitcnt vmcnt(0)
	ds_write_b32 v7, v19
	v_mov_b32_e32 v19, s11
	v_add_co_u32_e32 v20, vcc, s10, v6
	v_addc_co_u32_e32 v21, vcc, 0, v19, vcc
	v_cmp_gt_i64_e32 vcc, s[34:35], v[20:21]
	s_and_b64 s[22:23], vcc, s[2:3]
	v_mov_b32_e32 v19, 0
	s_and_saveexec_b64 s[20:21], s[22:23]
	s_cbranch_execz .LBB198_2
; %bb.6:                                ;   in Loop: Header=BB198_3 Depth=1
	global_load_dword v19, v[8:9], off
	s_branch .LBB198_2
.LBB198_7:
	s_load_dword s20, s[4:5], 0x18
	s_load_dword s21, s[4:5], 0x50
	s_lshl_b64 s[0:1], s[30:31], 2
	v_mov_b32_e32 v6, s41
	v_add_co_u32_e32 v4, vcc, s40, v5
	s_waitcnt lgkmcnt(0)
	s_add_u32 s18, s18, s0
	v_addc_co_u32_e32 v5, vcc, 0, v6, vcc
	v_cmp_neq_f32_e64 s[2:3], s21, 0
	s_addc_u32 s19, s19, s1
	v_cmp_gt_i64_e64 s[0:1], s[38:39], v[4:5]
	s_and_b64 vcc, exec, s[2:3]
	s_cbranch_vccnz .LBB198_20
; %bb.8:
	s_and_saveexec_b64 s[8:9], s[0:1]
	s_cbranch_execz .LBB198_18
; %bb.9:
	v_mov_b32_e32 v6, s7
	v_add_co_u32_e32 v8, vcc, s6, v14
	v_addc_co_u32_e32 v9, vcc, 0, v6, vcc
	v_mul_lo_u32 v10, v5, s28
	v_mul_lo_u32 v11, v4, s29
	v_mad_u64_u32 v[6:7], s[2:3], v4, s28, 0
	v_add3_u32 v7, v7, v11, v10
	v_lshlrev_b64 v[6:7], 2, v[6:7]
	v_mov_b32_e32 v11, s19
	v_add_co_u32_e64 v10, s[2:3], s18, v6
	v_cmp_gt_i64_e32 vcc, s[36:37], v[8:9]
	v_addc_co_u32_e64 v11, s[2:3], v11, v7, s[2:3]
	v_lshlrev_b64 v[6:7], 2, v[8:9]
	s_and_saveexec_b64 s[4:5], vcc
	s_cbranch_execz .LBB198_11
; %bb.10:
	v_add_co_u32_e64 v12, s[2:3], v10, v6
	v_addc_co_u32_e64 v13, s[2:3], v11, v7, s[2:3]
	v_mul_f32_e32 v15, s20, v2
	global_store_dword v[12:13], v15, off
.LBB198_11:
	s_or_b64 exec, exec, s[4:5]
	v_add_co_u32_e64 v8, s[2:3], 16, v8
	v_addc_co_u32_e64 v9, s[2:3], 0, v9, s[2:3]
	v_cmp_gt_i64_e64 s[2:3], s[36:37], v[8:9]
	s_and_saveexec_b64 s[10:11], s[2:3]
	s_cbranch_execz .LBB198_13
; %bb.12:
	v_add_co_u32_e64 v8, s[4:5], v10, v6
	v_addc_co_u32_e64 v9, s[4:5], v11, v7, s[4:5]
	v_mul_f32_e32 v12, s20, v3
	global_store_dword v[8:9], v12, off offset:64
.LBB198_13:
	s_or_b64 exec, exec, s[10:11]
	v_add_co_u32_e64 v8, s[4:5], 16, v4
	v_addc_co_u32_e64 v9, s[4:5], 0, v5, s[4:5]
	v_cmp_gt_i64_e64 s[4:5], s[38:39], v[8:9]
	s_and_b64 exec, exec, s[4:5]
	s_cbranch_execz .LBB198_18
; %bb.14:
	s_lshl_b64 s[4:5], s[28:29], 6
	v_mov_b32_e32 v8, s5
	v_add_co_u32_e64 v9, s[4:5], s4, v10
	v_addc_co_u32_e64 v8, s[4:5], v11, v8, s[4:5]
	v_add_co_u32_e64 v6, s[4:5], v9, v6
	v_addc_co_u32_e64 v7, s[4:5], v8, v7, s[4:5]
	s_and_saveexec_b64 s[4:5], vcc
	s_cbranch_execz .LBB198_16
; %bb.15:
	v_mul_f32_e32 v8, s20, v0
	global_store_dword v[6:7], v8, off
.LBB198_16:
	s_or_b64 exec, exec, s[4:5]
	s_and_b64 exec, exec, s[2:3]
	s_cbranch_execz .LBB198_18
; %bb.17:
	v_mul_f32_e32 v8, s20, v1
	global_store_dword v[6:7], v8, off offset:64
.LBB198_18:
	s_or_b64 exec, exec, s[8:9]
	s_cbranch_execz .LBB198_21
.LBB198_19:
	s_endpgm
.LBB198_20:
.LBB198_21:
	s_and_saveexec_b64 s[2:3], s[0:1]
	s_cbranch_execz .LBB198_19
; %bb.22:
	s_lshl_b64 s[0:1], s[16:17], 2
	s_add_u32 s2, s12, s0
	v_mov_b32_e32 v6, s7
	v_add_co_u32_e32 v8, vcc, s6, v14
	s_addc_u32 s3, s13, s1
	v_addc_co_u32_e32 v9, vcc, 0, v6, vcc
	v_mul_lo_u32 v10, v5, s14
	v_mul_lo_u32 v11, v4, s15
	v_mad_u64_u32 v[6:7], s[0:1], v4, s14, 0
	v_add3_u32 v7, v7, v11, v10
	v_mul_lo_u32 v10, v5, s28
	v_mul_lo_u32 v11, v4, s29
	v_mad_u64_u32 v[12:13], s[0:1], v4, s28, 0
	v_lshlrev_b64 v[6:7], 2, v[6:7]
	v_add3_u32 v13, v13, v11, v10
	v_mov_b32_e32 v11, s3
	v_add_co_u32_e64 v10, s[0:1], s2, v6
	v_addc_co_u32_e64 v11, s[0:1], v11, v7, s[0:1]
	v_lshlrev_b64 v[6:7], 2, v[12:13]
	v_mov_b32_e32 v13, s19
	v_add_co_u32_e64 v12, s[0:1], s18, v6
	v_cmp_gt_i64_e32 vcc, s[36:37], v[8:9]
	v_addc_co_u32_e64 v13, s[0:1], v13, v7, s[0:1]
	v_lshlrev_b64 v[6:7], 2, v[8:9]
	s_and_saveexec_b64 s[2:3], vcc
	s_cbranch_execz .LBB198_24
; %bb.23:
	v_add_co_u32_e64 v14, s[0:1], v10, v6
	v_addc_co_u32_e64 v15, s[0:1], v11, v7, s[0:1]
	global_load_dword v14, v[14:15], off
	s_waitcnt vmcnt(0)
	v_mul_f32_e32 v16, s21, v14
	v_add_co_u32_e64 v14, s[0:1], v12, v6
	v_fmac_f32_e32 v16, s20, v2
	v_addc_co_u32_e64 v15, s[0:1], v13, v7, s[0:1]
	global_store_dword v[14:15], v16, off
.LBB198_24:
	s_or_b64 exec, exec, s[2:3]
	v_add_co_u32_e64 v8, s[0:1], 16, v8
	v_addc_co_u32_e64 v9, s[0:1], 0, v9, s[0:1]
	v_cmp_gt_i64_e64 s[0:1], s[36:37], v[8:9]
	s_and_saveexec_b64 s[4:5], s[0:1]
	s_cbranch_execz .LBB198_26
; %bb.25:
	v_add_co_u32_e64 v8, s[2:3], v10, v6
	v_addc_co_u32_e64 v9, s[2:3], v11, v7, s[2:3]
	global_load_dword v2, v[8:9], off offset:64
	s_waitcnt vmcnt(0)
	v_mul_f32_e32 v8, s21, v2
	v_add_co_u32_e64 v2, s[2:3], v12, v6
	v_fmac_f32_e32 v8, s20, v3
	v_addc_co_u32_e64 v3, s[2:3], v13, v7, s[2:3]
	global_store_dword v[2:3], v8, off offset:64
.LBB198_26:
	s_or_b64 exec, exec, s[4:5]
	v_add_co_u32_e64 v2, s[2:3], 16, v4
	v_addc_co_u32_e64 v3, s[2:3], 0, v5, s[2:3]
	v_cmp_gt_i64_e64 s[2:3], s[38:39], v[2:3]
	s_and_b64 exec, exec, s[2:3]
	s_cbranch_execz .LBB198_19
; %bb.27:
	s_lshl_b64 s[2:3], s[14:15], 6
	v_mov_b32_e32 v2, s3
	v_add_co_u32_e64 v3, s[2:3], s2, v10
	v_addc_co_u32_e64 v4, s[2:3], v11, v2, s[2:3]
	s_lshl_b64 s[2:3], s[28:29], 6
	v_mov_b32_e32 v2, s3
	v_add_co_u32_e64 v5, s[2:3], s2, v12
	v_addc_co_u32_e64 v8, s[2:3], v13, v2, s[2:3]
	v_add_co_u32_e64 v2, s[2:3], v3, v6
	v_addc_co_u32_e64 v3, s[2:3], v4, v7, s[2:3]
	;; [unrolled: 2-line block ×3, first 2 shown]
	s_and_saveexec_b64 s[2:3], vcc
	s_cbranch_execz .LBB198_29
; %bb.28:
	global_load_dword v6, v[2:3], off
	s_waitcnt vmcnt(0)
	v_mul_f32_e32 v6, s21, v6
	v_fmac_f32_e32 v6, s20, v0
	global_store_dword v[4:5], v6, off
.LBB198_29:
	s_or_b64 exec, exec, s[2:3]
	s_and_b64 exec, exec, s[0:1]
	s_cbranch_execz .LBB198_19
; %bb.30:
	global_load_dword v0, v[2:3], off offset:64
	s_waitcnt vmcnt(0)
	v_mul_f32_e32 v0, s21, v0
	v_fmac_f32_e32 v0, s20, v1
	global_store_dword v[4:5], v0, off offset:64
	s_endpgm
	.section	.rodata,"a",@progbits
	.p2align	6, 0x0
	.amdhsa_kernel _ZN12_GLOBAL__N_135rocblas_gemm_batched_general_kernelIfLi16ELi16ELi32ELi32ELi8ELi32ELi8ELi8ELi32ELc67ELc67EKPKfS3_KPfEEvlllT_PT11_llS8_llS6_PT12_llPT13_lli
		.amdhsa_group_segment_fixed_size 2048
		.amdhsa_private_segment_fixed_size 0
		.amdhsa_kernarg_size 140
		.amdhsa_user_sgpr_count 6
		.amdhsa_user_sgpr_private_segment_buffer 1
		.amdhsa_user_sgpr_dispatch_ptr 0
		.amdhsa_user_sgpr_queue_ptr 0
		.amdhsa_user_sgpr_kernarg_segment_ptr 1
		.amdhsa_user_sgpr_dispatch_id 0
		.amdhsa_user_sgpr_flat_scratch_init 0
		.amdhsa_user_sgpr_kernarg_preload_length 0
		.amdhsa_user_sgpr_kernarg_preload_offset 0
		.amdhsa_user_sgpr_private_segment_size 0
		.amdhsa_uses_dynamic_stack 0
		.amdhsa_system_sgpr_private_segment_wavefront_offset 0
		.amdhsa_system_sgpr_workgroup_id_x 1
		.amdhsa_system_sgpr_workgroup_id_y 1
		.amdhsa_system_sgpr_workgroup_id_z 1
		.amdhsa_system_sgpr_workgroup_info 0
		.amdhsa_system_vgpr_workitem_id 1
		.amdhsa_next_free_vgpr 52
		.amdhsa_next_free_sgpr 46
		.amdhsa_accum_offset 52
		.amdhsa_reserve_vcc 1
		.amdhsa_reserve_flat_scratch 0
		.amdhsa_float_round_mode_32 0
		.amdhsa_float_round_mode_16_64 0
		.amdhsa_float_denorm_mode_32 3
		.amdhsa_float_denorm_mode_16_64 3
		.amdhsa_dx10_clamp 1
		.amdhsa_ieee_mode 1
		.amdhsa_fp16_overflow 0
		.amdhsa_tg_split 0
		.amdhsa_exception_fp_ieee_invalid_op 0
		.amdhsa_exception_fp_denorm_src 0
		.amdhsa_exception_fp_ieee_div_zero 0
		.amdhsa_exception_fp_ieee_overflow 0
		.amdhsa_exception_fp_ieee_underflow 0
		.amdhsa_exception_fp_ieee_inexact 0
		.amdhsa_exception_int_div_zero 0
	.end_amdhsa_kernel
	.section	.text._ZN12_GLOBAL__N_135rocblas_gemm_batched_general_kernelIfLi16ELi16ELi32ELi32ELi8ELi32ELi8ELi8ELi32ELc67ELc67EKPKfS3_KPfEEvlllT_PT11_llS8_llS6_PT12_llPT13_lli,"axG",@progbits,_ZN12_GLOBAL__N_135rocblas_gemm_batched_general_kernelIfLi16ELi16ELi32ELi32ELi8ELi32ELi8ELi8ELi32ELc67ELc67EKPKfS3_KPfEEvlllT_PT11_llS8_llS6_PT12_llPT13_lli,comdat
.Lfunc_end198:
	.size	_ZN12_GLOBAL__N_135rocblas_gemm_batched_general_kernelIfLi16ELi16ELi32ELi32ELi8ELi32ELi8ELi8ELi32ELc67ELc67EKPKfS3_KPfEEvlllT_PT11_llS8_llS6_PT12_llPT13_lli, .Lfunc_end198-_ZN12_GLOBAL__N_135rocblas_gemm_batched_general_kernelIfLi16ELi16ELi32ELi32ELi8ELi32ELi8ELi8ELi32ELc67ELc67EKPKfS3_KPfEEvlllT_PT11_llS8_llS6_PT12_llPT13_lli
                                        ; -- End function
	.section	.AMDGPU.csdata,"",@progbits
; Kernel info:
; codeLenInByte = 1876
; NumSgprs: 50
; NumVgprs: 52
; NumAgprs: 0
; TotalNumVgprs: 52
; ScratchSize: 0
; MemoryBound: 0
; FloatMode: 240
; IeeeMode: 1
; LDSByteSize: 2048 bytes/workgroup (compile time only)
; SGPRBlocks: 6
; VGPRBlocks: 6
; NumSGPRsForWavesPerEU: 50
; NumVGPRsForWavesPerEU: 52
; AccumOffset: 52
; Occupancy: 8
; WaveLimiterHint : 1
; COMPUTE_PGM_RSRC2:SCRATCH_EN: 0
; COMPUTE_PGM_RSRC2:USER_SGPR: 6
; COMPUTE_PGM_RSRC2:TRAP_HANDLER: 0
; COMPUTE_PGM_RSRC2:TGID_X_EN: 1
; COMPUTE_PGM_RSRC2:TGID_Y_EN: 1
; COMPUTE_PGM_RSRC2:TGID_Z_EN: 1
; COMPUTE_PGM_RSRC2:TIDIG_COMP_CNT: 1
; COMPUTE_PGM_RSRC3_GFX90A:ACCUM_OFFSET: 12
; COMPUTE_PGM_RSRC3_GFX90A:TG_SPLIT: 0
	.section	.text._ZN12_GLOBAL__N_135rocblas_gemm_batched_general_kernelIfLi16ELi16ELi32ELi32ELi8ELi32ELi8ELi8ELi32ELc67ELc78EKPKfS3_KPfEEvlllT_PT11_llS8_llS6_PT12_llPT13_lli,"axG",@progbits,_ZN12_GLOBAL__N_135rocblas_gemm_batched_general_kernelIfLi16ELi16ELi32ELi32ELi8ELi32ELi8ELi8ELi32ELc67ELc78EKPKfS3_KPfEEvlllT_PT11_llS8_llS6_PT12_llPT13_lli,comdat
	.globl	_ZN12_GLOBAL__N_135rocblas_gemm_batched_general_kernelIfLi16ELi16ELi32ELi32ELi8ELi32ELi8ELi8ELi32ELc67ELc78EKPKfS3_KPfEEvlllT_PT11_llS8_llS6_PT12_llPT13_lli ; -- Begin function _ZN12_GLOBAL__N_135rocblas_gemm_batched_general_kernelIfLi16ELi16ELi32ELi32ELi8ELi32ELi8ELi8ELi32ELc67ELc78EKPKfS3_KPfEEvlllT_PT11_llS8_llS6_PT12_llPT13_lli
	.p2align	8
	.type	_ZN12_GLOBAL__N_135rocblas_gemm_batched_general_kernelIfLi16ELi16ELi32ELi32ELi8ELi32ELi8ELi8ELi32ELc67ELc78EKPKfS3_KPfEEvlllT_PT11_llS8_llS6_PT12_llPT13_lli,@function
_ZN12_GLOBAL__N_135rocblas_gemm_batched_general_kernelIfLi16ELi16ELi32ELi32ELi8ELi32ELi8ELi8ELi32ELc67ELc78EKPKfS3_KPfEEvlllT_PT11_llS8_llS6_PT12_llPT13_lli: ; @_ZN12_GLOBAL__N_135rocblas_gemm_batched_general_kernelIfLi16ELi16ELi32ELi32ELi8ELi32ELi8ELi8ELi32ELc67ELc78EKPKfS3_KPfEEvlllT_PT11_llS8_llS6_PT12_llPT13_lli
; %bb.0:
	s_load_dwordx4 s[36:39], s[4:5], 0x0
	s_load_dwordx2 s[34:35], s[4:5], 0x10
	s_load_dwordx4 s[28:31], s[4:5], 0x78
	s_load_dwordx8 s[12:19], s[4:5], 0x58
	s_mov_b32 s9, 0
	s_lshl_b64 s[0:1], s[8:9], 3
	s_mov_b32 s2, s7
	v_mov_b32_e32 v3, 0
	s_waitcnt lgkmcnt(0)
	s_add_u32 s8, s12, s0
	s_addc_u32 s9, s13, s1
	s_load_dwordx2 s[12:13], s[8:9], 0x0
	s_add_u32 s8, s18, s0
	s_addc_u32 s9, s19, s1
	s_load_dwordx2 s[18:19], s[8:9], 0x0
	s_ashr_i32 s3, s2, 31
	s_ashr_i32 s7, s6, 31
	s_lshl_b64 s[40:41], s[2:3], 5
	v_cmp_lt_i64_e64 s[2:3], s[34:35], 1
	v_and_b32_e32 v14, 0x3ff, v0
	v_bfe_u32 v5, v0, 10, 10
	s_lshl_b64 s[6:7], s[6:7], 5
	s_and_b64 vcc, exec, s[2:3]
	v_mov_b32_e32 v2, v3
	v_mov_b32_e32 v1, v3
	;; [unrolled: 1-line block ×3, first 2 shown]
	s_cbranch_vccnz .LBB199_7
; %bb.1:
	s_load_dwordx8 s[20:27], s[4:5], 0x20
	s_load_dwordx4 s[8:11], s[4:5], 0x40
	v_lshl_add_u32 v1, v5, 4, v14
	v_lshrrev_b32_e32 v4, 5, v1
	v_lshrrev_b32_e32 v10, 3, v1
	s_waitcnt lgkmcnt(0)
	s_add_u32 s2, s26, s0
	s_addc_u32 s3, s27, s1
	s_add_u32 s0, s20, s0
	v_and_b32_e32 v1, 31, v1
	v_and_b32_e32 v6, 7, v14
	s_addc_u32 s1, s21, s1
	v_mov_b32_e32 v9, s7
	v_or_b32_e32 v8, s6, v1
	s_load_dwordx2 s[20:21], s[0:1], 0x0
	v_cmp_gt_i64_e64 s[0:1], s[36:37], v[8:9]
	v_lshlrev_b32_e32 v8, 2, v6
	v_mov_b32_e32 v3, s41
	v_add_co_u32_e32 v2, vcc, s40, v10
	v_lshl_or_b32 v9, v10, 5, v8
	v_addc_co_u32_e32 v3, vcc, 0, v3, vcc
	v_add_u32_e32 v15, 0x400, v9
	v_mov_b32_e32 v9, 0x400
	s_load_dwordx2 s[26:27], s[2:3], 0x0
	v_cmp_gt_i64_e64 s[2:3], s[38:39], v[2:3]
	v_lshl_add_u32 v17, v5, 5, v9
	v_mul_lo_u32 v9, s9, v2
	v_mul_lo_u32 v10, s8, v3
	v_mad_u64_u32 v[2:3], s[8:9], s8, v2, 0
	v_add3_u32 v3, v3, v10, v9
	v_lshlrev_b64 v[2:3], 2, v[2:3]
	s_lshl_b64 s[8:9], s[10:11], 2
	v_mov_b32_e32 v9, s9
	v_add_co_u32_e32 v2, vcc, s8, v2
	v_addc_co_u32_e32 v3, vcc, v3, v9, vcc
	v_add_co_u32_e32 v2, vcc, v2, v8
	v_addc_co_u32_e32 v3, vcc, 0, v3, vcc
	s_waitcnt lgkmcnt(0)
	v_mov_b32_e32 v9, s27
	v_add_co_u32_e32 v8, vcc, s26, v2
	v_addc_co_u32_e32 v9, vcc, v9, v3, vcc
	v_lshlrev_b32_e32 v7, 2, v1
	v_mov_b32_e32 v2, s7
	v_add_co_u32_e32 v1, vcc, s6, v1
	v_addc_co_u32_e32 v2, vcc, 0, v2, vcc
	v_mul_lo_u32 v10, s23, v1
	v_mul_lo_u32 v11, s22, v2
	v_mad_u64_u32 v[2:3], s[8:9], s22, v1, 0
	v_add3_u32 v3, v3, v11, v10
	v_lshlrev_b64 v[2:3], 2, v[2:3]
	s_lshl_b64 s[8:9], s[24:25], 2
	v_mov_b32_e32 v1, s9
	v_add_co_u32_e32 v2, vcc, s8, v2
	v_addc_co_u32_e32 v1, vcc, v3, v1, vcc
	v_lshlrev_b32_e32 v3, 2, v4
	v_add_co_u32_e32 v2, vcc, v2, v3
	v_addc_co_u32_e32 v1, vcc, 0, v1, vcc
	v_mov_b32_e32 v0, 0
	v_mov_b32_e32 v3, s21
	v_add_co_u32_e32 v10, vcc, s20, v2
	v_lshl_or_b32 v7, v4, 7, v7
	v_lshlrev_b32_e32 v16, 2, v14
	v_addc_co_u32_e32 v11, vcc, v3, v1, vcc
	s_mov_b64 s[8:9], 0
	v_pk_mov_b32 v[12:13], s[34:35], s[34:35] op_sel:[0,1]
	v_mov_b32_e32 v1, v0
	v_mov_b32_e32 v2, v0
	;; [unrolled: 1-line block ×3, first 2 shown]
	s_branch .LBB199_3
.LBB199_2:                              ;   in Loop: Header=BB199_3 Depth=1
	s_or_b64 exec, exec, s[10:11]
	s_waitcnt vmcnt(0)
	ds_write_b32 v15, v18
	s_waitcnt lgkmcnt(0)
	s_barrier
	ds_read_b128 v[18:21], v17
	ds_read_b128 v[22:25], v17 offset:16
	ds_read2_b32 v[34:35], v16 offset1:16
	ds_read2_b32 v[36:37], v16 offset0:32 offset1:48
	ds_read2_b32 v[38:39], v16 offset0:64 offset1:80
	;; [unrolled: 1-line block ×4, first 2 shown]
	ds_read_b128 v[26:29], v17 offset:512
	ds_read_b128 v[30:33], v17 offset:528
	ds_read2_b32 v[44:45], v16 offset0:160 offset1:176
	ds_read2_b32 v[46:47], v16 offset0:192 offset1:208
	;; [unrolled: 1-line block ×3, first 2 shown]
	s_waitcnt lgkmcnt(9)
	v_pk_fma_f32 v[2:3], v[34:35], v[18:19], v[2:3] op_sel_hi:[1,0,1]
	s_waitcnt lgkmcnt(8)
	v_pk_fma_f32 v[2:3], v[36:37], v[18:19], v[2:3] op_sel:[0,1,0]
	s_waitcnt lgkmcnt(7)
	v_pk_fma_f32 v[2:3], v[38:39], v[20:21], v[2:3] op_sel_hi:[1,0,1]
	v_mov_b32_e32 v18, v21
	s_waitcnt lgkmcnt(6)
	v_pk_fma_f32 v[2:3], v[40:41], v[18:19], v[2:3] op_sel_hi:[1,0,1]
	s_waitcnt lgkmcnt(5)
	v_pk_fma_f32 v[2:3], v[42:43], v[22:23], v[2:3] op_sel_hi:[1,0,1]
	s_waitcnt lgkmcnt(2)
	v_pk_fma_f32 v[2:3], v[44:45], v[22:23], v[2:3] op_sel:[0,1,0]
	v_pk_fma_f32 v[0:1], v[34:35], v[26:27], v[0:1] op_sel_hi:[1,0,1]
	s_waitcnt lgkmcnt(1)
	v_pk_fma_f32 v[2:3], v[46:47], v[24:25], v[2:3] op_sel_hi:[1,0,1]
	v_mov_b32_e32 v18, v25
	v_pk_fma_f32 v[0:1], v[36:37], v[26:27], v[0:1] op_sel:[0,1,0]
	s_waitcnt lgkmcnt(0)
	v_pk_fma_f32 v[2:3], v[48:49], v[18:19], v[2:3] op_sel_hi:[1,0,1]
	v_pk_fma_f32 v[0:1], v[38:39], v[28:29], v[0:1] op_sel_hi:[1,0,1]
	v_mov_b32_e32 v18, v29
	v_add_co_u32_e32 v8, vcc, 32, v8
	v_pk_fma_f32 v[0:1], v[40:41], v[18:19], v[0:1] op_sel_hi:[1,0,1]
	v_addc_co_u32_e32 v9, vcc, 0, v9, vcc
	v_pk_fma_f32 v[0:1], v[42:43], v[30:31], v[0:1] op_sel_hi:[1,0,1]
	s_add_u32 s8, s8, 8
	v_add_co_u32_e32 v10, vcc, 32, v10
	v_pk_fma_f32 v[0:1], v[44:45], v[30:31], v[0:1] op_sel:[0,1,0]
	s_addc_u32 s9, s9, 0
	v_addc_co_u32_e32 v11, vcc, 0, v11, vcc
	v_pk_fma_f32 v[0:1], v[46:47], v[32:33], v[0:1] op_sel_hi:[1,0,1]
	v_mov_b32_e32 v18, v33
	v_cmp_lt_i64_e32 vcc, s[8:9], v[12:13]
	v_pk_fma_f32 v[0:1], v[48:49], v[18:19], v[0:1] op_sel_hi:[1,0,1]
	s_barrier
	s_cbranch_vccz .LBB199_7
.LBB199_3:                              ; =>This Inner Loop Header: Depth=1
	v_mov_b32_e32 v19, s9
	v_add_co_u32_e32 v18, vcc, s8, v4
	v_addc_co_u32_e32 v19, vcc, 0, v19, vcc
	v_cmp_gt_i64_e32 vcc, s[34:35], v[18:19]
	s_and_b64 s[20:21], s[0:1], vcc
	v_mov_b32_e32 v18, 0
	s_and_saveexec_b64 s[10:11], s[20:21]
	s_cbranch_execz .LBB199_5
; %bb.4:                                ;   in Loop: Header=BB199_3 Depth=1
	global_load_dword v18, v[10:11], off
.LBB199_5:                              ;   in Loop: Header=BB199_3 Depth=1
	s_or_b64 exec, exec, s[10:11]
	s_waitcnt vmcnt(0)
	ds_write_b32 v7, v18
	v_mov_b32_e32 v19, s9
	v_add_co_u32_e32 v18, vcc, s8, v6
	v_addc_co_u32_e32 v19, vcc, 0, v19, vcc
	v_cmp_gt_i64_e32 vcc, s[34:35], v[18:19]
	s_and_b64 s[20:21], vcc, s[2:3]
	v_mov_b32_e32 v18, 0
	s_and_saveexec_b64 s[10:11], s[20:21]
	s_cbranch_execz .LBB199_2
; %bb.6:                                ;   in Loop: Header=BB199_3 Depth=1
	global_load_dword v18, v[8:9], off
	s_branch .LBB199_2
.LBB199_7:
	s_load_dword s20, s[4:5], 0x18
	s_load_dword s21, s[4:5], 0x50
	s_lshl_b64 s[0:1], s[30:31], 2
	v_mov_b32_e32 v6, s41
	v_add_co_u32_e32 v4, vcc, s40, v5
	s_waitcnt lgkmcnt(0)
	s_add_u32 s18, s18, s0
	v_addc_co_u32_e32 v5, vcc, 0, v6, vcc
	v_cmp_neq_f32_e64 s[2:3], s21, 0
	s_addc_u32 s19, s19, s1
	v_cmp_gt_i64_e64 s[0:1], s[38:39], v[4:5]
	s_and_b64 vcc, exec, s[2:3]
	s_cbranch_vccnz .LBB199_20
; %bb.8:
	s_and_saveexec_b64 s[8:9], s[0:1]
	s_cbranch_execz .LBB199_18
; %bb.9:
	v_mov_b32_e32 v6, s7
	v_add_co_u32_e32 v8, vcc, s6, v14
	v_addc_co_u32_e32 v9, vcc, 0, v6, vcc
	v_mul_lo_u32 v10, v5, s28
	v_mul_lo_u32 v11, v4, s29
	v_mad_u64_u32 v[6:7], s[2:3], v4, s28, 0
	v_add3_u32 v7, v7, v11, v10
	v_lshlrev_b64 v[6:7], 2, v[6:7]
	v_mov_b32_e32 v11, s19
	v_add_co_u32_e64 v10, s[2:3], s18, v6
	v_cmp_gt_i64_e32 vcc, s[36:37], v[8:9]
	v_addc_co_u32_e64 v11, s[2:3], v11, v7, s[2:3]
	v_lshlrev_b64 v[6:7], 2, v[8:9]
	s_and_saveexec_b64 s[4:5], vcc
	s_cbranch_execz .LBB199_11
; %bb.10:
	v_add_co_u32_e64 v12, s[2:3], v10, v6
	v_addc_co_u32_e64 v13, s[2:3], v11, v7, s[2:3]
	v_mul_f32_e32 v15, s20, v2
	global_store_dword v[12:13], v15, off
.LBB199_11:
	s_or_b64 exec, exec, s[4:5]
	v_add_co_u32_e64 v8, s[2:3], 16, v8
	v_addc_co_u32_e64 v9, s[2:3], 0, v9, s[2:3]
	v_cmp_gt_i64_e64 s[2:3], s[36:37], v[8:9]
	s_and_saveexec_b64 s[10:11], s[2:3]
	s_cbranch_execz .LBB199_13
; %bb.12:
	v_add_co_u32_e64 v8, s[4:5], v10, v6
	v_addc_co_u32_e64 v9, s[4:5], v11, v7, s[4:5]
	v_mul_f32_e32 v12, s20, v3
	global_store_dword v[8:9], v12, off offset:64
.LBB199_13:
	s_or_b64 exec, exec, s[10:11]
	v_add_co_u32_e64 v8, s[4:5], 16, v4
	v_addc_co_u32_e64 v9, s[4:5], 0, v5, s[4:5]
	v_cmp_gt_i64_e64 s[4:5], s[38:39], v[8:9]
	s_and_b64 exec, exec, s[4:5]
	s_cbranch_execz .LBB199_18
; %bb.14:
	s_lshl_b64 s[4:5], s[28:29], 6
	v_mov_b32_e32 v8, s5
	v_add_co_u32_e64 v9, s[4:5], s4, v10
	v_addc_co_u32_e64 v8, s[4:5], v11, v8, s[4:5]
	v_add_co_u32_e64 v6, s[4:5], v9, v6
	v_addc_co_u32_e64 v7, s[4:5], v8, v7, s[4:5]
	s_and_saveexec_b64 s[4:5], vcc
	s_cbranch_execz .LBB199_16
; %bb.15:
	v_mul_f32_e32 v8, s20, v0
	global_store_dword v[6:7], v8, off
.LBB199_16:
	s_or_b64 exec, exec, s[4:5]
	s_and_b64 exec, exec, s[2:3]
	s_cbranch_execz .LBB199_18
; %bb.17:
	v_mul_f32_e32 v8, s20, v1
	global_store_dword v[6:7], v8, off offset:64
.LBB199_18:
	s_or_b64 exec, exec, s[8:9]
	s_cbranch_execz .LBB199_21
.LBB199_19:
	s_endpgm
.LBB199_20:
.LBB199_21:
	s_and_saveexec_b64 s[2:3], s[0:1]
	s_cbranch_execz .LBB199_19
; %bb.22:
	s_lshl_b64 s[0:1], s[16:17], 2
	s_add_u32 s2, s12, s0
	v_mov_b32_e32 v6, s7
	v_add_co_u32_e32 v8, vcc, s6, v14
	s_addc_u32 s3, s13, s1
	v_addc_co_u32_e32 v9, vcc, 0, v6, vcc
	v_mul_lo_u32 v10, v5, s14
	v_mul_lo_u32 v11, v4, s15
	v_mad_u64_u32 v[6:7], s[0:1], v4, s14, 0
	v_add3_u32 v7, v7, v11, v10
	v_mul_lo_u32 v10, v5, s28
	v_mul_lo_u32 v11, v4, s29
	v_mad_u64_u32 v[12:13], s[0:1], v4, s28, 0
	v_lshlrev_b64 v[6:7], 2, v[6:7]
	v_add3_u32 v13, v13, v11, v10
	v_mov_b32_e32 v11, s3
	v_add_co_u32_e64 v10, s[0:1], s2, v6
	v_addc_co_u32_e64 v11, s[0:1], v11, v7, s[0:1]
	v_lshlrev_b64 v[6:7], 2, v[12:13]
	v_mov_b32_e32 v13, s19
	v_add_co_u32_e64 v12, s[0:1], s18, v6
	v_cmp_gt_i64_e32 vcc, s[36:37], v[8:9]
	v_addc_co_u32_e64 v13, s[0:1], v13, v7, s[0:1]
	v_lshlrev_b64 v[6:7], 2, v[8:9]
	s_and_saveexec_b64 s[2:3], vcc
	s_cbranch_execz .LBB199_24
; %bb.23:
	v_add_co_u32_e64 v14, s[0:1], v10, v6
	v_addc_co_u32_e64 v15, s[0:1], v11, v7, s[0:1]
	global_load_dword v14, v[14:15], off
	s_waitcnt vmcnt(0)
	v_mul_f32_e32 v16, s21, v14
	v_add_co_u32_e64 v14, s[0:1], v12, v6
	v_fmac_f32_e32 v16, s20, v2
	v_addc_co_u32_e64 v15, s[0:1], v13, v7, s[0:1]
	global_store_dword v[14:15], v16, off
.LBB199_24:
	s_or_b64 exec, exec, s[2:3]
	v_add_co_u32_e64 v8, s[0:1], 16, v8
	v_addc_co_u32_e64 v9, s[0:1], 0, v9, s[0:1]
	v_cmp_gt_i64_e64 s[0:1], s[36:37], v[8:9]
	s_and_saveexec_b64 s[4:5], s[0:1]
	s_cbranch_execz .LBB199_26
; %bb.25:
	v_add_co_u32_e64 v8, s[2:3], v10, v6
	v_addc_co_u32_e64 v9, s[2:3], v11, v7, s[2:3]
	global_load_dword v2, v[8:9], off offset:64
	s_waitcnt vmcnt(0)
	v_mul_f32_e32 v8, s21, v2
	v_add_co_u32_e64 v2, s[2:3], v12, v6
	v_fmac_f32_e32 v8, s20, v3
	v_addc_co_u32_e64 v3, s[2:3], v13, v7, s[2:3]
	global_store_dword v[2:3], v8, off offset:64
.LBB199_26:
	s_or_b64 exec, exec, s[4:5]
	v_add_co_u32_e64 v2, s[2:3], 16, v4
	v_addc_co_u32_e64 v3, s[2:3], 0, v5, s[2:3]
	v_cmp_gt_i64_e64 s[2:3], s[38:39], v[2:3]
	s_and_b64 exec, exec, s[2:3]
	s_cbranch_execz .LBB199_19
; %bb.27:
	s_lshl_b64 s[2:3], s[14:15], 6
	v_mov_b32_e32 v2, s3
	v_add_co_u32_e64 v3, s[2:3], s2, v10
	v_addc_co_u32_e64 v4, s[2:3], v11, v2, s[2:3]
	s_lshl_b64 s[2:3], s[28:29], 6
	v_mov_b32_e32 v2, s3
	v_add_co_u32_e64 v5, s[2:3], s2, v12
	v_addc_co_u32_e64 v8, s[2:3], v13, v2, s[2:3]
	v_add_co_u32_e64 v2, s[2:3], v3, v6
	v_addc_co_u32_e64 v3, s[2:3], v4, v7, s[2:3]
	;; [unrolled: 2-line block ×3, first 2 shown]
	s_and_saveexec_b64 s[2:3], vcc
	s_cbranch_execz .LBB199_29
; %bb.28:
	global_load_dword v6, v[2:3], off
	s_waitcnt vmcnt(0)
	v_mul_f32_e32 v6, s21, v6
	v_fmac_f32_e32 v6, s20, v0
	global_store_dword v[4:5], v6, off
.LBB199_29:
	s_or_b64 exec, exec, s[2:3]
	s_and_b64 exec, exec, s[0:1]
	s_cbranch_execz .LBB199_19
; %bb.30:
	global_load_dword v0, v[2:3], off offset:64
	s_waitcnt vmcnt(0)
	v_mul_f32_e32 v0, s21, v0
	v_fmac_f32_e32 v0, s20, v1
	global_store_dword v[4:5], v0, off offset:64
	s_endpgm
	.section	.rodata,"a",@progbits
	.p2align	6, 0x0
	.amdhsa_kernel _ZN12_GLOBAL__N_135rocblas_gemm_batched_general_kernelIfLi16ELi16ELi32ELi32ELi8ELi32ELi8ELi8ELi32ELc67ELc78EKPKfS3_KPfEEvlllT_PT11_llS8_llS6_PT12_llPT13_lli
		.amdhsa_group_segment_fixed_size 2048
		.amdhsa_private_segment_fixed_size 0
		.amdhsa_kernarg_size 140
		.amdhsa_user_sgpr_count 6
		.amdhsa_user_sgpr_private_segment_buffer 1
		.amdhsa_user_sgpr_dispatch_ptr 0
		.amdhsa_user_sgpr_queue_ptr 0
		.amdhsa_user_sgpr_kernarg_segment_ptr 1
		.amdhsa_user_sgpr_dispatch_id 0
		.amdhsa_user_sgpr_flat_scratch_init 0
		.amdhsa_user_sgpr_kernarg_preload_length 0
		.amdhsa_user_sgpr_kernarg_preload_offset 0
		.amdhsa_user_sgpr_private_segment_size 0
		.amdhsa_uses_dynamic_stack 0
		.amdhsa_system_sgpr_private_segment_wavefront_offset 0
		.amdhsa_system_sgpr_workgroup_id_x 1
		.amdhsa_system_sgpr_workgroup_id_y 1
		.amdhsa_system_sgpr_workgroup_id_z 1
		.amdhsa_system_sgpr_workgroup_info 0
		.amdhsa_system_vgpr_workitem_id 1
		.amdhsa_next_free_vgpr 50
		.amdhsa_next_free_sgpr 42
		.amdhsa_accum_offset 52
		.amdhsa_reserve_vcc 1
		.amdhsa_reserve_flat_scratch 0
		.amdhsa_float_round_mode_32 0
		.amdhsa_float_round_mode_16_64 0
		.amdhsa_float_denorm_mode_32 3
		.amdhsa_float_denorm_mode_16_64 3
		.amdhsa_dx10_clamp 1
		.amdhsa_ieee_mode 1
		.amdhsa_fp16_overflow 0
		.amdhsa_tg_split 0
		.amdhsa_exception_fp_ieee_invalid_op 0
		.amdhsa_exception_fp_denorm_src 0
		.amdhsa_exception_fp_ieee_div_zero 0
		.amdhsa_exception_fp_ieee_overflow 0
		.amdhsa_exception_fp_ieee_underflow 0
		.amdhsa_exception_fp_ieee_inexact 0
		.amdhsa_exception_int_div_zero 0
	.end_amdhsa_kernel
	.section	.text._ZN12_GLOBAL__N_135rocblas_gemm_batched_general_kernelIfLi16ELi16ELi32ELi32ELi8ELi32ELi8ELi8ELi32ELc67ELc78EKPKfS3_KPfEEvlllT_PT11_llS8_llS6_PT12_llPT13_lli,"axG",@progbits,_ZN12_GLOBAL__N_135rocblas_gemm_batched_general_kernelIfLi16ELi16ELi32ELi32ELi8ELi32ELi8ELi8ELi32ELc67ELc78EKPKfS3_KPfEEvlllT_PT11_llS8_llS6_PT12_llPT13_lli,comdat
.Lfunc_end199:
	.size	_ZN12_GLOBAL__N_135rocblas_gemm_batched_general_kernelIfLi16ELi16ELi32ELi32ELi8ELi32ELi8ELi8ELi32ELc67ELc78EKPKfS3_KPfEEvlllT_PT11_llS8_llS6_PT12_llPT13_lli, .Lfunc_end199-_ZN12_GLOBAL__N_135rocblas_gemm_batched_general_kernelIfLi16ELi16ELi32ELi32ELi8ELi32ELi8ELi8ELi32ELc67ELc78EKPKfS3_KPfEEvlllT_PT11_llS8_llS6_PT12_llPT13_lli
                                        ; -- End function
	.section	.AMDGPU.csdata,"",@progbits
; Kernel info:
; codeLenInByte = 1860
; NumSgprs: 46
; NumVgprs: 50
; NumAgprs: 0
; TotalNumVgprs: 50
; ScratchSize: 0
; MemoryBound: 0
; FloatMode: 240
; IeeeMode: 1
; LDSByteSize: 2048 bytes/workgroup (compile time only)
; SGPRBlocks: 5
; VGPRBlocks: 6
; NumSGPRsForWavesPerEU: 46
; NumVGPRsForWavesPerEU: 50
; AccumOffset: 52
; Occupancy: 8
; WaveLimiterHint : 1
; COMPUTE_PGM_RSRC2:SCRATCH_EN: 0
; COMPUTE_PGM_RSRC2:USER_SGPR: 6
; COMPUTE_PGM_RSRC2:TRAP_HANDLER: 0
; COMPUTE_PGM_RSRC2:TGID_X_EN: 1
; COMPUTE_PGM_RSRC2:TGID_Y_EN: 1
; COMPUTE_PGM_RSRC2:TGID_Z_EN: 1
; COMPUTE_PGM_RSRC2:TIDIG_COMP_CNT: 1
; COMPUTE_PGM_RSRC3_GFX90A:ACCUM_OFFSET: 12
; COMPUTE_PGM_RSRC3_GFX90A:TG_SPLIT: 0
	.section	.text._ZN12_GLOBAL__N_135rocblas_gemm_batched_general_kernelIfLi16ELi16ELi32ELi32ELi8ELi32ELi8ELi8ELi32ELc67ELc84EKPKfS3_KPfEEvlllT_PT11_llS8_llS6_PT12_llPT13_lli,"axG",@progbits,_ZN12_GLOBAL__N_135rocblas_gemm_batched_general_kernelIfLi16ELi16ELi32ELi32ELi8ELi32ELi8ELi8ELi32ELc67ELc84EKPKfS3_KPfEEvlllT_PT11_llS8_llS6_PT12_llPT13_lli,comdat
	.globl	_ZN12_GLOBAL__N_135rocblas_gemm_batched_general_kernelIfLi16ELi16ELi32ELi32ELi8ELi32ELi8ELi8ELi32ELc67ELc84EKPKfS3_KPfEEvlllT_PT11_llS8_llS6_PT12_llPT13_lli ; -- Begin function _ZN12_GLOBAL__N_135rocblas_gemm_batched_general_kernelIfLi16ELi16ELi32ELi32ELi8ELi32ELi8ELi8ELi32ELc67ELc84EKPKfS3_KPfEEvlllT_PT11_llS8_llS6_PT12_llPT13_lli
	.p2align	8
	.type	_ZN12_GLOBAL__N_135rocblas_gemm_batched_general_kernelIfLi16ELi16ELi32ELi32ELi8ELi32ELi8ELi8ELi32ELc67ELc84EKPKfS3_KPfEEvlllT_PT11_llS8_llS6_PT12_llPT13_lli,@function
_ZN12_GLOBAL__N_135rocblas_gemm_batched_general_kernelIfLi16ELi16ELi32ELi32ELi8ELi32ELi8ELi8ELi32ELc67ELc84EKPKfS3_KPfEEvlllT_PT11_llS8_llS6_PT12_llPT13_lli: ; @_ZN12_GLOBAL__N_135rocblas_gemm_batched_general_kernelIfLi16ELi16ELi32ELi32ELi8ELi32ELi8ELi8ELi32ELc67ELc84EKPKfS3_KPfEEvlllT_PT11_llS8_llS6_PT12_llPT13_lli
; %bb.0:
	s_load_dwordx4 s[36:39], s[4:5], 0x0
	s_load_dwordx2 s[34:35], s[4:5], 0x10
	s_load_dwordx4 s[28:31], s[4:5], 0x78
	s_load_dwordx8 s[12:19], s[4:5], 0x58
	s_mov_b32 s9, 0
	s_lshl_b64 s[0:1], s[8:9], 3
	s_mov_b32 s42, s7
	v_mov_b32_e32 v3, 0
	s_waitcnt lgkmcnt(0)
	s_add_u32 s2, s12, s0
	s_addc_u32 s3, s13, s1
	s_load_dwordx2 s[12:13], s[2:3], 0x0
	s_add_u32 s2, s18, s0
	s_addc_u32 s3, s19, s1
	s_load_dwordx2 s[18:19], s[2:3], 0x0
	s_ashr_i32 s7, s6, 31
	s_ashr_i32 s43, s42, 31
	v_cmp_lt_i64_e64 s[2:3], s[34:35], 1
	v_and_b32_e32 v14, 0x3ff, v0
	v_bfe_u32 v5, v0, 10, 10
	s_lshl_b64 s[6:7], s[6:7], 5
	s_lshl_b64 s[40:41], s[42:43], 5
	s_and_b64 vcc, exec, s[2:3]
	v_mov_b32_e32 v2, v3
	v_mov_b32_e32 v1, v3
	;; [unrolled: 1-line block ×3, first 2 shown]
	s_cbranch_vccnz .LBB200_7
; %bb.1:
	s_load_dwordx8 s[20:27], s[4:5], 0x20
	s_load_dwordx4 s[8:11], s[4:5], 0x40
	v_lshl_add_u32 v1, v5, 4, v14
	v_lshrrev_b32_e32 v10, 3, v1
	v_mov_b32_e32 v3, s41
	s_waitcnt lgkmcnt(0)
	s_add_u32 s2, s26, s0
	v_add_co_u32_e32 v2, vcc, s40, v10
	s_addc_u32 s3, s27, s1
	v_and_b32_e32 v6, 7, v14
	v_addc_co_u32_e32 v3, vcc, 0, v3, vcc
	s_load_dwordx2 s[26:27], s[2:3], 0x0
	v_cmp_gt_i64_e64 s[2:3], s[38:39], v[2:3]
	v_lshlrev_b32_e32 v2, 2, v6
	v_lshl_or_b32 v2, v10, 5, v2
	v_lshrrev_b32_e32 v4, 5, v1
	s_add_u32 s0, s20, s0
	v_and_b32_e32 v1, 31, v1
	v_add_u32_e32 v15, 0x400, v2
	v_mov_b32_e32 v2, 0x400
	s_addc_u32 s1, s21, s1
	v_mov_b32_e32 v9, s7
	v_or_b32_e32 v8, s6, v1
	v_lshl_add_u32 v17, v5, 5, v2
	v_mad_u64_u32 v[2:3], s[44:45], s8, v6, 0
	s_load_dwordx2 s[20:21], s[0:1], 0x0
	v_cmp_gt_i64_e64 s[0:1], s[36:37], v[8:9]
	v_mov_b32_e32 v8, v3
	v_mad_u64_u32 v[8:9], s[44:45], s9, v6, v[8:9]
	s_lshl_b64 s[42:43], s[42:43], 7
	s_lshl_b64 s[10:11], s[10:11], 2
	v_mov_b32_e32 v3, v8
	s_add_u32 s10, s10, s42
	v_lshlrev_b64 v[2:3], 2, v[2:3]
	s_addc_u32 s11, s11, s43
	v_mov_b32_e32 v8, s11
	v_add_co_u32_e32 v2, vcc, s10, v2
	v_addc_co_u32_e32 v3, vcc, v8, v3, vcc
	v_lshlrev_b32_e32 v8, 2, v10
	v_add_co_u32_e32 v2, vcc, v2, v8
	v_addc_co_u32_e32 v3, vcc, 0, v3, vcc
	s_waitcnt lgkmcnt(0)
	v_mov_b32_e32 v9, s27
	v_add_co_u32_e32 v8, vcc, s26, v2
	v_addc_co_u32_e32 v9, vcc, v9, v3, vcc
	v_lshlrev_b32_e32 v7, 2, v1
	v_mov_b32_e32 v2, s7
	v_add_co_u32_e32 v1, vcc, s6, v1
	v_addc_co_u32_e32 v2, vcc, 0, v2, vcc
	v_mul_lo_u32 v10, s23, v1
	v_mul_lo_u32 v11, s22, v2
	v_mad_u64_u32 v[2:3], s[10:11], s22, v1, 0
	v_add3_u32 v3, v3, v11, v10
	v_lshlrev_b64 v[2:3], 2, v[2:3]
	s_lshl_b64 s[10:11], s[24:25], 2
	v_mov_b32_e32 v1, s11
	v_add_co_u32_e32 v2, vcc, s10, v2
	v_addc_co_u32_e32 v1, vcc, v3, v1, vcc
	v_lshlrev_b32_e32 v3, 2, v4
	v_add_co_u32_e32 v2, vcc, v2, v3
	v_addc_co_u32_e32 v1, vcc, 0, v1, vcc
	v_mov_b32_e32 v0, 0
	s_lshl_b64 s[8:9], s[8:9], 5
	v_mov_b32_e32 v3, s21
	v_add_co_u32_e32 v10, vcc, s20, v2
	v_lshl_or_b32 v7, v4, 7, v7
	v_lshlrev_b32_e32 v16, 2, v14
	v_addc_co_u32_e32 v11, vcc, v3, v1, vcc
	s_mov_b64 s[10:11], 0
	v_mov_b32_e32 v18, s9
	v_pk_mov_b32 v[12:13], s[34:35], s[34:35] op_sel:[0,1]
	v_mov_b32_e32 v1, v0
	v_mov_b32_e32 v2, v0
	;; [unrolled: 1-line block ×3, first 2 shown]
	s_branch .LBB200_3
.LBB200_2:                              ;   in Loop: Header=BB200_3 Depth=1
	s_or_b64 exec, exec, s[20:21]
	s_waitcnt vmcnt(0)
	ds_write_b32 v15, v19
	s_waitcnt lgkmcnt(0)
	s_barrier
	ds_read_b128 v[20:23], v17
	ds_read_b128 v[24:27], v17 offset:16
	ds_read2_b32 v[36:37], v16 offset1:16
	ds_read2_b32 v[38:39], v16 offset0:32 offset1:48
	ds_read2_b32 v[40:41], v16 offset0:64 offset1:80
	;; [unrolled: 1-line block ×4, first 2 shown]
	ds_read_b128 v[28:31], v17 offset:512
	ds_read_b128 v[32:35], v17 offset:528
	ds_read2_b32 v[46:47], v16 offset0:160 offset1:176
	ds_read2_b32 v[48:49], v16 offset0:192 offset1:208
	;; [unrolled: 1-line block ×3, first 2 shown]
	s_waitcnt lgkmcnt(9)
	v_pk_fma_f32 v[2:3], v[36:37], v[20:21], v[2:3] op_sel_hi:[1,0,1]
	s_waitcnt lgkmcnt(8)
	v_pk_fma_f32 v[2:3], v[38:39], v[20:21], v[2:3] op_sel:[0,1,0]
	s_waitcnt lgkmcnt(7)
	v_pk_fma_f32 v[2:3], v[40:41], v[22:23], v[2:3] op_sel_hi:[1,0,1]
	v_mov_b32_e32 v20, v23
	s_waitcnt lgkmcnt(6)
	v_pk_fma_f32 v[2:3], v[42:43], v[20:21], v[2:3] op_sel_hi:[1,0,1]
	s_waitcnt lgkmcnt(5)
	v_pk_fma_f32 v[2:3], v[44:45], v[24:25], v[2:3] op_sel_hi:[1,0,1]
	s_waitcnt lgkmcnt(2)
	v_pk_fma_f32 v[2:3], v[46:47], v[24:25], v[2:3] op_sel:[0,1,0]
	v_pk_fma_f32 v[0:1], v[36:37], v[28:29], v[0:1] op_sel_hi:[1,0,1]
	s_waitcnt lgkmcnt(1)
	v_pk_fma_f32 v[2:3], v[48:49], v[26:27], v[2:3] op_sel_hi:[1,0,1]
	v_mov_b32_e32 v20, v27
	v_pk_fma_f32 v[0:1], v[38:39], v[28:29], v[0:1] op_sel:[0,1,0]
	s_waitcnt lgkmcnt(0)
	v_pk_fma_f32 v[2:3], v[50:51], v[20:21], v[2:3] op_sel_hi:[1,0,1]
	v_pk_fma_f32 v[0:1], v[40:41], v[30:31], v[0:1] op_sel_hi:[1,0,1]
	v_mov_b32_e32 v20, v31
	v_add_co_u32_e32 v8, vcc, s8, v8
	v_pk_fma_f32 v[0:1], v[42:43], v[20:21], v[0:1] op_sel_hi:[1,0,1]
	v_addc_co_u32_e32 v9, vcc, v9, v18, vcc
	v_pk_fma_f32 v[0:1], v[44:45], v[32:33], v[0:1] op_sel_hi:[1,0,1]
	s_add_u32 s10, s10, 8
	v_add_co_u32_e32 v10, vcc, 32, v10
	v_pk_fma_f32 v[0:1], v[46:47], v[32:33], v[0:1] op_sel:[0,1,0]
	s_addc_u32 s11, s11, 0
	v_addc_co_u32_e32 v11, vcc, 0, v11, vcc
	v_pk_fma_f32 v[0:1], v[48:49], v[34:35], v[0:1] op_sel_hi:[1,0,1]
	v_mov_b32_e32 v20, v35
	v_cmp_lt_i64_e32 vcc, s[10:11], v[12:13]
	v_pk_fma_f32 v[0:1], v[50:51], v[20:21], v[0:1] op_sel_hi:[1,0,1]
	s_barrier
	s_cbranch_vccz .LBB200_7
.LBB200_3:                              ; =>This Inner Loop Header: Depth=1
	v_mov_b32_e32 v19, s11
	v_add_co_u32_e32 v20, vcc, s10, v4
	v_addc_co_u32_e32 v21, vcc, 0, v19, vcc
	v_cmp_gt_i64_e32 vcc, s[34:35], v[20:21]
	s_and_b64 s[22:23], s[0:1], vcc
	v_mov_b32_e32 v19, 0
	s_and_saveexec_b64 s[20:21], s[22:23]
	s_cbranch_execz .LBB200_5
; %bb.4:                                ;   in Loop: Header=BB200_3 Depth=1
	global_load_dword v19, v[10:11], off
.LBB200_5:                              ;   in Loop: Header=BB200_3 Depth=1
	s_or_b64 exec, exec, s[20:21]
	s_waitcnt vmcnt(0)
	ds_write_b32 v7, v19
	v_mov_b32_e32 v19, s11
	v_add_co_u32_e32 v20, vcc, s10, v6
	v_addc_co_u32_e32 v21, vcc, 0, v19, vcc
	v_cmp_gt_i64_e32 vcc, s[34:35], v[20:21]
	s_and_b64 s[22:23], vcc, s[2:3]
	v_mov_b32_e32 v19, 0
	s_and_saveexec_b64 s[20:21], s[22:23]
	s_cbranch_execz .LBB200_2
; %bb.6:                                ;   in Loop: Header=BB200_3 Depth=1
	global_load_dword v19, v[8:9], off
	s_branch .LBB200_2
.LBB200_7:
	s_load_dword s20, s[4:5], 0x18
	s_load_dword s21, s[4:5], 0x50
	s_lshl_b64 s[0:1], s[30:31], 2
	v_mov_b32_e32 v6, s41
	v_add_co_u32_e32 v4, vcc, s40, v5
	s_waitcnt lgkmcnt(0)
	s_add_u32 s18, s18, s0
	v_addc_co_u32_e32 v5, vcc, 0, v6, vcc
	v_cmp_neq_f32_e64 s[2:3], s21, 0
	s_addc_u32 s19, s19, s1
	v_cmp_gt_i64_e64 s[0:1], s[38:39], v[4:5]
	s_and_b64 vcc, exec, s[2:3]
	s_cbranch_vccnz .LBB200_20
; %bb.8:
	s_and_saveexec_b64 s[8:9], s[0:1]
	s_cbranch_execz .LBB200_18
; %bb.9:
	v_mov_b32_e32 v6, s7
	v_add_co_u32_e32 v8, vcc, s6, v14
	v_addc_co_u32_e32 v9, vcc, 0, v6, vcc
	v_mul_lo_u32 v10, v5, s28
	v_mul_lo_u32 v11, v4, s29
	v_mad_u64_u32 v[6:7], s[2:3], v4, s28, 0
	v_add3_u32 v7, v7, v11, v10
	v_lshlrev_b64 v[6:7], 2, v[6:7]
	v_mov_b32_e32 v11, s19
	v_add_co_u32_e64 v10, s[2:3], s18, v6
	v_cmp_gt_i64_e32 vcc, s[36:37], v[8:9]
	v_addc_co_u32_e64 v11, s[2:3], v11, v7, s[2:3]
	v_lshlrev_b64 v[6:7], 2, v[8:9]
	s_and_saveexec_b64 s[4:5], vcc
	s_cbranch_execz .LBB200_11
; %bb.10:
	v_add_co_u32_e64 v12, s[2:3], v10, v6
	v_addc_co_u32_e64 v13, s[2:3], v11, v7, s[2:3]
	v_mul_f32_e32 v15, s20, v2
	global_store_dword v[12:13], v15, off
.LBB200_11:
	s_or_b64 exec, exec, s[4:5]
	v_add_co_u32_e64 v8, s[2:3], 16, v8
	v_addc_co_u32_e64 v9, s[2:3], 0, v9, s[2:3]
	v_cmp_gt_i64_e64 s[2:3], s[36:37], v[8:9]
	s_and_saveexec_b64 s[10:11], s[2:3]
	s_cbranch_execz .LBB200_13
; %bb.12:
	v_add_co_u32_e64 v8, s[4:5], v10, v6
	v_addc_co_u32_e64 v9, s[4:5], v11, v7, s[4:5]
	v_mul_f32_e32 v12, s20, v3
	global_store_dword v[8:9], v12, off offset:64
.LBB200_13:
	s_or_b64 exec, exec, s[10:11]
	v_add_co_u32_e64 v8, s[4:5], 16, v4
	v_addc_co_u32_e64 v9, s[4:5], 0, v5, s[4:5]
	v_cmp_gt_i64_e64 s[4:5], s[38:39], v[8:9]
	s_and_b64 exec, exec, s[4:5]
	s_cbranch_execz .LBB200_18
; %bb.14:
	s_lshl_b64 s[4:5], s[28:29], 6
	v_mov_b32_e32 v8, s5
	v_add_co_u32_e64 v9, s[4:5], s4, v10
	v_addc_co_u32_e64 v8, s[4:5], v11, v8, s[4:5]
	v_add_co_u32_e64 v6, s[4:5], v9, v6
	v_addc_co_u32_e64 v7, s[4:5], v8, v7, s[4:5]
	s_and_saveexec_b64 s[4:5], vcc
	s_cbranch_execz .LBB200_16
; %bb.15:
	v_mul_f32_e32 v8, s20, v0
	global_store_dword v[6:7], v8, off
.LBB200_16:
	s_or_b64 exec, exec, s[4:5]
	s_and_b64 exec, exec, s[2:3]
	s_cbranch_execz .LBB200_18
; %bb.17:
	v_mul_f32_e32 v8, s20, v1
	global_store_dword v[6:7], v8, off offset:64
.LBB200_18:
	s_or_b64 exec, exec, s[8:9]
	s_cbranch_execz .LBB200_21
.LBB200_19:
	s_endpgm
.LBB200_20:
.LBB200_21:
	s_and_saveexec_b64 s[2:3], s[0:1]
	s_cbranch_execz .LBB200_19
; %bb.22:
	s_lshl_b64 s[0:1], s[16:17], 2
	s_add_u32 s2, s12, s0
	v_mov_b32_e32 v6, s7
	v_add_co_u32_e32 v8, vcc, s6, v14
	s_addc_u32 s3, s13, s1
	v_addc_co_u32_e32 v9, vcc, 0, v6, vcc
	v_mul_lo_u32 v10, v5, s14
	v_mul_lo_u32 v11, v4, s15
	v_mad_u64_u32 v[6:7], s[0:1], v4, s14, 0
	v_add3_u32 v7, v7, v11, v10
	v_mul_lo_u32 v10, v5, s28
	v_mul_lo_u32 v11, v4, s29
	v_mad_u64_u32 v[12:13], s[0:1], v4, s28, 0
	v_lshlrev_b64 v[6:7], 2, v[6:7]
	v_add3_u32 v13, v13, v11, v10
	v_mov_b32_e32 v11, s3
	v_add_co_u32_e64 v10, s[0:1], s2, v6
	v_addc_co_u32_e64 v11, s[0:1], v11, v7, s[0:1]
	v_lshlrev_b64 v[6:7], 2, v[12:13]
	v_mov_b32_e32 v13, s19
	v_add_co_u32_e64 v12, s[0:1], s18, v6
	v_cmp_gt_i64_e32 vcc, s[36:37], v[8:9]
	v_addc_co_u32_e64 v13, s[0:1], v13, v7, s[0:1]
	v_lshlrev_b64 v[6:7], 2, v[8:9]
	s_and_saveexec_b64 s[2:3], vcc
	s_cbranch_execz .LBB200_24
; %bb.23:
	v_add_co_u32_e64 v14, s[0:1], v10, v6
	v_addc_co_u32_e64 v15, s[0:1], v11, v7, s[0:1]
	global_load_dword v14, v[14:15], off
	s_waitcnt vmcnt(0)
	v_mul_f32_e32 v16, s21, v14
	v_add_co_u32_e64 v14, s[0:1], v12, v6
	v_fmac_f32_e32 v16, s20, v2
	v_addc_co_u32_e64 v15, s[0:1], v13, v7, s[0:1]
	global_store_dword v[14:15], v16, off
.LBB200_24:
	s_or_b64 exec, exec, s[2:3]
	v_add_co_u32_e64 v8, s[0:1], 16, v8
	v_addc_co_u32_e64 v9, s[0:1], 0, v9, s[0:1]
	v_cmp_gt_i64_e64 s[0:1], s[36:37], v[8:9]
	s_and_saveexec_b64 s[4:5], s[0:1]
	s_cbranch_execz .LBB200_26
; %bb.25:
	v_add_co_u32_e64 v8, s[2:3], v10, v6
	v_addc_co_u32_e64 v9, s[2:3], v11, v7, s[2:3]
	global_load_dword v2, v[8:9], off offset:64
	s_waitcnt vmcnt(0)
	v_mul_f32_e32 v8, s21, v2
	v_add_co_u32_e64 v2, s[2:3], v12, v6
	v_fmac_f32_e32 v8, s20, v3
	v_addc_co_u32_e64 v3, s[2:3], v13, v7, s[2:3]
	global_store_dword v[2:3], v8, off offset:64
.LBB200_26:
	s_or_b64 exec, exec, s[4:5]
	v_add_co_u32_e64 v2, s[2:3], 16, v4
	v_addc_co_u32_e64 v3, s[2:3], 0, v5, s[2:3]
	v_cmp_gt_i64_e64 s[2:3], s[38:39], v[2:3]
	s_and_b64 exec, exec, s[2:3]
	s_cbranch_execz .LBB200_19
; %bb.27:
	s_lshl_b64 s[2:3], s[14:15], 6
	v_mov_b32_e32 v2, s3
	v_add_co_u32_e64 v3, s[2:3], s2, v10
	v_addc_co_u32_e64 v4, s[2:3], v11, v2, s[2:3]
	s_lshl_b64 s[2:3], s[28:29], 6
	v_mov_b32_e32 v2, s3
	v_add_co_u32_e64 v5, s[2:3], s2, v12
	v_addc_co_u32_e64 v8, s[2:3], v13, v2, s[2:3]
	v_add_co_u32_e64 v2, s[2:3], v3, v6
	v_addc_co_u32_e64 v3, s[2:3], v4, v7, s[2:3]
	v_add_co_u32_e64 v4, s[2:3], v5, v6
	v_addc_co_u32_e64 v5, s[2:3], v8, v7, s[2:3]
	s_and_saveexec_b64 s[2:3], vcc
	s_cbranch_execz .LBB200_29
; %bb.28:
	global_load_dword v6, v[2:3], off
	s_waitcnt vmcnt(0)
	v_mul_f32_e32 v6, s21, v6
	v_fmac_f32_e32 v6, s20, v0
	global_store_dword v[4:5], v6, off
.LBB200_29:
	s_or_b64 exec, exec, s[2:3]
	s_and_b64 exec, exec, s[0:1]
	s_cbranch_execz .LBB200_19
; %bb.30:
	global_load_dword v0, v[2:3], off offset:64
	s_waitcnt vmcnt(0)
	v_mul_f32_e32 v0, s21, v0
	v_fmac_f32_e32 v0, s20, v1
	global_store_dword v[4:5], v0, off offset:64
	s_endpgm
	.section	.rodata,"a",@progbits
	.p2align	6, 0x0
	.amdhsa_kernel _ZN12_GLOBAL__N_135rocblas_gemm_batched_general_kernelIfLi16ELi16ELi32ELi32ELi8ELi32ELi8ELi8ELi32ELc67ELc84EKPKfS3_KPfEEvlllT_PT11_llS8_llS6_PT12_llPT13_lli
		.amdhsa_group_segment_fixed_size 2048
		.amdhsa_private_segment_fixed_size 0
		.amdhsa_kernarg_size 140
		.amdhsa_user_sgpr_count 6
		.amdhsa_user_sgpr_private_segment_buffer 1
		.amdhsa_user_sgpr_dispatch_ptr 0
		.amdhsa_user_sgpr_queue_ptr 0
		.amdhsa_user_sgpr_kernarg_segment_ptr 1
		.amdhsa_user_sgpr_dispatch_id 0
		.amdhsa_user_sgpr_flat_scratch_init 0
		.amdhsa_user_sgpr_kernarg_preload_length 0
		.amdhsa_user_sgpr_kernarg_preload_offset 0
		.amdhsa_user_sgpr_private_segment_size 0
		.amdhsa_uses_dynamic_stack 0
		.amdhsa_system_sgpr_private_segment_wavefront_offset 0
		.amdhsa_system_sgpr_workgroup_id_x 1
		.amdhsa_system_sgpr_workgroup_id_y 1
		.amdhsa_system_sgpr_workgroup_id_z 1
		.amdhsa_system_sgpr_workgroup_info 0
		.amdhsa_system_vgpr_workitem_id 1
		.amdhsa_next_free_vgpr 52
		.amdhsa_next_free_sgpr 46
		.amdhsa_accum_offset 52
		.amdhsa_reserve_vcc 1
		.amdhsa_reserve_flat_scratch 0
		.amdhsa_float_round_mode_32 0
		.amdhsa_float_round_mode_16_64 0
		.amdhsa_float_denorm_mode_32 3
		.amdhsa_float_denorm_mode_16_64 3
		.amdhsa_dx10_clamp 1
		.amdhsa_ieee_mode 1
		.amdhsa_fp16_overflow 0
		.amdhsa_tg_split 0
		.amdhsa_exception_fp_ieee_invalid_op 0
		.amdhsa_exception_fp_denorm_src 0
		.amdhsa_exception_fp_ieee_div_zero 0
		.amdhsa_exception_fp_ieee_overflow 0
		.amdhsa_exception_fp_ieee_underflow 0
		.amdhsa_exception_fp_ieee_inexact 0
		.amdhsa_exception_int_div_zero 0
	.end_amdhsa_kernel
	.section	.text._ZN12_GLOBAL__N_135rocblas_gemm_batched_general_kernelIfLi16ELi16ELi32ELi32ELi8ELi32ELi8ELi8ELi32ELc67ELc84EKPKfS3_KPfEEvlllT_PT11_llS8_llS6_PT12_llPT13_lli,"axG",@progbits,_ZN12_GLOBAL__N_135rocblas_gemm_batched_general_kernelIfLi16ELi16ELi32ELi32ELi8ELi32ELi8ELi8ELi32ELc67ELc84EKPKfS3_KPfEEvlllT_PT11_llS8_llS6_PT12_llPT13_lli,comdat
.Lfunc_end200:
	.size	_ZN12_GLOBAL__N_135rocblas_gemm_batched_general_kernelIfLi16ELi16ELi32ELi32ELi8ELi32ELi8ELi8ELi32ELc67ELc84EKPKfS3_KPfEEvlllT_PT11_llS8_llS6_PT12_llPT13_lli, .Lfunc_end200-_ZN12_GLOBAL__N_135rocblas_gemm_batched_general_kernelIfLi16ELi16ELi32ELi32ELi8ELi32ELi8ELi8ELi32ELc67ELc84EKPKfS3_KPfEEvlllT_PT11_llS8_llS6_PT12_llPT13_lli
                                        ; -- End function
	.section	.AMDGPU.csdata,"",@progbits
; Kernel info:
; codeLenInByte = 1876
; NumSgprs: 50
; NumVgprs: 52
; NumAgprs: 0
; TotalNumVgprs: 52
; ScratchSize: 0
; MemoryBound: 0
; FloatMode: 240
; IeeeMode: 1
; LDSByteSize: 2048 bytes/workgroup (compile time only)
; SGPRBlocks: 6
; VGPRBlocks: 6
; NumSGPRsForWavesPerEU: 50
; NumVGPRsForWavesPerEU: 52
; AccumOffset: 52
; Occupancy: 8
; WaveLimiterHint : 1
; COMPUTE_PGM_RSRC2:SCRATCH_EN: 0
; COMPUTE_PGM_RSRC2:USER_SGPR: 6
; COMPUTE_PGM_RSRC2:TRAP_HANDLER: 0
; COMPUTE_PGM_RSRC2:TGID_X_EN: 1
; COMPUTE_PGM_RSRC2:TGID_Y_EN: 1
; COMPUTE_PGM_RSRC2:TGID_Z_EN: 1
; COMPUTE_PGM_RSRC2:TIDIG_COMP_CNT: 1
; COMPUTE_PGM_RSRC3_GFX90A:ACCUM_OFFSET: 12
; COMPUTE_PGM_RSRC3_GFX90A:TG_SPLIT: 0
	.section	.text._ZN12_GLOBAL__N_135rocblas_gemm_batched_general_kernelIfLi16ELi16ELi32ELi32ELi8ELi32ELi8ELi8ELi32ELc78ELc67EKPKfS3_KPfEEvlllT_PT11_llS8_llS6_PT12_llPT13_lli,"axG",@progbits,_ZN12_GLOBAL__N_135rocblas_gemm_batched_general_kernelIfLi16ELi16ELi32ELi32ELi8ELi32ELi8ELi8ELi32ELc78ELc67EKPKfS3_KPfEEvlllT_PT11_llS8_llS6_PT12_llPT13_lli,comdat
	.globl	_ZN12_GLOBAL__N_135rocblas_gemm_batched_general_kernelIfLi16ELi16ELi32ELi32ELi8ELi32ELi8ELi8ELi32ELc78ELc67EKPKfS3_KPfEEvlllT_PT11_llS8_llS6_PT12_llPT13_lli ; -- Begin function _ZN12_GLOBAL__N_135rocblas_gemm_batched_general_kernelIfLi16ELi16ELi32ELi32ELi8ELi32ELi8ELi8ELi32ELc78ELc67EKPKfS3_KPfEEvlllT_PT11_llS8_llS6_PT12_llPT13_lli
	.p2align	8
	.type	_ZN12_GLOBAL__N_135rocblas_gemm_batched_general_kernelIfLi16ELi16ELi32ELi32ELi8ELi32ELi8ELi8ELi32ELc78ELc67EKPKfS3_KPfEEvlllT_PT11_llS8_llS6_PT12_llPT13_lli,@function
_ZN12_GLOBAL__N_135rocblas_gemm_batched_general_kernelIfLi16ELi16ELi32ELi32ELi8ELi32ELi8ELi8ELi32ELc78ELc67EKPKfS3_KPfEEvlllT_PT11_llS8_llS6_PT12_llPT13_lli: ; @_ZN12_GLOBAL__N_135rocblas_gemm_batched_general_kernelIfLi16ELi16ELi32ELi32ELi8ELi32ELi8ELi8ELi32ELc78ELc67EKPKfS3_KPfEEvlllT_PT11_llS8_llS6_PT12_llPT13_lli
; %bb.0:
	s_load_dwordx4 s[36:39], s[4:5], 0x0
	s_load_dwordx2 s[34:35], s[4:5], 0x10
	s_load_dwordx4 s[28:31], s[4:5], 0x78
	s_load_dwordx8 s[12:19], s[4:5], 0x58
	s_mov_b32 s9, 0
	s_lshl_b64 s[0:1], s[8:9], 3
	s_mov_b32 s44, s7
	v_mov_b32_e32 v3, 0
	s_waitcnt lgkmcnt(0)
	s_add_u32 s2, s12, s0
	s_addc_u32 s3, s13, s1
	s_load_dwordx2 s[12:13], s[2:3], 0x0
	s_add_u32 s2, s18, s0
	s_addc_u32 s3, s19, s1
	s_load_dwordx2 s[40:41], s[2:3], 0x0
	s_ashr_i32 s7, s6, 31
	s_ashr_i32 s45, s44, 31
	v_cmp_lt_i64_e64 s[2:3], s[34:35], 1
	v_and_b32_e32 v14, 0x3ff, v0
	v_bfe_u32 v5, v0, 10, 10
	s_lshl_b64 s[18:19], s[6:7], 5
	s_lshl_b64 s[42:43], s[44:45], 5
	s_and_b64 vcc, exec, s[2:3]
	v_mov_b32_e32 v2, v3
	v_mov_b32_e32 v1, v3
	;; [unrolled: 1-line block ×3, first 2 shown]
	s_cbranch_vccnz .LBB201_7
; %bb.1:
	s_load_dwordx8 s[20:27], s[4:5], 0x20
	s_load_dwordx4 s[8:11], s[4:5], 0x40
	v_lshl_add_u32 v1, v5, 4, v14
	v_lshrrev_b32_e32 v10, 3, v1
	v_mov_b32_e32 v3, s43
	s_waitcnt lgkmcnt(0)
	s_add_u32 s2, s26, s0
	v_add_co_u32_e32 v2, vcc, s42, v10
	s_addc_u32 s3, s27, s1
	v_and_b32_e32 v6, 7, v14
	v_addc_co_u32_e32 v3, vcc, 0, v3, vcc
	s_load_dwordx2 s[26:27], s[2:3], 0x0
	v_cmp_gt_i64_e64 s[2:3], s[38:39], v[2:3]
	v_lshlrev_b32_e32 v2, 2, v6
	v_lshl_or_b32 v2, v10, 5, v2
	v_lshrrev_b32_e32 v4, 5, v1
	s_add_u32 s0, s20, s0
	v_and_b32_e32 v1, 31, v1
	v_add_u32_e32 v15, 0x400, v2
	v_mov_b32_e32 v2, 0x400
	s_addc_u32 s1, s21, s1
	v_mov_b32_e32 v9, s19
	v_or_b32_e32 v8, s18, v1
	v_lshl_add_u32 v17, v5, 5, v2
	v_mad_u64_u32 v[2:3], s[46:47], s8, v6, 0
	s_load_dwordx2 s[20:21], s[0:1], 0x0
	v_cmp_gt_i64_e64 s[0:1], s[36:37], v[8:9]
	v_mov_b32_e32 v8, v3
	v_mad_u64_u32 v[8:9], s[46:47], s9, v6, v[8:9]
	s_lshl_b64 s[44:45], s[44:45], 7
	s_lshl_b64 s[10:11], s[10:11], 2
	v_mov_b32_e32 v3, v8
	s_add_u32 s10, s10, s44
	v_lshlrev_b64 v[2:3], 2, v[2:3]
	s_addc_u32 s11, s11, s45
	v_mov_b32_e32 v8, s11
	v_add_co_u32_e32 v2, vcc, s10, v2
	v_addc_co_u32_e32 v3, vcc, v8, v3, vcc
	v_lshlrev_b32_e32 v8, 2, v10
	v_add_co_u32_e32 v2, vcc, v2, v8
	v_addc_co_u32_e32 v3, vcc, 0, v3, vcc
	s_waitcnt lgkmcnt(0)
	v_mov_b32_e32 v9, s27
	v_add_co_u32_e32 v8, vcc, s26, v2
	v_addc_co_u32_e32 v9, vcc, v9, v3, vcc
	v_mad_u64_u32 v[2:3], s[10:11], s22, v4, 0
	v_mov_b32_e32 v10, v3
	v_mad_u64_u32 v[10:11], s[10:11], s23, v4, v[10:11]
	s_lshl_b64 s[8:9], s[8:9], 5
	s_lshl_b64 s[6:7], s[6:7], 7
	;; [unrolled: 1-line block ×3, first 2 shown]
	v_mov_b32_e32 v3, v10
	s_add_u32 s6, s10, s6
	v_lshlrev_b64 v[2:3], 2, v[2:3]
	s_addc_u32 s7, s11, s7
	v_mov_b32_e32 v10, s7
	v_add_co_u32_e32 v2, vcc, s6, v2
	v_lshlrev_b32_e32 v1, 2, v1
	v_addc_co_u32_e32 v3, vcc, v10, v3, vcc
	v_lshl_or_b32 v7, v4, 7, v1
	v_add_co_u32_e32 v1, vcc, v2, v1
	v_addc_co_u32_e32 v2, vcc, 0, v3, vcc
	v_mov_b32_e32 v0, 0
	v_mov_b32_e32 v3, s21
	v_add_co_u32_e32 v10, vcc, s20, v1
	s_lshl_b64 s[6:7], s[22:23], 5
	v_lshlrev_b32_e32 v16, 2, v14
	v_addc_co_u32_e32 v11, vcc, v3, v2, vcc
	s_mov_b64 s[10:11], 0
	v_mov_b32_e32 v18, s9
	v_mov_b32_e32 v19, s7
	v_pk_mov_b32 v[12:13], s[34:35], s[34:35] op_sel:[0,1]
	v_mov_b32_e32 v1, v0
	v_mov_b32_e32 v2, v0
	;; [unrolled: 1-line block ×3, first 2 shown]
	s_branch .LBB201_3
.LBB201_2:                              ;   in Loop: Header=BB201_3 Depth=1
	s_or_b64 exec, exec, s[20:21]
	s_waitcnt vmcnt(0)
	ds_write_b32 v15, v20
	s_waitcnt lgkmcnt(0)
	s_barrier
	ds_read_b128 v[20:23], v17
	ds_read_b128 v[24:27], v17 offset:16
	ds_read2_b32 v[36:37], v16 offset1:16
	ds_read2_b32 v[38:39], v16 offset0:32 offset1:48
	ds_read2_b32 v[40:41], v16 offset0:64 offset1:80
	;; [unrolled: 1-line block ×4, first 2 shown]
	ds_read_b128 v[28:31], v17 offset:512
	ds_read_b128 v[32:35], v17 offset:528
	ds_read2_b32 v[46:47], v16 offset0:160 offset1:176
	ds_read2_b32 v[48:49], v16 offset0:192 offset1:208
	;; [unrolled: 1-line block ×3, first 2 shown]
	s_waitcnt lgkmcnt(9)
	v_pk_fma_f32 v[2:3], v[36:37], v[20:21], v[2:3] op_sel_hi:[1,0,1]
	s_waitcnt lgkmcnt(8)
	v_pk_fma_f32 v[2:3], v[38:39], v[20:21], v[2:3] op_sel:[0,1,0]
	s_waitcnt lgkmcnt(7)
	v_pk_fma_f32 v[2:3], v[40:41], v[22:23], v[2:3] op_sel_hi:[1,0,1]
	v_mov_b32_e32 v20, v23
	s_waitcnt lgkmcnt(6)
	v_pk_fma_f32 v[2:3], v[42:43], v[20:21], v[2:3] op_sel_hi:[1,0,1]
	s_waitcnt lgkmcnt(5)
	v_pk_fma_f32 v[2:3], v[44:45], v[24:25], v[2:3] op_sel_hi:[1,0,1]
	s_waitcnt lgkmcnt(2)
	v_pk_fma_f32 v[2:3], v[46:47], v[24:25], v[2:3] op_sel:[0,1,0]
	v_pk_fma_f32 v[0:1], v[36:37], v[28:29], v[0:1] op_sel_hi:[1,0,1]
	s_waitcnt lgkmcnt(1)
	v_pk_fma_f32 v[2:3], v[48:49], v[26:27], v[2:3] op_sel_hi:[1,0,1]
	v_mov_b32_e32 v20, v27
	v_pk_fma_f32 v[0:1], v[38:39], v[28:29], v[0:1] op_sel:[0,1,0]
	s_waitcnt lgkmcnt(0)
	v_pk_fma_f32 v[2:3], v[50:51], v[20:21], v[2:3] op_sel_hi:[1,0,1]
	v_pk_fma_f32 v[0:1], v[40:41], v[30:31], v[0:1] op_sel_hi:[1,0,1]
	v_mov_b32_e32 v20, v31
	v_add_co_u32_e32 v8, vcc, s8, v8
	v_pk_fma_f32 v[0:1], v[42:43], v[20:21], v[0:1] op_sel_hi:[1,0,1]
	v_addc_co_u32_e32 v9, vcc, v9, v18, vcc
	v_pk_fma_f32 v[0:1], v[44:45], v[32:33], v[0:1] op_sel_hi:[1,0,1]
	s_add_u32 s10, s10, 8
	v_add_co_u32_e32 v10, vcc, s6, v10
	v_pk_fma_f32 v[0:1], v[46:47], v[32:33], v[0:1] op_sel:[0,1,0]
	s_addc_u32 s11, s11, 0
	v_addc_co_u32_e32 v11, vcc, v11, v19, vcc
	v_pk_fma_f32 v[0:1], v[48:49], v[34:35], v[0:1] op_sel_hi:[1,0,1]
	v_mov_b32_e32 v20, v35
	v_cmp_lt_i64_e32 vcc, s[10:11], v[12:13]
	v_pk_fma_f32 v[0:1], v[50:51], v[20:21], v[0:1] op_sel_hi:[1,0,1]
	s_barrier
	s_cbranch_vccz .LBB201_7
.LBB201_3:                              ; =>This Inner Loop Header: Depth=1
	v_mov_b32_e32 v21, s11
	v_add_co_u32_e32 v20, vcc, s10, v4
	v_addc_co_u32_e32 v21, vcc, 0, v21, vcc
	v_cmp_gt_i64_e32 vcc, s[34:35], v[20:21]
	s_and_b64 s[22:23], s[0:1], vcc
	v_mov_b32_e32 v20, 0
	s_and_saveexec_b64 s[20:21], s[22:23]
	s_cbranch_execz .LBB201_5
; %bb.4:                                ;   in Loop: Header=BB201_3 Depth=1
	global_load_dword v20, v[10:11], off
.LBB201_5:                              ;   in Loop: Header=BB201_3 Depth=1
	s_or_b64 exec, exec, s[20:21]
	s_waitcnt vmcnt(0)
	ds_write_b32 v7, v20
	v_mov_b32_e32 v21, s11
	v_add_co_u32_e32 v20, vcc, s10, v6
	v_addc_co_u32_e32 v21, vcc, 0, v21, vcc
	v_cmp_gt_i64_e32 vcc, s[34:35], v[20:21]
	s_and_b64 s[22:23], vcc, s[2:3]
	v_mov_b32_e32 v20, 0
	s_and_saveexec_b64 s[20:21], s[22:23]
	s_cbranch_execz .LBB201_2
; %bb.6:                                ;   in Loop: Header=BB201_3 Depth=1
	global_load_dword v20, v[8:9], off
	s_branch .LBB201_2
.LBB201_7:
	s_load_dword s10, s[4:5], 0x18
	s_load_dword s11, s[4:5], 0x50
	s_lshl_b64 s[0:1], s[30:31], 2
	v_mov_b32_e32 v6, s43
	v_add_co_u32_e32 v4, vcc, s42, v5
	s_waitcnt lgkmcnt(0)
	s_add_u32 s20, s40, s0
	v_addc_co_u32_e32 v5, vcc, 0, v6, vcc
	v_cmp_neq_f32_e64 s[2:3], s11, 0
	s_addc_u32 s21, s41, s1
	v_cmp_gt_i64_e64 s[0:1], s[38:39], v[4:5]
	s_and_b64 vcc, exec, s[2:3]
	s_cbranch_vccnz .LBB201_20
; %bb.8:
	s_and_saveexec_b64 s[6:7], s[0:1]
	s_cbranch_execz .LBB201_18
; %bb.9:
	v_mov_b32_e32 v6, s19
	v_add_co_u32_e32 v8, vcc, s18, v14
	v_addc_co_u32_e32 v9, vcc, 0, v6, vcc
	v_mul_lo_u32 v10, v5, s28
	v_mul_lo_u32 v11, v4, s29
	v_mad_u64_u32 v[6:7], s[2:3], v4, s28, 0
	v_add3_u32 v7, v7, v11, v10
	v_lshlrev_b64 v[6:7], 2, v[6:7]
	v_mov_b32_e32 v11, s21
	v_add_co_u32_e64 v10, s[2:3], s20, v6
	v_cmp_gt_i64_e32 vcc, s[36:37], v[8:9]
	v_addc_co_u32_e64 v11, s[2:3], v11, v7, s[2:3]
	v_lshlrev_b64 v[6:7], 2, v[8:9]
	s_and_saveexec_b64 s[4:5], vcc
	s_cbranch_execz .LBB201_11
; %bb.10:
	v_add_co_u32_e64 v12, s[2:3], v10, v6
	v_addc_co_u32_e64 v13, s[2:3], v11, v7, s[2:3]
	v_mul_f32_e32 v15, s10, v2
	global_store_dword v[12:13], v15, off
.LBB201_11:
	s_or_b64 exec, exec, s[4:5]
	v_add_co_u32_e64 v8, s[2:3], 16, v8
	v_addc_co_u32_e64 v9, s[2:3], 0, v9, s[2:3]
	v_cmp_gt_i64_e64 s[2:3], s[36:37], v[8:9]
	s_and_saveexec_b64 s[8:9], s[2:3]
	s_cbranch_execz .LBB201_13
; %bb.12:
	v_add_co_u32_e64 v8, s[4:5], v10, v6
	v_addc_co_u32_e64 v9, s[4:5], v11, v7, s[4:5]
	v_mul_f32_e32 v12, s10, v3
	global_store_dword v[8:9], v12, off offset:64
.LBB201_13:
	s_or_b64 exec, exec, s[8:9]
	v_add_co_u32_e64 v8, s[4:5], 16, v4
	v_addc_co_u32_e64 v9, s[4:5], 0, v5, s[4:5]
	v_cmp_gt_i64_e64 s[4:5], s[38:39], v[8:9]
	s_and_b64 exec, exec, s[4:5]
	s_cbranch_execz .LBB201_18
; %bb.14:
	s_lshl_b64 s[4:5], s[28:29], 6
	v_mov_b32_e32 v8, s5
	v_add_co_u32_e64 v9, s[4:5], s4, v10
	v_addc_co_u32_e64 v8, s[4:5], v11, v8, s[4:5]
	v_add_co_u32_e64 v6, s[4:5], v9, v6
	v_addc_co_u32_e64 v7, s[4:5], v8, v7, s[4:5]
	s_and_saveexec_b64 s[4:5], vcc
	s_cbranch_execz .LBB201_16
; %bb.15:
	v_mul_f32_e32 v8, s10, v0
	global_store_dword v[6:7], v8, off
.LBB201_16:
	s_or_b64 exec, exec, s[4:5]
	s_and_b64 exec, exec, s[2:3]
	s_cbranch_execz .LBB201_18
; %bb.17:
	v_mul_f32_e32 v8, s10, v1
	global_store_dword v[6:7], v8, off offset:64
.LBB201_18:
	s_or_b64 exec, exec, s[6:7]
	s_cbranch_execz .LBB201_21
.LBB201_19:
	s_endpgm
.LBB201_20:
.LBB201_21:
	s_and_saveexec_b64 s[2:3], s[0:1]
	s_cbranch_execz .LBB201_19
; %bb.22:
	s_lshl_b64 s[0:1], s[16:17], 2
	s_add_u32 s2, s12, s0
	v_mov_b32_e32 v6, s19
	v_add_co_u32_e32 v8, vcc, s18, v14
	s_addc_u32 s3, s13, s1
	v_addc_co_u32_e32 v9, vcc, 0, v6, vcc
	v_mul_lo_u32 v10, v5, s14
	v_mul_lo_u32 v11, v4, s15
	v_mad_u64_u32 v[6:7], s[0:1], v4, s14, 0
	v_add3_u32 v7, v7, v11, v10
	v_mul_lo_u32 v10, v5, s28
	v_mul_lo_u32 v11, v4, s29
	v_mad_u64_u32 v[12:13], s[0:1], v4, s28, 0
	v_lshlrev_b64 v[6:7], 2, v[6:7]
	v_add3_u32 v13, v13, v11, v10
	v_mov_b32_e32 v11, s3
	v_add_co_u32_e64 v10, s[0:1], s2, v6
	v_addc_co_u32_e64 v11, s[0:1], v11, v7, s[0:1]
	v_lshlrev_b64 v[6:7], 2, v[12:13]
	v_mov_b32_e32 v13, s21
	v_add_co_u32_e64 v12, s[0:1], s20, v6
	v_cmp_gt_i64_e32 vcc, s[36:37], v[8:9]
	v_addc_co_u32_e64 v13, s[0:1], v13, v7, s[0:1]
	v_lshlrev_b64 v[6:7], 2, v[8:9]
	s_and_saveexec_b64 s[2:3], vcc
	s_cbranch_execz .LBB201_24
; %bb.23:
	v_add_co_u32_e64 v14, s[0:1], v10, v6
	v_addc_co_u32_e64 v15, s[0:1], v11, v7, s[0:1]
	global_load_dword v14, v[14:15], off
	s_waitcnt vmcnt(0)
	v_mul_f32_e32 v16, s11, v14
	v_add_co_u32_e64 v14, s[0:1], v12, v6
	v_fmac_f32_e32 v16, s10, v2
	v_addc_co_u32_e64 v15, s[0:1], v13, v7, s[0:1]
	global_store_dword v[14:15], v16, off
.LBB201_24:
	s_or_b64 exec, exec, s[2:3]
	v_add_co_u32_e64 v8, s[0:1], 16, v8
	v_addc_co_u32_e64 v9, s[0:1], 0, v9, s[0:1]
	v_cmp_gt_i64_e64 s[0:1], s[36:37], v[8:9]
	s_and_saveexec_b64 s[4:5], s[0:1]
	s_cbranch_execz .LBB201_26
; %bb.25:
	v_add_co_u32_e64 v8, s[2:3], v10, v6
	v_addc_co_u32_e64 v9, s[2:3], v11, v7, s[2:3]
	global_load_dword v2, v[8:9], off offset:64
	s_waitcnt vmcnt(0)
	v_mul_f32_e32 v8, s11, v2
	v_add_co_u32_e64 v2, s[2:3], v12, v6
	v_fmac_f32_e32 v8, s10, v3
	v_addc_co_u32_e64 v3, s[2:3], v13, v7, s[2:3]
	global_store_dword v[2:3], v8, off offset:64
.LBB201_26:
	s_or_b64 exec, exec, s[4:5]
	v_add_co_u32_e64 v2, s[2:3], 16, v4
	v_addc_co_u32_e64 v3, s[2:3], 0, v5, s[2:3]
	v_cmp_gt_i64_e64 s[2:3], s[38:39], v[2:3]
	s_and_b64 exec, exec, s[2:3]
	s_cbranch_execz .LBB201_19
; %bb.27:
	s_lshl_b64 s[2:3], s[14:15], 6
	v_mov_b32_e32 v2, s3
	v_add_co_u32_e64 v3, s[2:3], s2, v10
	v_addc_co_u32_e64 v4, s[2:3], v11, v2, s[2:3]
	s_lshl_b64 s[2:3], s[28:29], 6
	v_mov_b32_e32 v2, s3
	v_add_co_u32_e64 v5, s[2:3], s2, v12
	v_addc_co_u32_e64 v8, s[2:3], v13, v2, s[2:3]
	v_add_co_u32_e64 v2, s[2:3], v3, v6
	v_addc_co_u32_e64 v3, s[2:3], v4, v7, s[2:3]
	;; [unrolled: 2-line block ×3, first 2 shown]
	s_and_saveexec_b64 s[2:3], vcc
	s_cbranch_execz .LBB201_29
; %bb.28:
	global_load_dword v6, v[2:3], off
	s_waitcnt vmcnt(0)
	v_mul_f32_e32 v6, s11, v6
	v_fmac_f32_e32 v6, s10, v0
	global_store_dword v[4:5], v6, off
.LBB201_29:
	s_or_b64 exec, exec, s[2:3]
	s_and_b64 exec, exec, s[0:1]
	s_cbranch_execz .LBB201_19
; %bb.30:
	global_load_dword v0, v[2:3], off offset:64
	s_waitcnt vmcnt(0)
	v_mul_f32_e32 v0, s11, v0
	v_fmac_f32_e32 v0, s10, v1
	global_store_dword v[4:5], v0, off offset:64
	s_endpgm
	.section	.rodata,"a",@progbits
	.p2align	6, 0x0
	.amdhsa_kernel _ZN12_GLOBAL__N_135rocblas_gemm_batched_general_kernelIfLi16ELi16ELi32ELi32ELi8ELi32ELi8ELi8ELi32ELc78ELc67EKPKfS3_KPfEEvlllT_PT11_llS8_llS6_PT12_llPT13_lli
		.amdhsa_group_segment_fixed_size 2048
		.amdhsa_private_segment_fixed_size 0
		.amdhsa_kernarg_size 140
		.amdhsa_user_sgpr_count 6
		.amdhsa_user_sgpr_private_segment_buffer 1
		.amdhsa_user_sgpr_dispatch_ptr 0
		.amdhsa_user_sgpr_queue_ptr 0
		.amdhsa_user_sgpr_kernarg_segment_ptr 1
		.amdhsa_user_sgpr_dispatch_id 0
		.amdhsa_user_sgpr_flat_scratch_init 0
		.amdhsa_user_sgpr_kernarg_preload_length 0
		.amdhsa_user_sgpr_kernarg_preload_offset 0
		.amdhsa_user_sgpr_private_segment_size 0
		.amdhsa_uses_dynamic_stack 0
		.amdhsa_system_sgpr_private_segment_wavefront_offset 0
		.amdhsa_system_sgpr_workgroup_id_x 1
		.amdhsa_system_sgpr_workgroup_id_y 1
		.amdhsa_system_sgpr_workgroup_id_z 1
		.amdhsa_system_sgpr_workgroup_info 0
		.amdhsa_system_vgpr_workitem_id 1
		.amdhsa_next_free_vgpr 52
		.amdhsa_next_free_sgpr 48
		.amdhsa_accum_offset 52
		.amdhsa_reserve_vcc 1
		.amdhsa_reserve_flat_scratch 0
		.amdhsa_float_round_mode_32 0
		.amdhsa_float_round_mode_16_64 0
		.amdhsa_float_denorm_mode_32 3
		.amdhsa_float_denorm_mode_16_64 3
		.amdhsa_dx10_clamp 1
		.amdhsa_ieee_mode 1
		.amdhsa_fp16_overflow 0
		.amdhsa_tg_split 0
		.amdhsa_exception_fp_ieee_invalid_op 0
		.amdhsa_exception_fp_denorm_src 0
		.amdhsa_exception_fp_ieee_div_zero 0
		.amdhsa_exception_fp_ieee_overflow 0
		.amdhsa_exception_fp_ieee_underflow 0
		.amdhsa_exception_fp_ieee_inexact 0
		.amdhsa_exception_int_div_zero 0
	.end_amdhsa_kernel
	.section	.text._ZN12_GLOBAL__N_135rocblas_gemm_batched_general_kernelIfLi16ELi16ELi32ELi32ELi8ELi32ELi8ELi8ELi32ELc78ELc67EKPKfS3_KPfEEvlllT_PT11_llS8_llS6_PT12_llPT13_lli,"axG",@progbits,_ZN12_GLOBAL__N_135rocblas_gemm_batched_general_kernelIfLi16ELi16ELi32ELi32ELi8ELi32ELi8ELi8ELi32ELc78ELc67EKPKfS3_KPfEEvlllT_PT11_llS8_llS6_PT12_llPT13_lli,comdat
.Lfunc_end201:
	.size	_ZN12_GLOBAL__N_135rocblas_gemm_batched_general_kernelIfLi16ELi16ELi32ELi32ELi8ELi32ELi8ELi8ELi32ELc78ELc67EKPKfS3_KPfEEvlllT_PT11_llS8_llS6_PT12_llPT13_lli, .Lfunc_end201-_ZN12_GLOBAL__N_135rocblas_gemm_batched_general_kernelIfLi16ELi16ELi32ELi32ELi8ELi32ELi8ELi8ELi32ELc78ELc67EKPKfS3_KPfEEvlllT_PT11_llS8_llS6_PT12_llPT13_lli
                                        ; -- End function
	.section	.AMDGPU.csdata,"",@progbits
; Kernel info:
; codeLenInByte = 1872
; NumSgprs: 52
; NumVgprs: 52
; NumAgprs: 0
; TotalNumVgprs: 52
; ScratchSize: 0
; MemoryBound: 0
; FloatMode: 240
; IeeeMode: 1
; LDSByteSize: 2048 bytes/workgroup (compile time only)
; SGPRBlocks: 6
; VGPRBlocks: 6
; NumSGPRsForWavesPerEU: 52
; NumVGPRsForWavesPerEU: 52
; AccumOffset: 52
; Occupancy: 8
; WaveLimiterHint : 1
; COMPUTE_PGM_RSRC2:SCRATCH_EN: 0
; COMPUTE_PGM_RSRC2:USER_SGPR: 6
; COMPUTE_PGM_RSRC2:TRAP_HANDLER: 0
; COMPUTE_PGM_RSRC2:TGID_X_EN: 1
; COMPUTE_PGM_RSRC2:TGID_Y_EN: 1
; COMPUTE_PGM_RSRC2:TGID_Z_EN: 1
; COMPUTE_PGM_RSRC2:TIDIG_COMP_CNT: 1
; COMPUTE_PGM_RSRC3_GFX90A:ACCUM_OFFSET: 12
; COMPUTE_PGM_RSRC3_GFX90A:TG_SPLIT: 0
	.section	.text._ZN12_GLOBAL__N_135rocblas_gemm_batched_general_kernelIfLi16ELi16ELi32ELi32ELi8ELi32ELi8ELi8ELi32ELc84ELc67EKPKfS3_KPfEEvlllT_PT11_llS8_llS6_PT12_llPT13_lli,"axG",@progbits,_ZN12_GLOBAL__N_135rocblas_gemm_batched_general_kernelIfLi16ELi16ELi32ELi32ELi8ELi32ELi8ELi8ELi32ELc84ELc67EKPKfS3_KPfEEvlllT_PT11_llS8_llS6_PT12_llPT13_lli,comdat
	.globl	_ZN12_GLOBAL__N_135rocblas_gemm_batched_general_kernelIfLi16ELi16ELi32ELi32ELi8ELi32ELi8ELi8ELi32ELc84ELc67EKPKfS3_KPfEEvlllT_PT11_llS8_llS6_PT12_llPT13_lli ; -- Begin function _ZN12_GLOBAL__N_135rocblas_gemm_batched_general_kernelIfLi16ELi16ELi32ELi32ELi8ELi32ELi8ELi8ELi32ELc84ELc67EKPKfS3_KPfEEvlllT_PT11_llS8_llS6_PT12_llPT13_lli
	.p2align	8
	.type	_ZN12_GLOBAL__N_135rocblas_gemm_batched_general_kernelIfLi16ELi16ELi32ELi32ELi8ELi32ELi8ELi8ELi32ELc84ELc67EKPKfS3_KPfEEvlllT_PT11_llS8_llS6_PT12_llPT13_lli,@function
_ZN12_GLOBAL__N_135rocblas_gemm_batched_general_kernelIfLi16ELi16ELi32ELi32ELi8ELi32ELi8ELi8ELi32ELc84ELc67EKPKfS3_KPfEEvlllT_PT11_llS8_llS6_PT12_llPT13_lli: ; @_ZN12_GLOBAL__N_135rocblas_gemm_batched_general_kernelIfLi16ELi16ELi32ELi32ELi8ELi32ELi8ELi8ELi32ELc84ELc67EKPKfS3_KPfEEvlllT_PT11_llS8_llS6_PT12_llPT13_lli
; %bb.0:
	s_load_dwordx4 s[36:39], s[4:5], 0x0
	s_load_dwordx2 s[34:35], s[4:5], 0x10
	s_load_dwordx4 s[28:31], s[4:5], 0x78
	s_load_dwordx8 s[12:19], s[4:5], 0x58
	s_mov_b32 s9, 0
	s_lshl_b64 s[0:1], s[8:9], 3
	s_mov_b32 s42, s7
	v_mov_b32_e32 v3, 0
	s_waitcnt lgkmcnt(0)
	s_add_u32 s2, s12, s0
	s_addc_u32 s3, s13, s1
	s_load_dwordx2 s[12:13], s[2:3], 0x0
	s_add_u32 s2, s18, s0
	s_addc_u32 s3, s19, s1
	s_load_dwordx2 s[18:19], s[2:3], 0x0
	s_ashr_i32 s7, s6, 31
	s_ashr_i32 s43, s42, 31
	v_cmp_lt_i64_e64 s[2:3], s[34:35], 1
	v_and_b32_e32 v14, 0x3ff, v0
	v_bfe_u32 v5, v0, 10, 10
	s_lshl_b64 s[6:7], s[6:7], 5
	s_lshl_b64 s[40:41], s[42:43], 5
	s_and_b64 vcc, exec, s[2:3]
	v_mov_b32_e32 v2, v3
	v_mov_b32_e32 v1, v3
	;; [unrolled: 1-line block ×3, first 2 shown]
	s_cbranch_vccnz .LBB202_7
; %bb.1:
	s_load_dwordx8 s[20:27], s[4:5], 0x20
	s_load_dwordx4 s[8:11], s[4:5], 0x40
	v_lshl_add_u32 v1, v5, 4, v14
	v_lshrrev_b32_e32 v10, 3, v1
	v_mov_b32_e32 v3, s41
	s_waitcnt lgkmcnt(0)
	s_add_u32 s2, s26, s0
	v_add_co_u32_e32 v2, vcc, s40, v10
	s_addc_u32 s3, s27, s1
	v_and_b32_e32 v6, 7, v14
	v_addc_co_u32_e32 v3, vcc, 0, v3, vcc
	s_load_dwordx2 s[26:27], s[2:3], 0x0
	v_cmp_gt_i64_e64 s[2:3], s[38:39], v[2:3]
	v_lshlrev_b32_e32 v2, 2, v6
	v_lshl_or_b32 v2, v10, 5, v2
	v_lshrrev_b32_e32 v4, 5, v1
	s_add_u32 s0, s20, s0
	v_and_b32_e32 v1, 31, v1
	v_add_u32_e32 v15, 0x400, v2
	v_mov_b32_e32 v2, 0x400
	s_addc_u32 s1, s21, s1
	v_mov_b32_e32 v9, s7
	v_or_b32_e32 v8, s6, v1
	v_lshl_add_u32 v17, v5, 5, v2
	v_mad_u64_u32 v[2:3], s[44:45], s8, v6, 0
	s_load_dwordx2 s[20:21], s[0:1], 0x0
	v_cmp_gt_i64_e64 s[0:1], s[36:37], v[8:9]
	v_mov_b32_e32 v8, v3
	v_mad_u64_u32 v[8:9], s[44:45], s9, v6, v[8:9]
	s_lshl_b64 s[42:43], s[42:43], 7
	s_lshl_b64 s[10:11], s[10:11], 2
	v_mov_b32_e32 v3, v8
	s_add_u32 s10, s10, s42
	v_lshlrev_b64 v[2:3], 2, v[2:3]
	s_addc_u32 s11, s11, s43
	v_mov_b32_e32 v8, s11
	v_add_co_u32_e32 v2, vcc, s10, v2
	v_addc_co_u32_e32 v3, vcc, v8, v3, vcc
	v_lshlrev_b32_e32 v8, 2, v10
	v_add_co_u32_e32 v2, vcc, v2, v8
	v_addc_co_u32_e32 v3, vcc, 0, v3, vcc
	s_waitcnt lgkmcnt(0)
	v_mov_b32_e32 v9, s27
	v_add_co_u32_e32 v8, vcc, s26, v2
	v_addc_co_u32_e32 v9, vcc, v9, v3, vcc
	v_lshlrev_b32_e32 v7, 2, v1
	v_mov_b32_e32 v2, s7
	v_add_co_u32_e32 v1, vcc, s6, v1
	v_addc_co_u32_e32 v2, vcc, 0, v2, vcc
	v_mul_lo_u32 v10, s23, v1
	v_mul_lo_u32 v11, s22, v2
	v_mad_u64_u32 v[2:3], s[10:11], s22, v1, 0
	v_add3_u32 v3, v3, v11, v10
	v_lshlrev_b64 v[2:3], 2, v[2:3]
	s_lshl_b64 s[10:11], s[24:25], 2
	v_mov_b32_e32 v1, s11
	v_add_co_u32_e32 v2, vcc, s10, v2
	v_addc_co_u32_e32 v1, vcc, v3, v1, vcc
	v_lshlrev_b32_e32 v3, 2, v4
	v_add_co_u32_e32 v2, vcc, v2, v3
	v_addc_co_u32_e32 v1, vcc, 0, v1, vcc
	v_mov_b32_e32 v0, 0
	s_lshl_b64 s[8:9], s[8:9], 5
	v_mov_b32_e32 v3, s21
	v_add_co_u32_e32 v10, vcc, s20, v2
	v_lshl_or_b32 v7, v4, 7, v7
	v_lshlrev_b32_e32 v16, 2, v14
	v_addc_co_u32_e32 v11, vcc, v3, v1, vcc
	s_mov_b64 s[10:11], 0
	v_mov_b32_e32 v18, s9
	v_pk_mov_b32 v[12:13], s[34:35], s[34:35] op_sel:[0,1]
	v_mov_b32_e32 v1, v0
	v_mov_b32_e32 v2, v0
	;; [unrolled: 1-line block ×3, first 2 shown]
	s_branch .LBB202_3
.LBB202_2:                              ;   in Loop: Header=BB202_3 Depth=1
	s_or_b64 exec, exec, s[20:21]
	s_waitcnt vmcnt(0)
	ds_write_b32 v15, v19
	s_waitcnt lgkmcnt(0)
	s_barrier
	ds_read_b128 v[20:23], v17
	ds_read_b128 v[24:27], v17 offset:16
	ds_read2_b32 v[36:37], v16 offset1:16
	ds_read2_b32 v[38:39], v16 offset0:32 offset1:48
	ds_read2_b32 v[40:41], v16 offset0:64 offset1:80
	;; [unrolled: 1-line block ×4, first 2 shown]
	ds_read_b128 v[28:31], v17 offset:512
	ds_read_b128 v[32:35], v17 offset:528
	ds_read2_b32 v[46:47], v16 offset0:160 offset1:176
	ds_read2_b32 v[48:49], v16 offset0:192 offset1:208
	;; [unrolled: 1-line block ×3, first 2 shown]
	s_waitcnt lgkmcnt(9)
	v_pk_fma_f32 v[2:3], v[36:37], v[20:21], v[2:3] op_sel_hi:[1,0,1]
	s_waitcnt lgkmcnt(8)
	v_pk_fma_f32 v[2:3], v[38:39], v[20:21], v[2:3] op_sel:[0,1,0]
	s_waitcnt lgkmcnt(7)
	v_pk_fma_f32 v[2:3], v[40:41], v[22:23], v[2:3] op_sel_hi:[1,0,1]
	v_mov_b32_e32 v20, v23
	s_waitcnt lgkmcnt(6)
	v_pk_fma_f32 v[2:3], v[42:43], v[20:21], v[2:3] op_sel_hi:[1,0,1]
	s_waitcnt lgkmcnt(5)
	v_pk_fma_f32 v[2:3], v[44:45], v[24:25], v[2:3] op_sel_hi:[1,0,1]
	s_waitcnt lgkmcnt(2)
	v_pk_fma_f32 v[2:3], v[46:47], v[24:25], v[2:3] op_sel:[0,1,0]
	v_pk_fma_f32 v[0:1], v[36:37], v[28:29], v[0:1] op_sel_hi:[1,0,1]
	s_waitcnt lgkmcnt(1)
	v_pk_fma_f32 v[2:3], v[48:49], v[26:27], v[2:3] op_sel_hi:[1,0,1]
	v_mov_b32_e32 v20, v27
	v_pk_fma_f32 v[0:1], v[38:39], v[28:29], v[0:1] op_sel:[0,1,0]
	s_waitcnt lgkmcnt(0)
	v_pk_fma_f32 v[2:3], v[50:51], v[20:21], v[2:3] op_sel_hi:[1,0,1]
	v_pk_fma_f32 v[0:1], v[40:41], v[30:31], v[0:1] op_sel_hi:[1,0,1]
	v_mov_b32_e32 v20, v31
	v_add_co_u32_e32 v8, vcc, s8, v8
	v_pk_fma_f32 v[0:1], v[42:43], v[20:21], v[0:1] op_sel_hi:[1,0,1]
	v_addc_co_u32_e32 v9, vcc, v9, v18, vcc
	v_pk_fma_f32 v[0:1], v[44:45], v[32:33], v[0:1] op_sel_hi:[1,0,1]
	s_add_u32 s10, s10, 8
	v_add_co_u32_e32 v10, vcc, 32, v10
	v_pk_fma_f32 v[0:1], v[46:47], v[32:33], v[0:1] op_sel:[0,1,0]
	s_addc_u32 s11, s11, 0
	v_addc_co_u32_e32 v11, vcc, 0, v11, vcc
	v_pk_fma_f32 v[0:1], v[48:49], v[34:35], v[0:1] op_sel_hi:[1,0,1]
	v_mov_b32_e32 v20, v35
	v_cmp_lt_i64_e32 vcc, s[10:11], v[12:13]
	v_pk_fma_f32 v[0:1], v[50:51], v[20:21], v[0:1] op_sel_hi:[1,0,1]
	s_barrier
	s_cbranch_vccz .LBB202_7
.LBB202_3:                              ; =>This Inner Loop Header: Depth=1
	v_mov_b32_e32 v19, s11
	v_add_co_u32_e32 v20, vcc, s10, v4
	v_addc_co_u32_e32 v21, vcc, 0, v19, vcc
	v_cmp_gt_i64_e32 vcc, s[34:35], v[20:21]
	s_and_b64 s[22:23], s[0:1], vcc
	v_mov_b32_e32 v19, 0
	s_and_saveexec_b64 s[20:21], s[22:23]
	s_cbranch_execz .LBB202_5
; %bb.4:                                ;   in Loop: Header=BB202_3 Depth=1
	global_load_dword v19, v[10:11], off
.LBB202_5:                              ;   in Loop: Header=BB202_3 Depth=1
	s_or_b64 exec, exec, s[20:21]
	s_waitcnt vmcnt(0)
	ds_write_b32 v7, v19
	v_mov_b32_e32 v19, s11
	v_add_co_u32_e32 v20, vcc, s10, v6
	v_addc_co_u32_e32 v21, vcc, 0, v19, vcc
	v_cmp_gt_i64_e32 vcc, s[34:35], v[20:21]
	s_and_b64 s[22:23], vcc, s[2:3]
	v_mov_b32_e32 v19, 0
	s_and_saveexec_b64 s[20:21], s[22:23]
	s_cbranch_execz .LBB202_2
; %bb.6:                                ;   in Loop: Header=BB202_3 Depth=1
	global_load_dword v19, v[8:9], off
	s_branch .LBB202_2
.LBB202_7:
	s_load_dword s20, s[4:5], 0x18
	s_load_dword s21, s[4:5], 0x50
	s_lshl_b64 s[0:1], s[30:31], 2
	v_mov_b32_e32 v6, s41
	v_add_co_u32_e32 v4, vcc, s40, v5
	s_waitcnt lgkmcnt(0)
	s_add_u32 s18, s18, s0
	v_addc_co_u32_e32 v5, vcc, 0, v6, vcc
	v_cmp_neq_f32_e64 s[2:3], s21, 0
	s_addc_u32 s19, s19, s1
	v_cmp_gt_i64_e64 s[0:1], s[38:39], v[4:5]
	s_and_b64 vcc, exec, s[2:3]
	s_cbranch_vccnz .LBB202_20
; %bb.8:
	s_and_saveexec_b64 s[8:9], s[0:1]
	s_cbranch_execz .LBB202_18
; %bb.9:
	v_mov_b32_e32 v6, s7
	v_add_co_u32_e32 v8, vcc, s6, v14
	v_addc_co_u32_e32 v9, vcc, 0, v6, vcc
	v_mul_lo_u32 v10, v5, s28
	v_mul_lo_u32 v11, v4, s29
	v_mad_u64_u32 v[6:7], s[2:3], v4, s28, 0
	v_add3_u32 v7, v7, v11, v10
	v_lshlrev_b64 v[6:7], 2, v[6:7]
	v_mov_b32_e32 v11, s19
	v_add_co_u32_e64 v10, s[2:3], s18, v6
	v_cmp_gt_i64_e32 vcc, s[36:37], v[8:9]
	v_addc_co_u32_e64 v11, s[2:3], v11, v7, s[2:3]
	v_lshlrev_b64 v[6:7], 2, v[8:9]
	s_and_saveexec_b64 s[4:5], vcc
	s_cbranch_execz .LBB202_11
; %bb.10:
	v_add_co_u32_e64 v12, s[2:3], v10, v6
	v_addc_co_u32_e64 v13, s[2:3], v11, v7, s[2:3]
	v_mul_f32_e32 v15, s20, v2
	global_store_dword v[12:13], v15, off
.LBB202_11:
	s_or_b64 exec, exec, s[4:5]
	v_add_co_u32_e64 v8, s[2:3], 16, v8
	v_addc_co_u32_e64 v9, s[2:3], 0, v9, s[2:3]
	v_cmp_gt_i64_e64 s[2:3], s[36:37], v[8:9]
	s_and_saveexec_b64 s[10:11], s[2:3]
	s_cbranch_execz .LBB202_13
; %bb.12:
	v_add_co_u32_e64 v8, s[4:5], v10, v6
	v_addc_co_u32_e64 v9, s[4:5], v11, v7, s[4:5]
	v_mul_f32_e32 v12, s20, v3
	global_store_dword v[8:9], v12, off offset:64
.LBB202_13:
	s_or_b64 exec, exec, s[10:11]
	v_add_co_u32_e64 v8, s[4:5], 16, v4
	v_addc_co_u32_e64 v9, s[4:5], 0, v5, s[4:5]
	v_cmp_gt_i64_e64 s[4:5], s[38:39], v[8:9]
	s_and_b64 exec, exec, s[4:5]
	s_cbranch_execz .LBB202_18
; %bb.14:
	s_lshl_b64 s[4:5], s[28:29], 6
	v_mov_b32_e32 v8, s5
	v_add_co_u32_e64 v9, s[4:5], s4, v10
	v_addc_co_u32_e64 v8, s[4:5], v11, v8, s[4:5]
	v_add_co_u32_e64 v6, s[4:5], v9, v6
	v_addc_co_u32_e64 v7, s[4:5], v8, v7, s[4:5]
	s_and_saveexec_b64 s[4:5], vcc
	s_cbranch_execz .LBB202_16
; %bb.15:
	v_mul_f32_e32 v8, s20, v0
	global_store_dword v[6:7], v8, off
.LBB202_16:
	s_or_b64 exec, exec, s[4:5]
	s_and_b64 exec, exec, s[2:3]
	s_cbranch_execz .LBB202_18
; %bb.17:
	v_mul_f32_e32 v8, s20, v1
	global_store_dword v[6:7], v8, off offset:64
.LBB202_18:
	s_or_b64 exec, exec, s[8:9]
	s_cbranch_execz .LBB202_21
.LBB202_19:
	s_endpgm
.LBB202_20:
.LBB202_21:
	s_and_saveexec_b64 s[2:3], s[0:1]
	s_cbranch_execz .LBB202_19
; %bb.22:
	s_lshl_b64 s[0:1], s[16:17], 2
	s_add_u32 s2, s12, s0
	v_mov_b32_e32 v6, s7
	v_add_co_u32_e32 v8, vcc, s6, v14
	s_addc_u32 s3, s13, s1
	v_addc_co_u32_e32 v9, vcc, 0, v6, vcc
	v_mul_lo_u32 v10, v5, s14
	v_mul_lo_u32 v11, v4, s15
	v_mad_u64_u32 v[6:7], s[0:1], v4, s14, 0
	v_add3_u32 v7, v7, v11, v10
	v_mul_lo_u32 v10, v5, s28
	v_mul_lo_u32 v11, v4, s29
	v_mad_u64_u32 v[12:13], s[0:1], v4, s28, 0
	v_lshlrev_b64 v[6:7], 2, v[6:7]
	v_add3_u32 v13, v13, v11, v10
	v_mov_b32_e32 v11, s3
	v_add_co_u32_e64 v10, s[0:1], s2, v6
	v_addc_co_u32_e64 v11, s[0:1], v11, v7, s[0:1]
	v_lshlrev_b64 v[6:7], 2, v[12:13]
	v_mov_b32_e32 v13, s19
	v_add_co_u32_e64 v12, s[0:1], s18, v6
	v_cmp_gt_i64_e32 vcc, s[36:37], v[8:9]
	v_addc_co_u32_e64 v13, s[0:1], v13, v7, s[0:1]
	v_lshlrev_b64 v[6:7], 2, v[8:9]
	s_and_saveexec_b64 s[2:3], vcc
	s_cbranch_execz .LBB202_24
; %bb.23:
	v_add_co_u32_e64 v14, s[0:1], v10, v6
	v_addc_co_u32_e64 v15, s[0:1], v11, v7, s[0:1]
	global_load_dword v14, v[14:15], off
	s_waitcnt vmcnt(0)
	v_mul_f32_e32 v16, s21, v14
	v_add_co_u32_e64 v14, s[0:1], v12, v6
	v_fmac_f32_e32 v16, s20, v2
	v_addc_co_u32_e64 v15, s[0:1], v13, v7, s[0:1]
	global_store_dword v[14:15], v16, off
.LBB202_24:
	s_or_b64 exec, exec, s[2:3]
	v_add_co_u32_e64 v8, s[0:1], 16, v8
	v_addc_co_u32_e64 v9, s[0:1], 0, v9, s[0:1]
	v_cmp_gt_i64_e64 s[0:1], s[36:37], v[8:9]
	s_and_saveexec_b64 s[4:5], s[0:1]
	s_cbranch_execz .LBB202_26
; %bb.25:
	v_add_co_u32_e64 v8, s[2:3], v10, v6
	v_addc_co_u32_e64 v9, s[2:3], v11, v7, s[2:3]
	global_load_dword v2, v[8:9], off offset:64
	s_waitcnt vmcnt(0)
	v_mul_f32_e32 v8, s21, v2
	v_add_co_u32_e64 v2, s[2:3], v12, v6
	v_fmac_f32_e32 v8, s20, v3
	v_addc_co_u32_e64 v3, s[2:3], v13, v7, s[2:3]
	global_store_dword v[2:3], v8, off offset:64
.LBB202_26:
	s_or_b64 exec, exec, s[4:5]
	v_add_co_u32_e64 v2, s[2:3], 16, v4
	v_addc_co_u32_e64 v3, s[2:3], 0, v5, s[2:3]
	v_cmp_gt_i64_e64 s[2:3], s[38:39], v[2:3]
	s_and_b64 exec, exec, s[2:3]
	s_cbranch_execz .LBB202_19
; %bb.27:
	s_lshl_b64 s[2:3], s[14:15], 6
	v_mov_b32_e32 v2, s3
	v_add_co_u32_e64 v3, s[2:3], s2, v10
	v_addc_co_u32_e64 v4, s[2:3], v11, v2, s[2:3]
	s_lshl_b64 s[2:3], s[28:29], 6
	v_mov_b32_e32 v2, s3
	v_add_co_u32_e64 v5, s[2:3], s2, v12
	v_addc_co_u32_e64 v8, s[2:3], v13, v2, s[2:3]
	v_add_co_u32_e64 v2, s[2:3], v3, v6
	v_addc_co_u32_e64 v3, s[2:3], v4, v7, s[2:3]
	;; [unrolled: 2-line block ×3, first 2 shown]
	s_and_saveexec_b64 s[2:3], vcc
	s_cbranch_execz .LBB202_29
; %bb.28:
	global_load_dword v6, v[2:3], off
	s_waitcnt vmcnt(0)
	v_mul_f32_e32 v6, s21, v6
	v_fmac_f32_e32 v6, s20, v0
	global_store_dword v[4:5], v6, off
.LBB202_29:
	s_or_b64 exec, exec, s[2:3]
	s_and_b64 exec, exec, s[0:1]
	s_cbranch_execz .LBB202_19
; %bb.30:
	global_load_dword v0, v[2:3], off offset:64
	s_waitcnt vmcnt(0)
	v_mul_f32_e32 v0, s21, v0
	v_fmac_f32_e32 v0, s20, v1
	global_store_dword v[4:5], v0, off offset:64
	s_endpgm
	.section	.rodata,"a",@progbits
	.p2align	6, 0x0
	.amdhsa_kernel _ZN12_GLOBAL__N_135rocblas_gemm_batched_general_kernelIfLi16ELi16ELi32ELi32ELi8ELi32ELi8ELi8ELi32ELc84ELc67EKPKfS3_KPfEEvlllT_PT11_llS8_llS6_PT12_llPT13_lli
		.amdhsa_group_segment_fixed_size 2048
		.amdhsa_private_segment_fixed_size 0
		.amdhsa_kernarg_size 140
		.amdhsa_user_sgpr_count 6
		.amdhsa_user_sgpr_private_segment_buffer 1
		.amdhsa_user_sgpr_dispatch_ptr 0
		.amdhsa_user_sgpr_queue_ptr 0
		.amdhsa_user_sgpr_kernarg_segment_ptr 1
		.amdhsa_user_sgpr_dispatch_id 0
		.amdhsa_user_sgpr_flat_scratch_init 0
		.amdhsa_user_sgpr_kernarg_preload_length 0
		.amdhsa_user_sgpr_kernarg_preload_offset 0
		.amdhsa_user_sgpr_private_segment_size 0
		.amdhsa_uses_dynamic_stack 0
		.amdhsa_system_sgpr_private_segment_wavefront_offset 0
		.amdhsa_system_sgpr_workgroup_id_x 1
		.amdhsa_system_sgpr_workgroup_id_y 1
		.amdhsa_system_sgpr_workgroup_id_z 1
		.amdhsa_system_sgpr_workgroup_info 0
		.amdhsa_system_vgpr_workitem_id 1
		.amdhsa_next_free_vgpr 52
		.amdhsa_next_free_sgpr 46
		.amdhsa_accum_offset 52
		.amdhsa_reserve_vcc 1
		.amdhsa_reserve_flat_scratch 0
		.amdhsa_float_round_mode_32 0
		.amdhsa_float_round_mode_16_64 0
		.amdhsa_float_denorm_mode_32 3
		.amdhsa_float_denorm_mode_16_64 3
		.amdhsa_dx10_clamp 1
		.amdhsa_ieee_mode 1
		.amdhsa_fp16_overflow 0
		.amdhsa_tg_split 0
		.amdhsa_exception_fp_ieee_invalid_op 0
		.amdhsa_exception_fp_denorm_src 0
		.amdhsa_exception_fp_ieee_div_zero 0
		.amdhsa_exception_fp_ieee_overflow 0
		.amdhsa_exception_fp_ieee_underflow 0
		.amdhsa_exception_fp_ieee_inexact 0
		.amdhsa_exception_int_div_zero 0
	.end_amdhsa_kernel
	.section	.text._ZN12_GLOBAL__N_135rocblas_gemm_batched_general_kernelIfLi16ELi16ELi32ELi32ELi8ELi32ELi8ELi8ELi32ELc84ELc67EKPKfS3_KPfEEvlllT_PT11_llS8_llS6_PT12_llPT13_lli,"axG",@progbits,_ZN12_GLOBAL__N_135rocblas_gemm_batched_general_kernelIfLi16ELi16ELi32ELi32ELi8ELi32ELi8ELi8ELi32ELc84ELc67EKPKfS3_KPfEEvlllT_PT11_llS8_llS6_PT12_llPT13_lli,comdat
.Lfunc_end202:
	.size	_ZN12_GLOBAL__N_135rocblas_gemm_batched_general_kernelIfLi16ELi16ELi32ELi32ELi8ELi32ELi8ELi8ELi32ELc84ELc67EKPKfS3_KPfEEvlllT_PT11_llS8_llS6_PT12_llPT13_lli, .Lfunc_end202-_ZN12_GLOBAL__N_135rocblas_gemm_batched_general_kernelIfLi16ELi16ELi32ELi32ELi8ELi32ELi8ELi8ELi32ELc84ELc67EKPKfS3_KPfEEvlllT_PT11_llS8_llS6_PT12_llPT13_lli
                                        ; -- End function
	.section	.AMDGPU.csdata,"",@progbits
; Kernel info:
; codeLenInByte = 1876
; NumSgprs: 50
; NumVgprs: 52
; NumAgprs: 0
; TotalNumVgprs: 52
; ScratchSize: 0
; MemoryBound: 0
; FloatMode: 240
; IeeeMode: 1
; LDSByteSize: 2048 bytes/workgroup (compile time only)
; SGPRBlocks: 6
; VGPRBlocks: 6
; NumSGPRsForWavesPerEU: 50
; NumVGPRsForWavesPerEU: 52
; AccumOffset: 52
; Occupancy: 8
; WaveLimiterHint : 1
; COMPUTE_PGM_RSRC2:SCRATCH_EN: 0
; COMPUTE_PGM_RSRC2:USER_SGPR: 6
; COMPUTE_PGM_RSRC2:TRAP_HANDLER: 0
; COMPUTE_PGM_RSRC2:TGID_X_EN: 1
; COMPUTE_PGM_RSRC2:TGID_Y_EN: 1
; COMPUTE_PGM_RSRC2:TGID_Z_EN: 1
; COMPUTE_PGM_RSRC2:TIDIG_COMP_CNT: 1
; COMPUTE_PGM_RSRC3_GFX90A:ACCUM_OFFSET: 12
; COMPUTE_PGM_RSRC3_GFX90A:TG_SPLIT: 0
	.section	.text._ZN12_GLOBAL__N_125rocblas_gemm_scale_kernelILi32ELi32EdPKPdEEviiT1_T2_llli,"axG",@progbits,_ZN12_GLOBAL__N_125rocblas_gemm_scale_kernelILi32ELi32EdPKPdEEviiT1_T2_llli,comdat
	.globl	_ZN12_GLOBAL__N_125rocblas_gemm_scale_kernelILi32ELi32EdPKPdEEviiT1_T2_llli ; -- Begin function _ZN12_GLOBAL__N_125rocblas_gemm_scale_kernelILi32ELi32EdPKPdEEviiT1_T2_llli
	.p2align	8
	.type	_ZN12_GLOBAL__N_125rocblas_gemm_scale_kernelILi32ELi32EdPKPdEEviiT1_T2_llli,@function
_ZN12_GLOBAL__N_125rocblas_gemm_scale_kernelILi32ELi32EdPKPdEEviiT1_T2_llli: ; @_ZN12_GLOBAL__N_125rocblas_gemm_scale_kernelILi32ELi32EdPKPdEEviiT1_T2_llli
; %bb.0:
	s_load_dwordx2 s[0:1], s[4:5], 0x0
	v_and_b32_e32 v1, 0x3ff, v0
	v_bfe_u32 v0, v0, 10, 10
	v_lshl_add_u32 v2, s6, 5, v1
	v_lshl_add_u32 v3, s7, 5, v0
	s_waitcnt lgkmcnt(0)
	v_cmp_gt_u32_e32 vcc, s0, v2
	v_cmp_gt_u32_e64 s[0:1], s1, v3
	s_and_b64 s[0:1], vcc, s[0:1]
	s_and_saveexec_b64 s[2:3], s[0:1]
	s_cbranch_execz .LBB203_4
; %bb.1:
	s_load_dwordx8 s[0:7], s[4:5], 0x8
	s_mov_b32 s9, 0
	s_lshl_b64 s[8:9], s[8:9], 3
	v_pk_mov_b32 v[0:1], 0, 0
	s_waitcnt lgkmcnt(0)
	s_add_u32 s2, s2, s8
	s_addc_u32 s3, s3, s9
	s_load_dwordx2 s[2:3], s[2:3], 0x0
	v_mad_u64_u32 v[4:5], s[8:9], v3, s6, 0
	s_lshl_b64 s[4:5], s[4:5], 3
	v_mov_b32_e32 v6, v5
	s_waitcnt lgkmcnt(0)
	s_add_u32 s2, s2, s4
	s_addc_u32 s3, s3, s5
	v_mad_u64_u32 v[6:7], s[4:5], v3, s7, v[6:7]
	v_cmp_eq_f64_e64 s[10:11], s[0:1], 0
	v_mov_b32_e32 v5, v6
	v_mov_b32_e32 v3, 0
	s_and_b64 vcc, exec, s[10:11]
	v_lshlrev_b64 v[4:5], 3, v[4:5]
	v_lshlrev_b64 v[2:3], 3, v[2:3]
	s_cbranch_vccnz .LBB203_3
; %bb.2:
	v_mov_b32_e32 v0, s3
	v_add_co_u32_e32 v1, vcc, s2, v4
	v_addc_co_u32_e32 v6, vcc, v0, v5, vcc
	v_add_co_u32_e32 v0, vcc, v1, v2
	v_addc_co_u32_e32 v1, vcc, v6, v3, vcc
	global_load_dwordx2 v[0:1], v[0:1], off
	s_waitcnt vmcnt(0)
	v_mul_f64 v[0:1], v[0:1], s[0:1]
.LBB203_3:
	v_mov_b32_e32 v6, s3
	v_add_co_u32_e32 v4, vcc, s2, v4
	v_addc_co_u32_e32 v5, vcc, v6, v5, vcc
	v_add_co_u32_e32 v2, vcc, v4, v2
	v_addc_co_u32_e32 v3, vcc, v5, v3, vcc
	global_store_dwordx2 v[2:3], v[0:1], off
.LBB203_4:
	s_endpgm
	.section	.rodata,"a",@progbits
	.p2align	6, 0x0
	.amdhsa_kernel _ZN12_GLOBAL__N_125rocblas_gemm_scale_kernelILi32ELi32EdPKPdEEviiT1_T2_llli
		.amdhsa_group_segment_fixed_size 0
		.amdhsa_private_segment_fixed_size 0
		.amdhsa_kernarg_size 52
		.amdhsa_user_sgpr_count 6
		.amdhsa_user_sgpr_private_segment_buffer 1
		.amdhsa_user_sgpr_dispatch_ptr 0
		.amdhsa_user_sgpr_queue_ptr 0
		.amdhsa_user_sgpr_kernarg_segment_ptr 1
		.amdhsa_user_sgpr_dispatch_id 0
		.amdhsa_user_sgpr_flat_scratch_init 0
		.amdhsa_user_sgpr_kernarg_preload_length 0
		.amdhsa_user_sgpr_kernarg_preload_offset 0
		.amdhsa_user_sgpr_private_segment_size 0
		.amdhsa_uses_dynamic_stack 0
		.amdhsa_system_sgpr_private_segment_wavefront_offset 0
		.amdhsa_system_sgpr_workgroup_id_x 1
		.amdhsa_system_sgpr_workgroup_id_y 1
		.amdhsa_system_sgpr_workgroup_id_z 1
		.amdhsa_system_sgpr_workgroup_info 0
		.amdhsa_system_vgpr_workitem_id 1
		.amdhsa_next_free_vgpr 8
		.amdhsa_next_free_sgpr 12
		.amdhsa_accum_offset 8
		.amdhsa_reserve_vcc 1
		.amdhsa_reserve_flat_scratch 0
		.amdhsa_float_round_mode_32 0
		.amdhsa_float_round_mode_16_64 0
		.amdhsa_float_denorm_mode_32 3
		.amdhsa_float_denorm_mode_16_64 3
		.amdhsa_dx10_clamp 1
		.amdhsa_ieee_mode 1
		.amdhsa_fp16_overflow 0
		.amdhsa_tg_split 0
		.amdhsa_exception_fp_ieee_invalid_op 0
		.amdhsa_exception_fp_denorm_src 0
		.amdhsa_exception_fp_ieee_div_zero 0
		.amdhsa_exception_fp_ieee_overflow 0
		.amdhsa_exception_fp_ieee_underflow 0
		.amdhsa_exception_fp_ieee_inexact 0
		.amdhsa_exception_int_div_zero 0
	.end_amdhsa_kernel
	.section	.text._ZN12_GLOBAL__N_125rocblas_gemm_scale_kernelILi32ELi32EdPKPdEEviiT1_T2_llli,"axG",@progbits,_ZN12_GLOBAL__N_125rocblas_gemm_scale_kernelILi32ELi32EdPKPdEEviiT1_T2_llli,comdat
.Lfunc_end203:
	.size	_ZN12_GLOBAL__N_125rocblas_gemm_scale_kernelILi32ELi32EdPKPdEEviiT1_T2_llli, .Lfunc_end203-_ZN12_GLOBAL__N_125rocblas_gemm_scale_kernelILi32ELi32EdPKPdEEviiT1_T2_llli
                                        ; -- End function
	.section	.AMDGPU.csdata,"",@progbits
; Kernel info:
; codeLenInByte = 260
; NumSgprs: 16
; NumVgprs: 8
; NumAgprs: 0
; TotalNumVgprs: 8
; ScratchSize: 0
; MemoryBound: 0
; FloatMode: 240
; IeeeMode: 1
; LDSByteSize: 0 bytes/workgroup (compile time only)
; SGPRBlocks: 1
; VGPRBlocks: 0
; NumSGPRsForWavesPerEU: 16
; NumVGPRsForWavesPerEU: 8
; AccumOffset: 8
; Occupancy: 8
; WaveLimiterHint : 1
; COMPUTE_PGM_RSRC2:SCRATCH_EN: 0
; COMPUTE_PGM_RSRC2:USER_SGPR: 6
; COMPUTE_PGM_RSRC2:TRAP_HANDLER: 0
; COMPUTE_PGM_RSRC2:TGID_X_EN: 1
; COMPUTE_PGM_RSRC2:TGID_Y_EN: 1
; COMPUTE_PGM_RSRC2:TGID_Z_EN: 1
; COMPUTE_PGM_RSRC2:TIDIG_COMP_CNT: 1
; COMPUTE_PGM_RSRC3_GFX90A:ACCUM_OFFSET: 1
; COMPUTE_PGM_RSRC3_GFX90A:TG_SPLIT: 0
	.section	.text._ZN12_GLOBAL__N_120gemm_ex_scale_kernelILi32ELi32EdPKPKdPKPdEEviiT1_T2_lllT3_llli,"axG",@progbits,_ZN12_GLOBAL__N_120gemm_ex_scale_kernelILi32ELi32EdPKPKdPKPdEEviiT1_T2_lllT3_llli,comdat
	.globl	_ZN12_GLOBAL__N_120gemm_ex_scale_kernelILi32ELi32EdPKPKdPKPdEEviiT1_T2_lllT3_llli ; -- Begin function _ZN12_GLOBAL__N_120gemm_ex_scale_kernelILi32ELi32EdPKPKdPKPdEEviiT1_T2_lllT3_llli
	.p2align	8
	.type	_ZN12_GLOBAL__N_120gemm_ex_scale_kernelILi32ELi32EdPKPKdPKPdEEviiT1_T2_lllT3_llli,@function
_ZN12_GLOBAL__N_120gemm_ex_scale_kernelILi32ELi32EdPKPKdPKPdEEviiT1_T2_lllT3_llli: ; @_ZN12_GLOBAL__N_120gemm_ex_scale_kernelILi32ELi32EdPKPKdPKPdEEviiT1_T2_lllT3_llli
; %bb.0:
	s_load_dwordx8 s[12:19], s[4:5], 0x8
	s_mov_b64 s[10:11], 0
	s_mov_b32 s9, 0
	s_waitcnt lgkmcnt(0)
	v_cmp_eq_f64_e64 s[20:21], s[12:13], 0
	s_and_b64 vcc, exec, s[20:21]
	s_cbranch_vccnz .LBB204_2
; %bb.1:
	s_lshl_b64 s[0:1], s[8:9], 3
	s_add_u32 s0, s14, s0
	s_addc_u32 s1, s15, s1
	s_load_dwordx2 s[0:1], s[0:1], 0x0
	s_lshl_b64 s[2:3], s[16:17], 3
	s_waitcnt lgkmcnt(0)
	s_add_u32 s10, s0, s2
	s_addc_u32 s11, s1, s3
.LBB204_2:
	s_load_dwordx2 s[0:1], s[4:5], 0x0
	v_and_b32_e32 v1, 0x3ff, v0
	v_bfe_u32 v2, v0, 10, 10
	v_lshl_add_u32 v0, s6, 5, v1
	v_lshl_add_u32 v4, s7, 5, v2
	s_waitcnt lgkmcnt(0)
	v_cmp_gt_u32_e32 vcc, s0, v0
	v_cmp_gt_u32_e64 s[0:1], s1, v4
	s_and_b64 s[0:1], vcc, s[0:1]
	s_and_saveexec_b64 s[2:3], s[0:1]
	s_cbranch_execz .LBB204_8
; %bb.3:
	s_load_dwordx4 s[0:3], s[4:5], 0x30
	s_load_dwordx2 s[6:7], s[4:5], 0x40
	s_lshl_b64 s[4:5], s[8:9], 3
	v_mov_b32_e32 v1, 0
	s_waitcnt lgkmcnt(0)
	s_add_u32 s0, s0, s4
	s_addc_u32 s1, s1, s5
	s_load_dwordx2 s[0:1], s[0:1], 0x0
	s_andn2_b64 vcc, exec, s[20:21]
	s_cbranch_vccnz .LBB204_5
; %bb.4:
	s_mov_b64 s[8:9], 0
	v_pk_mov_b32 v[2:3], s[8:9], s[8:9] op_sel:[0,1]
	s_cbranch_execz .LBB204_6
	s_branch .LBB204_7
.LBB204_5:
                                        ; implicit-def: $sgpr8_sgpr9
	v_pk_mov_b32 v[2:3], s[8:9], s[8:9] op_sel:[0,1]
.LBB204_6:
	v_mad_u64_u32 v[2:3], s[4:5], v4, s18, 0
	v_mov_b32_e32 v6, v3
	v_mad_u64_u32 v[6:7], s[4:5], v4, s19, v[6:7]
	v_mov_b32_e32 v3, v6
	v_lshlrev_b64 v[2:3], 3, v[2:3]
	v_mov_b32_e32 v1, 0
	v_mov_b32_e32 v5, s11
	v_add_co_u32_e32 v6, vcc, s10, v2
	v_addc_co_u32_e32 v5, vcc, v5, v3, vcc
	v_lshlrev_b64 v[2:3], 3, v[0:1]
	v_add_co_u32_e32 v2, vcc, v6, v2
	v_addc_co_u32_e32 v3, vcc, v5, v3, vcc
	flat_load_dwordx2 v[2:3], v[2:3]
	s_waitcnt vmcnt(0) lgkmcnt(0)
	v_mul_f64 v[2:3], v[2:3], s[12:13]
.LBB204_7:
	s_lshl_b64 s[2:3], s[2:3], 3
	s_waitcnt lgkmcnt(0)
	s_add_u32 s2, s0, s2
	s_addc_u32 s3, s1, s3
	v_mad_u64_u32 v[6:7], s[0:1], v4, s6, 0
	v_mov_b32_e32 v8, v7
	v_mad_u64_u32 v[4:5], s[0:1], v4, s7, v[8:9]
	v_mov_b32_e32 v7, v4
	v_lshlrev_b64 v[4:5], 3, v[6:7]
	v_mov_b32_e32 v6, s3
	v_add_co_u32_e32 v4, vcc, s2, v4
	v_addc_co_u32_e32 v5, vcc, v6, v5, vcc
	v_lshlrev_b64 v[0:1], 3, v[0:1]
	v_add_co_u32_e32 v0, vcc, v4, v0
	v_addc_co_u32_e32 v1, vcc, v5, v1, vcc
	global_store_dwordx2 v[0:1], v[2:3], off
.LBB204_8:
	s_endpgm
	.section	.rodata,"a",@progbits
	.p2align	6, 0x0
	.amdhsa_kernel _ZN12_GLOBAL__N_120gemm_ex_scale_kernelILi32ELi32EdPKPKdPKPdEEviiT1_T2_lllT3_llli
		.amdhsa_group_segment_fixed_size 0
		.amdhsa_private_segment_fixed_size 0
		.amdhsa_kernarg_size 84
		.amdhsa_user_sgpr_count 6
		.amdhsa_user_sgpr_private_segment_buffer 1
		.amdhsa_user_sgpr_dispatch_ptr 0
		.amdhsa_user_sgpr_queue_ptr 0
		.amdhsa_user_sgpr_kernarg_segment_ptr 1
		.amdhsa_user_sgpr_dispatch_id 0
		.amdhsa_user_sgpr_flat_scratch_init 0
		.amdhsa_user_sgpr_kernarg_preload_length 0
		.amdhsa_user_sgpr_kernarg_preload_offset 0
		.amdhsa_user_sgpr_private_segment_size 0
		.amdhsa_uses_dynamic_stack 0
		.amdhsa_system_sgpr_private_segment_wavefront_offset 0
		.amdhsa_system_sgpr_workgroup_id_x 1
		.amdhsa_system_sgpr_workgroup_id_y 1
		.amdhsa_system_sgpr_workgroup_id_z 1
		.amdhsa_system_sgpr_workgroup_info 0
		.amdhsa_system_vgpr_workitem_id 1
		.amdhsa_next_free_vgpr 10
		.amdhsa_next_free_sgpr 22
		.amdhsa_accum_offset 12
		.amdhsa_reserve_vcc 1
		.amdhsa_reserve_flat_scratch 0
		.amdhsa_float_round_mode_32 0
		.amdhsa_float_round_mode_16_64 0
		.amdhsa_float_denorm_mode_32 3
		.amdhsa_float_denorm_mode_16_64 3
		.amdhsa_dx10_clamp 1
		.amdhsa_ieee_mode 1
		.amdhsa_fp16_overflow 0
		.amdhsa_tg_split 0
		.amdhsa_exception_fp_ieee_invalid_op 0
		.amdhsa_exception_fp_denorm_src 0
		.amdhsa_exception_fp_ieee_div_zero 0
		.amdhsa_exception_fp_ieee_overflow 0
		.amdhsa_exception_fp_ieee_underflow 0
		.amdhsa_exception_fp_ieee_inexact 0
		.amdhsa_exception_int_div_zero 0
	.end_amdhsa_kernel
	.section	.text._ZN12_GLOBAL__N_120gemm_ex_scale_kernelILi32ELi32EdPKPKdPKPdEEviiT1_T2_lllT3_llli,"axG",@progbits,_ZN12_GLOBAL__N_120gemm_ex_scale_kernelILi32ELi32EdPKPKdPKPdEEviiT1_T2_lllT3_llli,comdat
.Lfunc_end204:
	.size	_ZN12_GLOBAL__N_120gemm_ex_scale_kernelILi32ELi32EdPKPKdPKPdEEviiT1_T2_lllT3_llli, .Lfunc_end204-_ZN12_GLOBAL__N_120gemm_ex_scale_kernelILi32ELi32EdPKPKdPKPdEEviiT1_T2_lllT3_llli
                                        ; -- End function
	.section	.AMDGPU.csdata,"",@progbits
; Kernel info:
; codeLenInByte = 392
; NumSgprs: 26
; NumVgprs: 10
; NumAgprs: 0
; TotalNumVgprs: 10
; ScratchSize: 0
; MemoryBound: 0
; FloatMode: 240
; IeeeMode: 1
; LDSByteSize: 0 bytes/workgroup (compile time only)
; SGPRBlocks: 3
; VGPRBlocks: 1
; NumSGPRsForWavesPerEU: 26
; NumVGPRsForWavesPerEU: 10
; AccumOffset: 12
; Occupancy: 8
; WaveLimiterHint : 1
; COMPUTE_PGM_RSRC2:SCRATCH_EN: 0
; COMPUTE_PGM_RSRC2:USER_SGPR: 6
; COMPUTE_PGM_RSRC2:TRAP_HANDLER: 0
; COMPUTE_PGM_RSRC2:TGID_X_EN: 1
; COMPUTE_PGM_RSRC2:TGID_Y_EN: 1
; COMPUTE_PGM_RSRC2:TGID_Z_EN: 1
; COMPUTE_PGM_RSRC2:TIDIG_COMP_CNT: 1
; COMPUTE_PGM_RSRC3_GFX90A:ACCUM_OFFSET: 2
; COMPUTE_PGM_RSRC3_GFX90A:TG_SPLIT: 0
	.section	.text._ZN12_GLOBAL__N_127rocblas_gemm_batched_kernelIdLi16ELi16ELi64ELi64ELi4ELi64ELi4ELi4ELi64ELc78ELc78EKPKdS3_KPdEEvlllT_PT11_llS8_llS6_PT12_llPT13_lli,"axG",@progbits,_ZN12_GLOBAL__N_127rocblas_gemm_batched_kernelIdLi16ELi16ELi64ELi64ELi4ELi64ELi4ELi4ELi64ELc78ELc78EKPKdS3_KPdEEvlllT_PT11_llS8_llS6_PT12_llPT13_lli,comdat
	.globl	_ZN12_GLOBAL__N_127rocblas_gemm_batched_kernelIdLi16ELi16ELi64ELi64ELi4ELi64ELi4ELi4ELi64ELc78ELc78EKPKdS3_KPdEEvlllT_PT11_llS8_llS6_PT12_llPT13_lli ; -- Begin function _ZN12_GLOBAL__N_127rocblas_gemm_batched_kernelIdLi16ELi16ELi64ELi64ELi4ELi64ELi4ELi4ELi64ELc78ELc78EKPKdS3_KPdEEvlllT_PT11_llS8_llS6_PT12_llPT13_lli
	.p2align	8
	.type	_ZN12_GLOBAL__N_127rocblas_gemm_batched_kernelIdLi16ELi16ELi64ELi64ELi4ELi64ELi4ELi4ELi64ELc78ELc78EKPKdS3_KPdEEvlllT_PT11_llS8_llS6_PT12_llPT13_lli,@function
_ZN12_GLOBAL__N_127rocblas_gemm_batched_kernelIdLi16ELi16ELi64ELi64ELi4ELi64ELi4ELi4ELi64ELc78ELc78EKPKdS3_KPdEEvlllT_PT11_llS8_llS6_PT12_llPT13_lli: ; @_ZN12_GLOBAL__N_127rocblas_gemm_batched_kernelIdLi16ELi16ELi64ELi64ELi4ELi64ELi4ELi4ELi64ELc78ELc78EKPKdS3_KPdEEvlllT_PT11_llS8_llS6_PT12_llPT13_lli
; %bb.0:
	s_load_dwordx16 s[12:27], s[4:5], 0x10
	s_load_dwordx8 s[44:51], s[4:5], 0x70
	s_load_dwordx8 s[36:43], s[4:5], 0x50
	s_mov_b32 s9, 0
	s_lshl_b64 s[10:11], s[8:9], 3
	s_mov_b32 s28, s7
	v_bfe_u32 v43, v0, 10, 10
	s_waitcnt lgkmcnt(0)
	s_add_u32 s0, s38, s10
	s_addc_u32 s1, s39, s11
	s_add_u32 s2, s44, s10
	s_addc_u32 s3, s45, s11
	s_load_dwordx2 s[0:1], s[0:1], 0x0
	s_ashr_i32 s7, s6, 31
	s_load_dwordx2 s[4:5], s[2:3], 0x0
	s_ashr_i32 s29, s28, 31
	s_lshl_b64 s[2:3], s[6:7], 6
	s_lshl_b64 s[6:7], s[28:29], 6
	v_cmp_lt_i64_e64 s[28:29], s[12:13], 1
	v_and_b32_e32 v42, 0x3ff, v0
	s_mov_b64 s[8:9], 0
	s_and_b64 vcc, exec, s[28:29]
	s_cbranch_vccnz .LBB205_3
; %bb.1:
	v_lshl_add_u32 v0, v43, 4, v42
	v_and_b32_e32 v4, 3, v42
	v_and_b32_e32 v5, 63, v0
	s_add_u32 s16, s16, s10
	v_lshrrev_b32_e32 v1, 2, v0
	v_lshrrev_b32_e32 v6, 6, v0
	v_lshlrev_b32_e32 v0, 3, v5
	v_lshlrev_b32_e32 v4, 3, v4
	s_addc_u32 s17, s17, s11
	v_mov_b32_e32 v2, s7
	v_add_co_u32_e32 v3, vcc, s6, v1
	v_lshl_or_b32 v44, v6, 9, v0
	v_lshl_or_b32 v0, v1, 5, v4
	s_add_u32 s10, s22, s10
	v_addc_co_u32_e32 v2, vcc, 0, v2, vcc
	v_add_u32_e32 v45, 0x800, v0
	v_mov_b32_e32 v0, 0x800
	s_addc_u32 s11, s23, s11
	v_lshl_add_u32 v47, v43, 5, v0
	v_mul_lo_u32 v7, s25, v3
	v_mul_lo_u32 v2, s24, v2
	v_mad_u64_u32 v[0:1], s[22:23], s24, v3, 0
	v_add3_u32 v1, v1, v2, v7
	s_load_dwordx2 s[10:11], s[10:11], 0x0
	v_lshlrev_b64 v[0:1], 3, v[0:1]
	s_lshl_b64 s[22:23], s[26:27], 3
	v_mov_b32_e32 v2, s23
	v_add_co_u32_e32 v0, vcc, s22, v0
	v_addc_co_u32_e32 v1, vcc, v1, v2, vcc
	v_add_co_u32_e32 v0, vcc, v0, v4
	v_addc_co_u32_e32 v1, vcc, 0, v1, vcc
	s_waitcnt lgkmcnt(0)
	v_mov_b32_e32 v2, s11
	v_add_co_u32_e32 v32, vcc, s10, v0
	s_load_dwordx2 s[16:17], s[16:17], 0x0
	v_addc_co_u32_e32 v33, vcc, v2, v1, vcc
	v_pk_mov_b32 v[0:1], s[2:3], s[2:3] op_sel:[0,1]
	s_lshl_b64 s[10:11], s[20:21], 3
	v_mad_u64_u32 v[0:1], s[20:21], v6, s18, v[0:1]
	v_mov_b32_e32 v2, v1
	v_mad_u64_u32 v[2:3], s[20:21], v6, s19, v[2:3]
	v_mov_b32_e32 v1, v2
	v_add_co_u32_e32 v0, vcc, v0, v5
	v_addc_co_u32_e32 v1, vcc, 0, v1, vcc
	s_waitcnt lgkmcnt(0)
	s_add_u32 s10, s16, s10
	v_lshlrev_b64 v[0:1], 3, v[0:1]
	s_addc_u32 s11, s17, s11
	v_mov_b32_e32 v2, s11
	v_add_co_u32_e32 v34, vcc, s10, v0
	s_lshl_b64 s[10:11], s[18:19], 5
	v_lshlrev_b32_e32 v46, 3, v42
	v_addc_co_u32_e32 v35, vcc, v2, v1, vcc
	v_pk_mov_b32 v[0:1], 0, 0
	v_mov_b32_e32 v48, s11
	v_pk_mov_b32 v[36:37], s[12:13], s[12:13] op_sel:[0,1]
	v_pk_mov_b32 v[2:3], 0, 0
	v_pk_mov_b32 v[4:5], 0, 0
	;; [unrolled: 1-line block ×15, first 2 shown]
.LBB205_2:                              ; =>This Inner Loop Header: Depth=1
	global_load_dwordx2 v[38:39], v[34:35], off
	global_load_dwordx2 v[40:41], v[32:33], off
	v_add_co_u32_e32 v32, vcc, 32, v32
	v_addc_co_u32_e32 v33, vcc, 0, v33, vcc
	s_add_u32 s8, s8, 4
	v_add_co_u32_e32 v34, vcc, s10, v34
	v_addc_co_u32_e32 v35, vcc, v35, v48, vcc
	s_addc_u32 s9, s9, 0
	v_cmp_lt_i64_e32 vcc, s[8:9], v[36:37]
	s_and_b64 vcc, exec, vcc
	s_waitcnt vmcnt(1)
	ds_write_b64 v44, v[38:39]
	s_waitcnt vmcnt(0)
	ds_write_b64 v45, v[40:41]
	s_waitcnt lgkmcnt(0)
	s_barrier
	ds_read2_b64 v[38:41], v46 offset1:16
	ds_read_b128 v[50:53], v47
	ds_read_b128 v[54:57], v47 offset:16
	ds_read_b128 v[58:61], v47 offset:512
	;; [unrolled: 1-line block ×6, first 2 shown]
	s_waitcnt lgkmcnt(6)
	v_fmac_f64_e32 v[30:31], v[38:39], v[50:51]
	v_fmac_f64_e32 v[28:29], v[40:41], v[50:51]
	s_waitcnt lgkmcnt(4)
	v_fmac_f64_e32 v[22:23], v[38:39], v[58:59]
	v_fmac_f64_e32 v[20:21], v[40:41], v[58:59]
	;; [unrolled: 3-line block ×4, first 2 shown]
	ds_read2_b64 v[38:41], v46 offset0:32 offset1:48
	ds_read2_b64 v[82:85], v46 offset0:96 offset1:112
	ds_read_b128 v[78:81], v47 offset:1552
	s_waitcnt lgkmcnt(2)
	v_fmac_f64_e32 v[26:27], v[38:39], v[50:51]
	v_fmac_f64_e32 v[24:25], v[40:41], v[50:51]
	;; [unrolled: 1-line block ×8, first 2 shown]
	ds_read2_b64 v[38:41], v46 offset0:64 offset1:80
	s_waitcnt lgkmcnt(2)
	v_fmac_f64_e32 v[26:27], v[82:83], v[52:53]
	v_fmac_f64_e32 v[24:25], v[84:85], v[52:53]
	;; [unrolled: 1-line block ×4, first 2 shown]
	s_waitcnt lgkmcnt(0)
	v_fmac_f64_e32 v[30:31], v[38:39], v[52:53]
	v_fmac_f64_e32 v[28:29], v[40:41], v[52:53]
	;; [unrolled: 1-line block ×6, first 2 shown]
	ds_read2_b64 v[50:53], v46 offset0:128 offset1:144
	v_fmac_f64_e32 v[6:7], v[38:39], v[76:77]
	v_fmac_f64_e32 v[4:5], v[40:41], v[76:77]
	ds_read2_b64 v[38:41], v46 offset0:160 offset1:176
	v_fmac_f64_e32 v[10:11], v[82:83], v[68:69]
	v_fmac_f64_e32 v[8:9], v[84:85], v[68:69]
	ds_read2_b64 v[58:61], v46 offset0:192 offset1:208
	ds_read2_b64 v[66:69], v46 offset0:224 offset1:240
	v_fmac_f64_e32 v[2:3], v[82:83], v[76:77]
	v_fmac_f64_e32 v[0:1], v[84:85], v[76:77]
	s_waitcnt lgkmcnt(3)
	v_fmac_f64_e32 v[30:31], v[50:51], v[54:55]
	v_fmac_f64_e32 v[28:29], v[52:53], v[54:55]
	;; [unrolled: 1-line block ×8, first 2 shown]
	s_waitcnt lgkmcnt(2)
	v_fmac_f64_e32 v[26:27], v[38:39], v[54:55]
	v_fmac_f64_e32 v[24:25], v[40:41], v[54:55]
	;; [unrolled: 1-line block ×8, first 2 shown]
	s_waitcnt lgkmcnt(1)
	v_fmac_f64_e32 v[30:31], v[58:59], v[56:57]
	v_fmac_f64_e32 v[28:29], v[60:61], v[56:57]
	s_waitcnt lgkmcnt(0)
	v_fmac_f64_e32 v[26:27], v[66:67], v[56:57]
	v_fmac_f64_e32 v[24:25], v[68:69], v[56:57]
	;; [unrolled: 1-line block ×14, first 2 shown]
	s_barrier
	s_cbranch_vccnz .LBB205_2
	s_branch .LBB205_4
.LBB205_3:
	v_pk_mov_b32 v[30:31], 0, 0
	v_pk_mov_b32 v[28:29], 0, 0
	;; [unrolled: 1-line block ×16, first 2 shown]
.LBB205_4:
	v_mov_b32_e32 v32, s7
	v_add_co_u32_e32 v34, vcc, s6, v43
	v_addc_co_u32_e32 v37, vcc, 0, v32, vcc
	s_lshl_b64 s[8:9], s[48:49], 3
	v_mov_b32_e32 v33, s3
	v_add_co_u32_e32 v32, vcc, s2, v42
	s_waitcnt lgkmcnt(0)
	s_add_u32 s8, s4, s8
	v_cmp_neq_f64_e64 s[6:7], s[36:37], 0
	v_addc_co_u32_e32 v33, vcc, 0, v33, vcc
	s_addc_u32 s9, s5, s9
	s_mov_b64 s[4:5], 0
	s_and_b64 vcc, exec, s[6:7]
	v_mul_lo_u32 v35, v37, s46
	v_mul_lo_u32 v36, v34, s47
	v_lshlrev_b64 v[32:33], 3, v[32:33]
	s_cbranch_vccnz .LBB205_8
; %bb.5:
	v_mad_u64_u32 v[38:39], s[2:3], v34, s46, 0
	v_add3_u32 v39, v39, v36, v35
	v_lshlrev_b64 v[38:39], 3, v[38:39]
	v_mov_b32_e32 v40, s9
	v_add_co_u32_e32 v41, vcc, s8, v38
	v_addc_co_u32_e32 v42, vcc, v40, v39, vcc
	v_add_co_u32_e32 v40, vcc, v41, v32
	v_mul_f64 v[38:39], v[30:31], s[14:15]
	v_addc_co_u32_e32 v41, vcc, v42, v33, vcc
	global_store_dwordx2 v[40:41], v[38:39], off
	v_mul_f64 v[38:39], v[28:29], s[14:15]
	global_store_dwordx2 v[40:41], v[38:39], off offset:128
	v_mul_f64 v[38:39], v[26:27], s[14:15]
	global_store_dwordx2 v[40:41], v[38:39], off offset:256
	v_mul_f64 v[38:39], v[24:25], s[14:15]
	s_lshl_b64 s[2:3], s[46:47], 7
	global_store_dwordx2 v[40:41], v[38:39], off offset:384
	v_mov_b32_e32 v42, s3
	v_add_co_u32_e32 v40, vcc, s2, v40
	v_mul_f64 v[38:39], v[22:23], s[14:15]
	v_addc_co_u32_e32 v41, vcc, v41, v42, vcc
	global_store_dwordx2 v[40:41], v[38:39], off
	v_mul_f64 v[38:39], v[20:21], s[14:15]
	global_store_dwordx2 v[40:41], v[38:39], off offset:128
	v_mul_f64 v[38:39], v[18:19], s[14:15]
	global_store_dwordx2 v[40:41], v[38:39], off offset:256
	v_mul_f64 v[38:39], v[16:17], s[14:15]
	global_store_dwordx2 v[40:41], v[38:39], off offset:384
	v_add_co_u32_e32 v40, vcc, s2, v40
	v_mul_f64 v[38:39], v[14:15], s[14:15]
	v_addc_co_u32_e32 v41, vcc, v41, v42, vcc
	global_store_dwordx2 v[40:41], v[38:39], off
	v_mul_f64 v[38:39], v[12:13], s[14:15]
	global_store_dwordx2 v[40:41], v[38:39], off offset:128
	v_mul_f64 v[38:39], v[10:11], s[14:15]
	global_store_dwordx2 v[40:41], v[38:39], off offset:256
	v_mul_f64 v[38:39], v[8:9], s[14:15]
	global_store_dwordx2 v[40:41], v[38:39], off offset:384
	;; [unrolled: 10-line block ×3, first 2 shown]
	s_andn2_b64 vcc, exec, s[4:5]
	s_cbranch_vccnz .LBB205_7
.LBB205_6:
	s_lshl_b64 s[2:3], s[42:43], 3
	s_add_u32 s2, s0, s2
	s_addc_u32 s3, s1, s3
	v_mul_lo_u32 v37, v37, s40
	v_mul_lo_u32 v40, v34, s41
	v_mad_u64_u32 v[38:39], s[0:1], v34, s40, 0
	v_add3_u32 v39, v39, v40, v37
	v_lshlrev_b64 v[38:39], 3, v[38:39]
	v_mov_b32_e32 v37, s3
	v_add_co_u32_e32 v38, vcc, s2, v38
	v_addc_co_u32_e32 v37, vcc, v37, v39, vcc
	v_add_co_u32_e32 v38, vcc, v38, v32
	v_addc_co_u32_e32 v39, vcc, v37, v33, vcc
	global_load_dwordx2 v[40:41], v[38:39], off
	v_mad_u64_u32 v[42:43], s[0:1], v34, s46, 0
	v_add3_u32 v43, v43, v36, v35
	v_lshlrev_b64 v[34:35], 3, v[42:43]
	v_mov_b32_e32 v37, s9
	v_add_co_u32_e32 v34, vcc, s8, v34
	v_addc_co_u32_e32 v35, vcc, v37, v35, vcc
	v_add_co_u32_e32 v32, vcc, v34, v32
	v_addc_co_u32_e32 v33, vcc, v35, v33, vcc
	s_lshl_b64 s[0:1], s[40:41], 7
	s_lshl_b64 s[2:3], s[46:47], 7
	s_waitcnt vmcnt(0)
	v_mul_f64 v[34:35], v[40:41], s[36:37]
	v_fmac_f64_e32 v[34:35], s[14:15], v[30:31]
	global_store_dwordx2 v[32:33], v[34:35], off
	global_load_dwordx2 v[30:31], v[38:39], off offset:128
	s_waitcnt vmcnt(0)
	v_mul_f64 v[30:31], v[30:31], s[36:37]
	v_fmac_f64_e32 v[30:31], s[14:15], v[28:29]
	global_store_dwordx2 v[32:33], v[30:31], off offset:128
	global_load_dwordx2 v[28:29], v[38:39], off offset:256
	v_mov_b32_e32 v30, s1
	v_mov_b32_e32 v31, s3
	s_waitcnt vmcnt(0)
	v_mul_f64 v[28:29], v[28:29], s[36:37]
	v_fmac_f64_e32 v[28:29], s[14:15], v[26:27]
	global_store_dwordx2 v[32:33], v[28:29], off offset:256
	global_load_dwordx2 v[26:27], v[38:39], off offset:384
	v_add_co_u32_e32 v28, vcc, s0, v38
	v_addc_co_u32_e32 v29, vcc, v39, v30, vcc
	s_waitcnt vmcnt(0)
	v_mul_f64 v[26:27], v[26:27], s[36:37]
	v_fmac_f64_e32 v[26:27], s[14:15], v[24:25]
	global_store_dwordx2 v[32:33], v[26:27], off offset:384
	global_load_dwordx2 v[24:25], v[28:29], off
	v_add_co_u32_e32 v26, vcc, s2, v32
	v_addc_co_u32_e32 v27, vcc, v33, v31, vcc
	s_waitcnt vmcnt(0)
	v_mul_f64 v[24:25], v[24:25], s[36:37]
	v_fmac_f64_e32 v[24:25], s[14:15], v[22:23]
	global_store_dwordx2 v[26:27], v[24:25], off
	global_load_dwordx2 v[22:23], v[28:29], off offset:128
	s_waitcnt vmcnt(0)
	v_mul_f64 v[22:23], v[22:23], s[36:37]
	v_fmac_f64_e32 v[22:23], s[14:15], v[20:21]
	global_store_dwordx2 v[26:27], v[22:23], off offset:128
	global_load_dwordx2 v[20:21], v[28:29], off offset:256
	s_waitcnt vmcnt(0)
	v_mul_f64 v[20:21], v[20:21], s[36:37]
	v_fmac_f64_e32 v[20:21], s[14:15], v[18:19]
	global_store_dwordx2 v[26:27], v[20:21], off offset:256
	global_load_dwordx2 v[18:19], v[28:29], off offset:384
	v_add_co_u32_e32 v20, vcc, s0, v28
	v_addc_co_u32_e32 v21, vcc, v29, v30, vcc
	s_waitcnt vmcnt(0)
	v_mul_f64 v[18:19], v[18:19], s[36:37]
	v_fmac_f64_e32 v[18:19], s[14:15], v[16:17]
	global_store_dwordx2 v[26:27], v[18:19], off offset:384
	global_load_dwordx2 v[16:17], v[20:21], off
	v_add_co_u32_e32 v18, vcc, s2, v26
	v_addc_co_u32_e32 v19, vcc, v27, v31, vcc
	s_waitcnt vmcnt(0)
	v_mul_f64 v[16:17], v[16:17], s[36:37]
	v_fmac_f64_e32 v[16:17], s[14:15], v[14:15]
	global_store_dwordx2 v[18:19], v[16:17], off
	global_load_dwordx2 v[14:15], v[20:21], off offset:128
	s_waitcnt vmcnt(0)
	v_mul_f64 v[14:15], v[14:15], s[36:37]
	v_fmac_f64_e32 v[14:15], s[14:15], v[12:13]
	global_store_dwordx2 v[18:19], v[14:15], off offset:128
	global_load_dwordx2 v[12:13], v[20:21], off offset:256
	s_waitcnt vmcnt(0)
	v_mul_f64 v[12:13], v[12:13], s[36:37]
	v_fmac_f64_e32 v[12:13], s[14:15], v[10:11]
	global_store_dwordx2 v[18:19], v[12:13], off offset:256
	global_load_dwordx2 v[10:11], v[20:21], off offset:384
	v_add_co_u32_e32 v12, vcc, s0, v20
	v_addc_co_u32_e32 v13, vcc, v21, v30, vcc
	s_waitcnt vmcnt(0)
	v_mul_f64 v[10:11], v[10:11], s[36:37]
	v_fmac_f64_e32 v[10:11], s[14:15], v[8:9]
	global_store_dwordx2 v[18:19], v[10:11], off offset:384
	global_load_dwordx2 v[8:9], v[12:13], off
	s_waitcnt vmcnt(0)
	v_mul_f64 v[8:9], v[8:9], s[36:37]
	v_fmac_f64_e32 v[8:9], s[14:15], v[6:7]
	v_add_co_u32_e32 v6, vcc, s2, v18
	v_addc_co_u32_e32 v7, vcc, v19, v31, vcc
	global_store_dwordx2 v[6:7], v[8:9], off
	global_load_dwordx2 v[8:9], v[12:13], off offset:128
	s_waitcnt vmcnt(0)
	v_mul_f64 v[8:9], v[8:9], s[36:37]
	v_fmac_f64_e32 v[8:9], s[14:15], v[4:5]
	global_store_dwordx2 v[6:7], v[8:9], off offset:128
	global_load_dwordx2 v[4:5], v[12:13], off offset:256
	s_waitcnt vmcnt(0)
	v_mul_f64 v[4:5], v[4:5], s[36:37]
	v_fmac_f64_e32 v[4:5], s[14:15], v[2:3]
	global_store_dwordx2 v[6:7], v[4:5], off offset:256
	;; [unrolled: 5-line block ×3, first 2 shown]
.LBB205_7:
	s_endpgm
.LBB205_8:
	s_branch .LBB205_6
	.section	.rodata,"a",@progbits
	.p2align	6, 0x0
	.amdhsa_kernel _ZN12_GLOBAL__N_127rocblas_gemm_batched_kernelIdLi16ELi16ELi64ELi64ELi4ELi64ELi4ELi4ELi64ELc78ELc78EKPKdS3_KPdEEvlllT_PT11_llS8_llS6_PT12_llPT13_lli
		.amdhsa_group_segment_fixed_size 4096
		.amdhsa_private_segment_fixed_size 0
		.amdhsa_kernarg_size 140
		.amdhsa_user_sgpr_count 6
		.amdhsa_user_sgpr_private_segment_buffer 1
		.amdhsa_user_sgpr_dispatch_ptr 0
		.amdhsa_user_sgpr_queue_ptr 0
		.amdhsa_user_sgpr_kernarg_segment_ptr 1
		.amdhsa_user_sgpr_dispatch_id 0
		.amdhsa_user_sgpr_flat_scratch_init 0
		.amdhsa_user_sgpr_kernarg_preload_length 0
		.amdhsa_user_sgpr_kernarg_preload_offset 0
		.amdhsa_user_sgpr_private_segment_size 0
		.amdhsa_uses_dynamic_stack 0
		.amdhsa_system_sgpr_private_segment_wavefront_offset 0
		.amdhsa_system_sgpr_workgroup_id_x 1
		.amdhsa_system_sgpr_workgroup_id_y 1
		.amdhsa_system_sgpr_workgroup_id_z 1
		.amdhsa_system_sgpr_workgroup_info 0
		.amdhsa_system_vgpr_workitem_id 1
		.amdhsa_next_free_vgpr 86
		.amdhsa_next_free_sgpr 52
		.amdhsa_accum_offset 88
		.amdhsa_reserve_vcc 1
		.amdhsa_reserve_flat_scratch 0
		.amdhsa_float_round_mode_32 0
		.amdhsa_float_round_mode_16_64 0
		.amdhsa_float_denorm_mode_32 3
		.amdhsa_float_denorm_mode_16_64 3
		.amdhsa_dx10_clamp 1
		.amdhsa_ieee_mode 1
		.amdhsa_fp16_overflow 0
		.amdhsa_tg_split 0
		.amdhsa_exception_fp_ieee_invalid_op 0
		.amdhsa_exception_fp_denorm_src 0
		.amdhsa_exception_fp_ieee_div_zero 0
		.amdhsa_exception_fp_ieee_overflow 0
		.amdhsa_exception_fp_ieee_underflow 0
		.amdhsa_exception_fp_ieee_inexact 0
		.amdhsa_exception_int_div_zero 0
	.end_amdhsa_kernel
	.section	.text._ZN12_GLOBAL__N_127rocblas_gemm_batched_kernelIdLi16ELi16ELi64ELi64ELi4ELi64ELi4ELi4ELi64ELc78ELc78EKPKdS3_KPdEEvlllT_PT11_llS8_llS6_PT12_llPT13_lli,"axG",@progbits,_ZN12_GLOBAL__N_127rocblas_gemm_batched_kernelIdLi16ELi16ELi64ELi64ELi4ELi64ELi4ELi4ELi64ELc78ELc78EKPKdS3_KPdEEvlllT_PT11_llS8_llS6_PT12_llPT13_lli,comdat
.Lfunc_end205:
	.size	_ZN12_GLOBAL__N_127rocblas_gemm_batched_kernelIdLi16ELi16ELi64ELi64ELi4ELi64ELi4ELi4ELi64ELc78ELc78EKPKdS3_KPdEEvlllT_PT11_llS8_llS6_PT12_llPT13_lli, .Lfunc_end205-_ZN12_GLOBAL__N_127rocblas_gemm_batched_kernelIdLi16ELi16ELi64ELi64ELi4ELi64ELi4ELi4ELi64ELc78ELc78EKPKdS3_KPdEEvlllT_PT11_llS8_llS6_PT12_llPT13_lli
                                        ; -- End function
	.section	.AMDGPU.csdata,"",@progbits
; Kernel info:
; codeLenInByte = 2316
; NumSgprs: 56
; NumVgprs: 86
; NumAgprs: 0
; TotalNumVgprs: 86
; ScratchSize: 0
; MemoryBound: 0
; FloatMode: 240
; IeeeMode: 1
; LDSByteSize: 4096 bytes/workgroup (compile time only)
; SGPRBlocks: 6
; VGPRBlocks: 10
; NumSGPRsForWavesPerEU: 56
; NumVGPRsForWavesPerEU: 86
; AccumOffset: 88
; Occupancy: 5
; WaveLimiterHint : 1
; COMPUTE_PGM_RSRC2:SCRATCH_EN: 0
; COMPUTE_PGM_RSRC2:USER_SGPR: 6
; COMPUTE_PGM_RSRC2:TRAP_HANDLER: 0
; COMPUTE_PGM_RSRC2:TGID_X_EN: 1
; COMPUTE_PGM_RSRC2:TGID_Y_EN: 1
; COMPUTE_PGM_RSRC2:TGID_Z_EN: 1
; COMPUTE_PGM_RSRC2:TIDIG_COMP_CNT: 1
; COMPUTE_PGM_RSRC3_GFX90A:ACCUM_OFFSET: 21
; COMPUTE_PGM_RSRC3_GFX90A:TG_SPLIT: 0
	.section	.text._ZN12_GLOBAL__N_127rocblas_gemm_batched_kernelIdLi16ELi16ELi64ELi64ELi4ELi64ELi4ELi4ELi64ELc84ELc78EKPKdS3_KPdEEvlllT_PT11_llS8_llS6_PT12_llPT13_lli,"axG",@progbits,_ZN12_GLOBAL__N_127rocblas_gemm_batched_kernelIdLi16ELi16ELi64ELi64ELi4ELi64ELi4ELi4ELi64ELc84ELc78EKPKdS3_KPdEEvlllT_PT11_llS8_llS6_PT12_llPT13_lli,comdat
	.globl	_ZN12_GLOBAL__N_127rocblas_gemm_batched_kernelIdLi16ELi16ELi64ELi64ELi4ELi64ELi4ELi4ELi64ELc84ELc78EKPKdS3_KPdEEvlllT_PT11_llS8_llS6_PT12_llPT13_lli ; -- Begin function _ZN12_GLOBAL__N_127rocblas_gemm_batched_kernelIdLi16ELi16ELi64ELi64ELi4ELi64ELi4ELi4ELi64ELc84ELc78EKPKdS3_KPdEEvlllT_PT11_llS8_llS6_PT12_llPT13_lli
	.p2align	8
	.type	_ZN12_GLOBAL__N_127rocblas_gemm_batched_kernelIdLi16ELi16ELi64ELi64ELi4ELi64ELi4ELi4ELi64ELc84ELc78EKPKdS3_KPdEEvlllT_PT11_llS8_llS6_PT12_llPT13_lli,@function
_ZN12_GLOBAL__N_127rocblas_gemm_batched_kernelIdLi16ELi16ELi64ELi64ELi4ELi64ELi4ELi4ELi64ELc84ELc78EKPKdS3_KPdEEvlllT_PT11_llS8_llS6_PT12_llPT13_lli: ; @_ZN12_GLOBAL__N_127rocblas_gemm_batched_kernelIdLi16ELi16ELi64ELi64ELi4ELi64ELi4ELi4ELi64ELc84ELc78EKPKdS3_KPdEEvlllT_PT11_llS8_llS6_PT12_llPT13_lli
; %bb.0:
	s_load_dwordx16 s[12:27], s[4:5], 0x10
	s_load_dwordx8 s[44:51], s[4:5], 0x70
	s_load_dwordx8 s[36:43], s[4:5], 0x50
	s_mov_b32 s9, 0
	s_lshl_b64 s[10:11], s[8:9], 3
	s_mov_b32 s28, s7
	v_bfe_u32 v39, v0, 10, 10
	s_waitcnt lgkmcnt(0)
	s_add_u32 s0, s38, s10
	s_addc_u32 s1, s39, s11
	s_add_u32 s2, s44, s10
	s_addc_u32 s3, s45, s11
	s_load_dwordx2 s[0:1], s[0:1], 0x0
	s_ashr_i32 s7, s6, 31
	s_load_dwordx2 s[4:5], s[2:3], 0x0
	s_ashr_i32 s29, s28, 31
	s_lshl_b64 s[2:3], s[6:7], 6
	s_lshl_b64 s[6:7], s[28:29], 6
	v_cmp_lt_i64_e64 s[28:29], s[12:13], 1
	v_and_b32_e32 v38, 0x3ff, v0
	s_mov_b64 s[8:9], 0
	s_and_b64 vcc, exec, s[28:29]
	s_cbranch_vccnz .LBB206_3
; %bb.1:
	v_lshl_add_u32 v0, v39, 4, v38
	v_and_b32_e32 v4, 3, v38
	v_and_b32_e32 v5, 63, v0
	s_add_u32 s16, s16, s10
	v_lshrrev_b32_e32 v1, 2, v0
	v_lshrrev_b32_e32 v6, 6, v0
	v_lshlrev_b32_e32 v0, 3, v5
	v_lshlrev_b32_e32 v4, 3, v4
	s_addc_u32 s17, s17, s11
	v_mov_b32_e32 v2, s7
	v_add_co_u32_e32 v3, vcc, s6, v1
	v_lshl_or_b32 v40, v6, 9, v0
	v_lshl_or_b32 v0, v1, 5, v4
	s_add_u32 s10, s22, s10
	v_addc_co_u32_e32 v2, vcc, 0, v2, vcc
	v_add_u32_e32 v41, 0x800, v0
	v_mov_b32_e32 v0, 0x800
	s_addc_u32 s11, s23, s11
	v_lshl_add_u32 v43, v39, 5, v0
	v_mul_lo_u32 v7, s25, v3
	v_mul_lo_u32 v2, s24, v2
	v_mad_u64_u32 v[0:1], s[22:23], s24, v3, 0
	v_add3_u32 v1, v1, v2, v7
	s_load_dwordx2 s[10:11], s[10:11], 0x0
	v_lshlrev_b64 v[0:1], 3, v[0:1]
	s_lshl_b64 s[22:23], s[26:27], 3
	v_mov_b32_e32 v2, s23
	v_add_co_u32_e32 v0, vcc, s22, v0
	v_addc_co_u32_e32 v1, vcc, v1, v2, vcc
	v_add_co_u32_e32 v0, vcc, v0, v4
	v_addc_co_u32_e32 v1, vcc, 0, v1, vcc
	s_waitcnt lgkmcnt(0)
	v_mov_b32_e32 v2, s11
	v_add_co_u32_e32 v32, vcc, s10, v0
	v_addc_co_u32_e32 v33, vcc, v2, v1, vcc
	v_mov_b32_e32 v0, s3
	v_add_co_u32_e32 v1, vcc, s2, v5
	v_addc_co_u32_e32 v0, vcc, 0, v0, vcc
	v_mul_lo_u32 v2, s19, v1
	v_mul_lo_u32 v3, s18, v0
	v_mad_u64_u32 v[0:1], s[10:11], s18, v1, 0
	v_add3_u32 v1, v1, v3, v2
	s_load_dwordx2 s[16:17], s[16:17], 0x0
	v_lshlrev_b64 v[0:1], 3, v[0:1]
	s_lshl_b64 s[10:11], s[20:21], 3
	v_mov_b32_e32 v2, s11
	v_add_co_u32_e32 v0, vcc, s10, v0
	v_addc_co_u32_e32 v1, vcc, v1, v2, vcc
	v_lshlrev_b32_e32 v2, 3, v6
	v_add_co_u32_e32 v0, vcc, v0, v2
	v_addc_co_u32_e32 v1, vcc, 0, v1, vcc
	s_waitcnt lgkmcnt(0)
	v_mov_b32_e32 v2, s17
	v_add_co_u32_e32 v34, vcc, s16, v0
	v_lshlrev_b32_e32 v42, 3, v38
	v_addc_co_u32_e32 v35, vcc, v2, v1, vcc
	v_pk_mov_b32 v[0:1], 0, 0
	v_pk_mov_b32 v[36:37], s[12:13], s[12:13] op_sel:[0,1]
	v_pk_mov_b32 v[2:3], 0, 0
	v_pk_mov_b32 v[4:5], 0, 0
	v_pk_mov_b32 v[6:7], 0, 0
	v_pk_mov_b32 v[8:9], 0, 0
	v_pk_mov_b32 v[10:11], 0, 0
	v_pk_mov_b32 v[12:13], 0, 0
	v_pk_mov_b32 v[14:15], 0, 0
	v_pk_mov_b32 v[16:17], 0, 0
	v_pk_mov_b32 v[18:19], 0, 0
	v_pk_mov_b32 v[20:21], 0, 0
	v_pk_mov_b32 v[22:23], 0, 0
	v_pk_mov_b32 v[24:25], 0, 0
	v_pk_mov_b32 v[26:27], 0, 0
	v_pk_mov_b32 v[28:29], 0, 0
	v_pk_mov_b32 v[30:31], 0, 0
.LBB206_2:                              ; =>This Inner Loop Header: Depth=1
	global_load_dwordx2 v[44:45], v[34:35], off
	global_load_dwordx2 v[46:47], v[32:33], off
	v_add_co_u32_e32 v32, vcc, 32, v32
	v_addc_co_u32_e32 v33, vcc, 0, v33, vcc
	s_add_u32 s8, s8, 4
	v_add_co_u32_e32 v34, vcc, 32, v34
	v_addc_co_u32_e32 v35, vcc, 0, v35, vcc
	s_addc_u32 s9, s9, 0
	v_cmp_lt_i64_e32 vcc, s[8:9], v[36:37]
	s_and_b64 vcc, exec, vcc
	s_waitcnt vmcnt(1)
	ds_write_b64 v40, v[44:45]
	s_waitcnt vmcnt(0)
	ds_write_b64 v41, v[46:47]
	s_waitcnt lgkmcnt(0)
	s_barrier
	ds_read2_b64 v[44:47], v42 offset1:16
	ds_read_b128 v[48:51], v43
	ds_read_b128 v[52:55], v43 offset:16
	ds_read_b128 v[56:59], v43 offset:512
	ds_read_b128 v[60:63], v43 offset:528
	ds_read_b128 v[64:67], v43 offset:1024
	ds_read_b128 v[68:71], v43 offset:1040
	ds_read_b128 v[72:75], v43 offset:1536
	ds_read_b128 v[76:79], v43 offset:1552
	s_waitcnt lgkmcnt(7)
	v_fmac_f64_e32 v[30:31], v[44:45], v[48:49]
	v_fmac_f64_e32 v[28:29], v[46:47], v[48:49]
	s_waitcnt lgkmcnt(5)
	v_fmac_f64_e32 v[22:23], v[44:45], v[56:57]
	v_fmac_f64_e32 v[20:21], v[46:47], v[56:57]
	;; [unrolled: 3-line block ×4, first 2 shown]
	ds_read2_b64 v[44:47], v42 offset0:32 offset1:48
	ds_read2_b64 v[80:83], v42 offset0:96 offset1:112
	s_waitcnt lgkmcnt(1)
	v_fmac_f64_e32 v[26:27], v[44:45], v[48:49]
	v_fmac_f64_e32 v[24:25], v[46:47], v[48:49]
	;; [unrolled: 1-line block ×8, first 2 shown]
	ds_read2_b64 v[44:47], v42 offset0:64 offset1:80
	s_waitcnt lgkmcnt(1)
	v_fmac_f64_e32 v[26:27], v[80:81], v[50:51]
	v_fmac_f64_e32 v[24:25], v[82:83], v[50:51]
	;; [unrolled: 1-line block ×4, first 2 shown]
	s_waitcnt lgkmcnt(0)
	v_fmac_f64_e32 v[30:31], v[44:45], v[50:51]
	v_fmac_f64_e32 v[28:29], v[46:47], v[50:51]
	;; [unrolled: 1-line block ×8, first 2 shown]
	ds_read2_b64 v[44:47], v42 offset0:128 offset1:144
	ds_read2_b64 v[48:51], v42 offset0:160 offset1:176
	v_fmac_f64_e32 v[10:11], v[80:81], v[66:67]
	v_fmac_f64_e32 v[8:9], v[82:83], v[66:67]
	;; [unrolled: 1-line block ×4, first 2 shown]
	s_waitcnt lgkmcnt(1)
	v_fmac_f64_e32 v[30:31], v[44:45], v[52:53]
	v_fmac_f64_e32 v[28:29], v[46:47], v[52:53]
	;; [unrolled: 1-line block ×8, first 2 shown]
	ds_read2_b64 v[44:47], v42 offset0:192 offset1:208
	s_waitcnt lgkmcnt(1)
	v_fmac_f64_e32 v[26:27], v[48:49], v[52:53]
	v_fmac_f64_e32 v[24:25], v[50:51], v[52:53]
	;; [unrolled: 1-line block ×8, first 2 shown]
	ds_read2_b64 v[48:51], v42 offset0:224 offset1:240
	s_waitcnt lgkmcnt(1)
	v_fmac_f64_e32 v[30:31], v[44:45], v[54:55]
	v_fmac_f64_e32 v[28:29], v[46:47], v[54:55]
	;; [unrolled: 1-line block ×4, first 2 shown]
	s_waitcnt lgkmcnt(0)
	v_fmac_f64_e32 v[26:27], v[48:49], v[54:55]
	v_fmac_f64_e32 v[24:25], v[50:51], v[54:55]
	;; [unrolled: 1-line block ×12, first 2 shown]
	s_barrier
	s_cbranch_vccnz .LBB206_2
	s_branch .LBB206_4
.LBB206_3:
	v_pk_mov_b32 v[30:31], 0, 0
	v_pk_mov_b32 v[28:29], 0, 0
	;; [unrolled: 1-line block ×16, first 2 shown]
.LBB206_4:
	v_mov_b32_e32 v32, s7
	v_add_co_u32_e32 v34, vcc, s6, v39
	v_addc_co_u32_e32 v37, vcc, 0, v32, vcc
	s_lshl_b64 s[8:9], s[48:49], 3
	v_mov_b32_e32 v33, s3
	v_add_co_u32_e32 v32, vcc, s2, v38
	s_waitcnt lgkmcnt(0)
	s_add_u32 s8, s4, s8
	v_cmp_neq_f64_e64 s[6:7], s[36:37], 0
	v_addc_co_u32_e32 v33, vcc, 0, v33, vcc
	s_addc_u32 s9, s5, s9
	s_mov_b64 s[4:5], 0
	s_and_b64 vcc, exec, s[6:7]
	v_mul_lo_u32 v35, v37, s46
	v_mul_lo_u32 v36, v34, s47
	v_lshlrev_b64 v[32:33], 3, v[32:33]
	s_cbranch_vccnz .LBB206_8
; %bb.5:
	v_mad_u64_u32 v[38:39], s[2:3], v34, s46, 0
	v_add3_u32 v39, v39, v36, v35
	v_lshlrev_b64 v[38:39], 3, v[38:39]
	v_mov_b32_e32 v40, s9
	v_add_co_u32_e32 v41, vcc, s8, v38
	v_addc_co_u32_e32 v42, vcc, v40, v39, vcc
	v_add_co_u32_e32 v40, vcc, v41, v32
	v_mul_f64 v[38:39], v[30:31], s[14:15]
	v_addc_co_u32_e32 v41, vcc, v42, v33, vcc
	global_store_dwordx2 v[40:41], v[38:39], off
	v_mul_f64 v[38:39], v[28:29], s[14:15]
	global_store_dwordx2 v[40:41], v[38:39], off offset:128
	v_mul_f64 v[38:39], v[26:27], s[14:15]
	global_store_dwordx2 v[40:41], v[38:39], off offset:256
	v_mul_f64 v[38:39], v[24:25], s[14:15]
	s_lshl_b64 s[2:3], s[46:47], 7
	global_store_dwordx2 v[40:41], v[38:39], off offset:384
	v_mov_b32_e32 v42, s3
	v_add_co_u32_e32 v40, vcc, s2, v40
	v_mul_f64 v[38:39], v[22:23], s[14:15]
	v_addc_co_u32_e32 v41, vcc, v41, v42, vcc
	global_store_dwordx2 v[40:41], v[38:39], off
	v_mul_f64 v[38:39], v[20:21], s[14:15]
	global_store_dwordx2 v[40:41], v[38:39], off offset:128
	v_mul_f64 v[38:39], v[18:19], s[14:15]
	global_store_dwordx2 v[40:41], v[38:39], off offset:256
	v_mul_f64 v[38:39], v[16:17], s[14:15]
	global_store_dwordx2 v[40:41], v[38:39], off offset:384
	v_add_co_u32_e32 v40, vcc, s2, v40
	v_mul_f64 v[38:39], v[14:15], s[14:15]
	v_addc_co_u32_e32 v41, vcc, v41, v42, vcc
	global_store_dwordx2 v[40:41], v[38:39], off
	v_mul_f64 v[38:39], v[12:13], s[14:15]
	global_store_dwordx2 v[40:41], v[38:39], off offset:128
	v_mul_f64 v[38:39], v[10:11], s[14:15]
	global_store_dwordx2 v[40:41], v[38:39], off offset:256
	v_mul_f64 v[38:39], v[8:9], s[14:15]
	global_store_dwordx2 v[40:41], v[38:39], off offset:384
	;; [unrolled: 10-line block ×3, first 2 shown]
	s_andn2_b64 vcc, exec, s[4:5]
	s_cbranch_vccnz .LBB206_7
.LBB206_6:
	s_lshl_b64 s[2:3], s[42:43], 3
	s_add_u32 s2, s0, s2
	s_addc_u32 s3, s1, s3
	v_mul_lo_u32 v37, v37, s40
	v_mul_lo_u32 v40, v34, s41
	v_mad_u64_u32 v[38:39], s[0:1], v34, s40, 0
	v_add3_u32 v39, v39, v40, v37
	v_lshlrev_b64 v[38:39], 3, v[38:39]
	v_mov_b32_e32 v37, s3
	v_add_co_u32_e32 v38, vcc, s2, v38
	v_addc_co_u32_e32 v37, vcc, v37, v39, vcc
	v_add_co_u32_e32 v38, vcc, v38, v32
	v_addc_co_u32_e32 v39, vcc, v37, v33, vcc
	global_load_dwordx2 v[40:41], v[38:39], off
	v_mad_u64_u32 v[42:43], s[0:1], v34, s46, 0
	v_add3_u32 v43, v43, v36, v35
	v_lshlrev_b64 v[34:35], 3, v[42:43]
	v_mov_b32_e32 v37, s9
	v_add_co_u32_e32 v34, vcc, s8, v34
	v_addc_co_u32_e32 v35, vcc, v37, v35, vcc
	v_add_co_u32_e32 v32, vcc, v34, v32
	v_addc_co_u32_e32 v33, vcc, v35, v33, vcc
	s_lshl_b64 s[0:1], s[40:41], 7
	s_lshl_b64 s[2:3], s[46:47], 7
	s_waitcnt vmcnt(0)
	v_mul_f64 v[34:35], v[40:41], s[36:37]
	v_fmac_f64_e32 v[34:35], s[14:15], v[30:31]
	global_store_dwordx2 v[32:33], v[34:35], off
	global_load_dwordx2 v[30:31], v[38:39], off offset:128
	s_waitcnt vmcnt(0)
	v_mul_f64 v[30:31], v[30:31], s[36:37]
	v_fmac_f64_e32 v[30:31], s[14:15], v[28:29]
	global_store_dwordx2 v[32:33], v[30:31], off offset:128
	global_load_dwordx2 v[28:29], v[38:39], off offset:256
	v_mov_b32_e32 v30, s1
	v_mov_b32_e32 v31, s3
	s_waitcnt vmcnt(0)
	v_mul_f64 v[28:29], v[28:29], s[36:37]
	v_fmac_f64_e32 v[28:29], s[14:15], v[26:27]
	global_store_dwordx2 v[32:33], v[28:29], off offset:256
	global_load_dwordx2 v[26:27], v[38:39], off offset:384
	v_add_co_u32_e32 v28, vcc, s0, v38
	v_addc_co_u32_e32 v29, vcc, v39, v30, vcc
	s_waitcnt vmcnt(0)
	v_mul_f64 v[26:27], v[26:27], s[36:37]
	v_fmac_f64_e32 v[26:27], s[14:15], v[24:25]
	global_store_dwordx2 v[32:33], v[26:27], off offset:384
	global_load_dwordx2 v[24:25], v[28:29], off
	v_add_co_u32_e32 v26, vcc, s2, v32
	v_addc_co_u32_e32 v27, vcc, v33, v31, vcc
	s_waitcnt vmcnt(0)
	v_mul_f64 v[24:25], v[24:25], s[36:37]
	v_fmac_f64_e32 v[24:25], s[14:15], v[22:23]
	global_store_dwordx2 v[26:27], v[24:25], off
	global_load_dwordx2 v[22:23], v[28:29], off offset:128
	s_waitcnt vmcnt(0)
	v_mul_f64 v[22:23], v[22:23], s[36:37]
	v_fmac_f64_e32 v[22:23], s[14:15], v[20:21]
	global_store_dwordx2 v[26:27], v[22:23], off offset:128
	global_load_dwordx2 v[20:21], v[28:29], off offset:256
	s_waitcnt vmcnt(0)
	v_mul_f64 v[20:21], v[20:21], s[36:37]
	v_fmac_f64_e32 v[20:21], s[14:15], v[18:19]
	global_store_dwordx2 v[26:27], v[20:21], off offset:256
	global_load_dwordx2 v[18:19], v[28:29], off offset:384
	v_add_co_u32_e32 v20, vcc, s0, v28
	v_addc_co_u32_e32 v21, vcc, v29, v30, vcc
	s_waitcnt vmcnt(0)
	v_mul_f64 v[18:19], v[18:19], s[36:37]
	v_fmac_f64_e32 v[18:19], s[14:15], v[16:17]
	global_store_dwordx2 v[26:27], v[18:19], off offset:384
	global_load_dwordx2 v[16:17], v[20:21], off
	v_add_co_u32_e32 v18, vcc, s2, v26
	v_addc_co_u32_e32 v19, vcc, v27, v31, vcc
	s_waitcnt vmcnt(0)
	v_mul_f64 v[16:17], v[16:17], s[36:37]
	v_fmac_f64_e32 v[16:17], s[14:15], v[14:15]
	global_store_dwordx2 v[18:19], v[16:17], off
	global_load_dwordx2 v[14:15], v[20:21], off offset:128
	s_waitcnt vmcnt(0)
	v_mul_f64 v[14:15], v[14:15], s[36:37]
	v_fmac_f64_e32 v[14:15], s[14:15], v[12:13]
	global_store_dwordx2 v[18:19], v[14:15], off offset:128
	global_load_dwordx2 v[12:13], v[20:21], off offset:256
	s_waitcnt vmcnt(0)
	v_mul_f64 v[12:13], v[12:13], s[36:37]
	v_fmac_f64_e32 v[12:13], s[14:15], v[10:11]
	global_store_dwordx2 v[18:19], v[12:13], off offset:256
	global_load_dwordx2 v[10:11], v[20:21], off offset:384
	v_add_co_u32_e32 v12, vcc, s0, v20
	v_addc_co_u32_e32 v13, vcc, v21, v30, vcc
	s_waitcnt vmcnt(0)
	v_mul_f64 v[10:11], v[10:11], s[36:37]
	v_fmac_f64_e32 v[10:11], s[14:15], v[8:9]
	global_store_dwordx2 v[18:19], v[10:11], off offset:384
	global_load_dwordx2 v[8:9], v[12:13], off
	s_waitcnt vmcnt(0)
	v_mul_f64 v[8:9], v[8:9], s[36:37]
	v_fmac_f64_e32 v[8:9], s[14:15], v[6:7]
	v_add_co_u32_e32 v6, vcc, s2, v18
	v_addc_co_u32_e32 v7, vcc, v19, v31, vcc
	global_store_dwordx2 v[6:7], v[8:9], off
	global_load_dwordx2 v[8:9], v[12:13], off offset:128
	s_waitcnt vmcnt(0)
	v_mul_f64 v[8:9], v[8:9], s[36:37]
	v_fmac_f64_e32 v[8:9], s[14:15], v[4:5]
	global_store_dwordx2 v[6:7], v[8:9], off offset:128
	global_load_dwordx2 v[4:5], v[12:13], off offset:256
	s_waitcnt vmcnt(0)
	v_mul_f64 v[4:5], v[4:5], s[36:37]
	v_fmac_f64_e32 v[4:5], s[14:15], v[2:3]
	global_store_dwordx2 v[6:7], v[4:5], off offset:256
	;; [unrolled: 5-line block ×3, first 2 shown]
.LBB206_7:
	s_endpgm
.LBB206_8:
	s_branch .LBB206_6
	.section	.rodata,"a",@progbits
	.p2align	6, 0x0
	.amdhsa_kernel _ZN12_GLOBAL__N_127rocblas_gemm_batched_kernelIdLi16ELi16ELi64ELi64ELi4ELi64ELi4ELi4ELi64ELc84ELc78EKPKdS3_KPdEEvlllT_PT11_llS8_llS6_PT12_llPT13_lli
		.amdhsa_group_segment_fixed_size 4096
		.amdhsa_private_segment_fixed_size 0
		.amdhsa_kernarg_size 140
		.amdhsa_user_sgpr_count 6
		.amdhsa_user_sgpr_private_segment_buffer 1
		.amdhsa_user_sgpr_dispatch_ptr 0
		.amdhsa_user_sgpr_queue_ptr 0
		.amdhsa_user_sgpr_kernarg_segment_ptr 1
		.amdhsa_user_sgpr_dispatch_id 0
		.amdhsa_user_sgpr_flat_scratch_init 0
		.amdhsa_user_sgpr_kernarg_preload_length 0
		.amdhsa_user_sgpr_kernarg_preload_offset 0
		.amdhsa_user_sgpr_private_segment_size 0
		.amdhsa_uses_dynamic_stack 0
		.amdhsa_system_sgpr_private_segment_wavefront_offset 0
		.amdhsa_system_sgpr_workgroup_id_x 1
		.amdhsa_system_sgpr_workgroup_id_y 1
		.amdhsa_system_sgpr_workgroup_id_z 1
		.amdhsa_system_sgpr_workgroup_info 0
		.amdhsa_system_vgpr_workitem_id 1
		.amdhsa_next_free_vgpr 84
		.amdhsa_next_free_sgpr 52
		.amdhsa_accum_offset 84
		.amdhsa_reserve_vcc 1
		.amdhsa_reserve_flat_scratch 0
		.amdhsa_float_round_mode_32 0
		.amdhsa_float_round_mode_16_64 0
		.amdhsa_float_denorm_mode_32 3
		.amdhsa_float_denorm_mode_16_64 3
		.amdhsa_dx10_clamp 1
		.amdhsa_ieee_mode 1
		.amdhsa_fp16_overflow 0
		.amdhsa_tg_split 0
		.amdhsa_exception_fp_ieee_invalid_op 0
		.amdhsa_exception_fp_denorm_src 0
		.amdhsa_exception_fp_ieee_div_zero 0
		.amdhsa_exception_fp_ieee_overflow 0
		.amdhsa_exception_fp_ieee_underflow 0
		.amdhsa_exception_fp_ieee_inexact 0
		.amdhsa_exception_int_div_zero 0
	.end_amdhsa_kernel
	.section	.text._ZN12_GLOBAL__N_127rocblas_gemm_batched_kernelIdLi16ELi16ELi64ELi64ELi4ELi64ELi4ELi4ELi64ELc84ELc78EKPKdS3_KPdEEvlllT_PT11_llS8_llS6_PT12_llPT13_lli,"axG",@progbits,_ZN12_GLOBAL__N_127rocblas_gemm_batched_kernelIdLi16ELi16ELi64ELi64ELi4ELi64ELi4ELi4ELi64ELc84ELc78EKPKdS3_KPdEEvlllT_PT11_llS8_llS6_PT12_llPT13_lli,comdat
.Lfunc_end206:
	.size	_ZN12_GLOBAL__N_127rocblas_gemm_batched_kernelIdLi16ELi16ELi64ELi64ELi4ELi64ELi4ELi4ELi64ELc84ELc78EKPKdS3_KPdEEvlllT_PT11_llS8_llS6_PT12_llPT13_lli, .Lfunc_end206-_ZN12_GLOBAL__N_127rocblas_gemm_batched_kernelIdLi16ELi16ELi64ELi64ELi4ELi64ELi4ELi4ELi64ELc84ELc78EKPKdS3_KPdEEvlllT_PT11_llS8_llS6_PT12_llPT13_lli
                                        ; -- End function
	.section	.AMDGPU.csdata,"",@progbits
; Kernel info:
; codeLenInByte = 2328
; NumSgprs: 56
; NumVgprs: 84
; NumAgprs: 0
; TotalNumVgprs: 84
; ScratchSize: 0
; MemoryBound: 0
; FloatMode: 240
; IeeeMode: 1
; LDSByteSize: 4096 bytes/workgroup (compile time only)
; SGPRBlocks: 6
; VGPRBlocks: 10
; NumSGPRsForWavesPerEU: 56
; NumVGPRsForWavesPerEU: 84
; AccumOffset: 84
; Occupancy: 5
; WaveLimiterHint : 1
; COMPUTE_PGM_RSRC2:SCRATCH_EN: 0
; COMPUTE_PGM_RSRC2:USER_SGPR: 6
; COMPUTE_PGM_RSRC2:TRAP_HANDLER: 0
; COMPUTE_PGM_RSRC2:TGID_X_EN: 1
; COMPUTE_PGM_RSRC2:TGID_Y_EN: 1
; COMPUTE_PGM_RSRC2:TGID_Z_EN: 1
; COMPUTE_PGM_RSRC2:TIDIG_COMP_CNT: 1
; COMPUTE_PGM_RSRC3_GFX90A:ACCUM_OFFSET: 20
; COMPUTE_PGM_RSRC3_GFX90A:TG_SPLIT: 0
	.section	.text._ZN12_GLOBAL__N_127rocblas_gemm_batched_kernelIdLi16ELi16ELi64ELi64ELi4ELi64ELi4ELi4ELi64ELc78ELc84EKPKdS3_KPdEEvlllT_PT11_llS8_llS6_PT12_llPT13_lli,"axG",@progbits,_ZN12_GLOBAL__N_127rocblas_gemm_batched_kernelIdLi16ELi16ELi64ELi64ELi4ELi64ELi4ELi4ELi64ELc78ELc84EKPKdS3_KPdEEvlllT_PT11_llS8_llS6_PT12_llPT13_lli,comdat
	.globl	_ZN12_GLOBAL__N_127rocblas_gemm_batched_kernelIdLi16ELi16ELi64ELi64ELi4ELi64ELi4ELi4ELi64ELc78ELc84EKPKdS3_KPdEEvlllT_PT11_llS8_llS6_PT12_llPT13_lli ; -- Begin function _ZN12_GLOBAL__N_127rocblas_gemm_batched_kernelIdLi16ELi16ELi64ELi64ELi4ELi64ELi4ELi4ELi64ELc78ELc84EKPKdS3_KPdEEvlllT_PT11_llS8_llS6_PT12_llPT13_lli
	.p2align	8
	.type	_ZN12_GLOBAL__N_127rocblas_gemm_batched_kernelIdLi16ELi16ELi64ELi64ELi4ELi64ELi4ELi4ELi64ELc78ELc84EKPKdS3_KPdEEvlllT_PT11_llS8_llS6_PT12_llPT13_lli,@function
_ZN12_GLOBAL__N_127rocblas_gemm_batched_kernelIdLi16ELi16ELi64ELi64ELi4ELi64ELi4ELi4ELi64ELc78ELc84EKPKdS3_KPdEEvlllT_PT11_llS8_llS6_PT12_llPT13_lli: ; @_ZN12_GLOBAL__N_127rocblas_gemm_batched_kernelIdLi16ELi16ELi64ELi64ELi4ELi64ELi4ELi4ELi64ELc78ELc84EKPKdS3_KPdEEvlllT_PT11_llS8_llS6_PT12_llPT13_lli
; %bb.0:
	s_load_dwordx16 s[12:27], s[4:5], 0x10
	s_load_dwordx8 s[44:51], s[4:5], 0x70
	s_load_dwordx8 s[36:43], s[4:5], 0x50
	s_mov_b32 s9, 0
	s_lshl_b64 s[10:11], s[8:9], 3
	s_mov_b32 s28, s7
	v_bfe_u32 v43, v0, 10, 10
	s_waitcnt lgkmcnt(0)
	s_add_u32 s0, s38, s10
	s_addc_u32 s1, s39, s11
	s_add_u32 s2, s44, s10
	s_addc_u32 s3, s45, s11
	s_load_dwordx2 s[0:1], s[0:1], 0x0
	s_ashr_i32 s7, s6, 31
	s_load_dwordx2 s[4:5], s[2:3], 0x0
	s_ashr_i32 s29, s28, 31
	s_lshl_b64 s[2:3], s[6:7], 6
	s_lshl_b64 s[6:7], s[28:29], 6
	v_cmp_lt_i64_e64 s[28:29], s[12:13], 1
	v_and_b32_e32 v42, 0x3ff, v0
	s_mov_b64 s[8:9], 0
	s_and_b64 vcc, exec, s[28:29]
	s_cbranch_vccnz .LBB207_3
; %bb.1:
	s_add_u32 s16, s16, s10
	v_lshl_add_u32 v2, v43, 4, v42
	s_addc_u32 s17, s17, s11
	v_and_b32_e32 v4, 63, v2
	s_add_u32 s10, s22, s10
	v_lshrrev_b32_e32 v0, 2, v2
	v_and_b32_e32 v3, 3, v42
	v_lshrrev_b32_e32 v5, 6, v2
	v_lshlrev_b32_e32 v2, 3, v4
	s_addc_u32 s11, s23, s11
	v_lshl_or_b32 v44, v5, 9, v2
	v_lshlrev_b32_e32 v2, 3, v3
	s_load_dwordx2 s[10:11], s[10:11], 0x0
	v_mov_b32_e32 v1, 0
	v_lshl_or_b32 v2, v0, 5, v2
	v_add_u32_e32 v45, 0x800, v2
	v_mov_b32_e32 v2, 0x800
	s_lshl_b64 s[22:23], s[26:27], 3
	v_mad_u64_u32 v[0:1], s[26:27], v3, s24, v[0:1]
	v_lshl_add_u32 v47, v43, 5, v2
	v_mov_b32_e32 v2, v1
	v_mad_u64_u32 v[2:3], s[26:27], v3, s25, v[2:3]
	v_mov_b32_e32 v1, v2
	v_mov_b32_e32 v2, s7
	v_add_co_u32_e32 v0, vcc, s6, v0
	v_addc_co_u32_e32 v1, vcc, v1, v2, vcc
	s_waitcnt lgkmcnt(0)
	s_add_u32 s10, s10, s22
	v_lshlrev_b64 v[0:1], 3, v[0:1]
	s_addc_u32 s11, s11, s23
	v_mov_b32_e32 v2, s11
	v_add_co_u32_e32 v32, vcc, s10, v0
	s_load_dwordx2 s[16:17], s[16:17], 0x0
	v_addc_co_u32_e32 v33, vcc, v2, v1, vcc
	v_pk_mov_b32 v[0:1], s[2:3], s[2:3] op_sel:[0,1]
	v_mad_u64_u32 v[0:1], s[22:23], v5, s18, v[0:1]
	v_mov_b32_e32 v2, v1
	v_mad_u64_u32 v[2:3], s[22:23], v5, s19, v[2:3]
	s_lshl_b64 s[10:11], s[24:25], 5
	s_lshl_b64 s[20:21], s[20:21], 3
	v_mov_b32_e32 v1, v2
	v_add_co_u32_e32 v0, vcc, v0, v4
	v_addc_co_u32_e32 v1, vcc, 0, v1, vcc
	s_waitcnt lgkmcnt(0)
	s_add_u32 s16, s16, s20
	v_lshlrev_b64 v[0:1], 3, v[0:1]
	s_addc_u32 s17, s17, s21
	v_mov_b32_e32 v2, s17
	v_add_co_u32_e32 v34, vcc, s16, v0
	s_lshl_b64 s[16:17], s[18:19], 5
	v_lshlrev_b32_e32 v46, 3, v42
	v_addc_co_u32_e32 v35, vcc, v2, v1, vcc
	v_pk_mov_b32 v[0:1], 0, 0
	v_mov_b32_e32 v48, s11
	v_mov_b32_e32 v49, s17
	v_pk_mov_b32 v[36:37], s[12:13], s[12:13] op_sel:[0,1]
	v_pk_mov_b32 v[2:3], 0, 0
	v_pk_mov_b32 v[4:5], 0, 0
	;; [unrolled: 1-line block ×15, first 2 shown]
.LBB207_2:                              ; =>This Inner Loop Header: Depth=1
	global_load_dwordx2 v[38:39], v[34:35], off
	global_load_dwordx2 v[40:41], v[32:33], off
	v_add_co_u32_e32 v32, vcc, s10, v32
	v_addc_co_u32_e32 v33, vcc, v33, v48, vcc
	s_add_u32 s8, s8, 4
	v_add_co_u32_e32 v34, vcc, s16, v34
	v_addc_co_u32_e32 v35, vcc, v35, v49, vcc
	s_addc_u32 s9, s9, 0
	v_cmp_lt_i64_e32 vcc, s[8:9], v[36:37]
	s_and_b64 vcc, exec, vcc
	s_waitcnt vmcnt(1)
	ds_write_b64 v44, v[38:39]
	s_waitcnt vmcnt(0)
	ds_write_b64 v45, v[40:41]
	s_waitcnt lgkmcnt(0)
	s_barrier
	ds_read2_b64 v[38:41], v46 offset1:16
	ds_read_b128 v[50:53], v47
	ds_read_b128 v[54:57], v47 offset:16
	ds_read_b128 v[58:61], v47 offset:512
	;; [unrolled: 1-line block ×6, first 2 shown]
	s_waitcnt lgkmcnt(6)
	v_fmac_f64_e32 v[30:31], v[38:39], v[50:51]
	v_fmac_f64_e32 v[28:29], v[40:41], v[50:51]
	s_waitcnt lgkmcnt(4)
	v_fmac_f64_e32 v[22:23], v[38:39], v[58:59]
	v_fmac_f64_e32 v[20:21], v[40:41], v[58:59]
	;; [unrolled: 3-line block ×4, first 2 shown]
	ds_read2_b64 v[38:41], v46 offset0:32 offset1:48
	ds_read2_b64 v[82:85], v46 offset0:96 offset1:112
	ds_read_b128 v[78:81], v47 offset:1552
	s_waitcnt lgkmcnt(2)
	v_fmac_f64_e32 v[26:27], v[38:39], v[50:51]
	v_fmac_f64_e32 v[24:25], v[40:41], v[50:51]
	;; [unrolled: 1-line block ×8, first 2 shown]
	ds_read2_b64 v[38:41], v46 offset0:64 offset1:80
	s_waitcnt lgkmcnt(2)
	v_fmac_f64_e32 v[26:27], v[82:83], v[52:53]
	v_fmac_f64_e32 v[24:25], v[84:85], v[52:53]
	;; [unrolled: 1-line block ×4, first 2 shown]
	s_waitcnt lgkmcnt(0)
	v_fmac_f64_e32 v[30:31], v[38:39], v[52:53]
	v_fmac_f64_e32 v[28:29], v[40:41], v[52:53]
	;; [unrolled: 1-line block ×6, first 2 shown]
	ds_read2_b64 v[50:53], v46 offset0:128 offset1:144
	v_fmac_f64_e32 v[6:7], v[38:39], v[76:77]
	v_fmac_f64_e32 v[4:5], v[40:41], v[76:77]
	ds_read2_b64 v[38:41], v46 offset0:160 offset1:176
	v_fmac_f64_e32 v[10:11], v[82:83], v[68:69]
	v_fmac_f64_e32 v[8:9], v[84:85], v[68:69]
	ds_read2_b64 v[58:61], v46 offset0:192 offset1:208
	ds_read2_b64 v[66:69], v46 offset0:224 offset1:240
	v_fmac_f64_e32 v[2:3], v[82:83], v[76:77]
	v_fmac_f64_e32 v[0:1], v[84:85], v[76:77]
	s_waitcnt lgkmcnt(3)
	v_fmac_f64_e32 v[30:31], v[50:51], v[54:55]
	v_fmac_f64_e32 v[28:29], v[52:53], v[54:55]
	;; [unrolled: 1-line block ×8, first 2 shown]
	s_waitcnt lgkmcnt(2)
	v_fmac_f64_e32 v[26:27], v[38:39], v[54:55]
	v_fmac_f64_e32 v[24:25], v[40:41], v[54:55]
	;; [unrolled: 1-line block ×8, first 2 shown]
	s_waitcnt lgkmcnt(1)
	v_fmac_f64_e32 v[30:31], v[58:59], v[56:57]
	v_fmac_f64_e32 v[28:29], v[60:61], v[56:57]
	s_waitcnt lgkmcnt(0)
	v_fmac_f64_e32 v[26:27], v[66:67], v[56:57]
	v_fmac_f64_e32 v[24:25], v[68:69], v[56:57]
	;; [unrolled: 1-line block ×14, first 2 shown]
	s_barrier
	s_cbranch_vccnz .LBB207_2
	s_branch .LBB207_4
.LBB207_3:
	v_pk_mov_b32 v[30:31], 0, 0
	v_pk_mov_b32 v[28:29], 0, 0
	;; [unrolled: 1-line block ×16, first 2 shown]
.LBB207_4:
	v_mov_b32_e32 v32, s7
	v_add_co_u32_e32 v34, vcc, s6, v43
	v_addc_co_u32_e32 v37, vcc, 0, v32, vcc
	s_lshl_b64 s[8:9], s[48:49], 3
	v_mov_b32_e32 v33, s3
	v_add_co_u32_e32 v32, vcc, s2, v42
	s_waitcnt lgkmcnt(0)
	s_add_u32 s8, s4, s8
	v_cmp_neq_f64_e64 s[6:7], s[36:37], 0
	v_addc_co_u32_e32 v33, vcc, 0, v33, vcc
	s_addc_u32 s9, s5, s9
	s_mov_b64 s[4:5], 0
	s_and_b64 vcc, exec, s[6:7]
	v_mul_lo_u32 v35, v37, s46
	v_mul_lo_u32 v36, v34, s47
	v_lshlrev_b64 v[32:33], 3, v[32:33]
	s_cbranch_vccnz .LBB207_8
; %bb.5:
	v_mad_u64_u32 v[38:39], s[2:3], v34, s46, 0
	v_add3_u32 v39, v39, v36, v35
	v_lshlrev_b64 v[38:39], 3, v[38:39]
	v_mov_b32_e32 v40, s9
	v_add_co_u32_e32 v41, vcc, s8, v38
	v_addc_co_u32_e32 v42, vcc, v40, v39, vcc
	v_add_co_u32_e32 v40, vcc, v41, v32
	v_mul_f64 v[38:39], v[30:31], s[14:15]
	v_addc_co_u32_e32 v41, vcc, v42, v33, vcc
	global_store_dwordx2 v[40:41], v[38:39], off
	v_mul_f64 v[38:39], v[28:29], s[14:15]
	global_store_dwordx2 v[40:41], v[38:39], off offset:128
	v_mul_f64 v[38:39], v[26:27], s[14:15]
	global_store_dwordx2 v[40:41], v[38:39], off offset:256
	v_mul_f64 v[38:39], v[24:25], s[14:15]
	s_lshl_b64 s[2:3], s[46:47], 7
	global_store_dwordx2 v[40:41], v[38:39], off offset:384
	v_mov_b32_e32 v42, s3
	v_add_co_u32_e32 v40, vcc, s2, v40
	v_mul_f64 v[38:39], v[22:23], s[14:15]
	v_addc_co_u32_e32 v41, vcc, v41, v42, vcc
	global_store_dwordx2 v[40:41], v[38:39], off
	v_mul_f64 v[38:39], v[20:21], s[14:15]
	global_store_dwordx2 v[40:41], v[38:39], off offset:128
	v_mul_f64 v[38:39], v[18:19], s[14:15]
	global_store_dwordx2 v[40:41], v[38:39], off offset:256
	v_mul_f64 v[38:39], v[16:17], s[14:15]
	global_store_dwordx2 v[40:41], v[38:39], off offset:384
	v_add_co_u32_e32 v40, vcc, s2, v40
	v_mul_f64 v[38:39], v[14:15], s[14:15]
	v_addc_co_u32_e32 v41, vcc, v41, v42, vcc
	global_store_dwordx2 v[40:41], v[38:39], off
	v_mul_f64 v[38:39], v[12:13], s[14:15]
	global_store_dwordx2 v[40:41], v[38:39], off offset:128
	v_mul_f64 v[38:39], v[10:11], s[14:15]
	global_store_dwordx2 v[40:41], v[38:39], off offset:256
	v_mul_f64 v[38:39], v[8:9], s[14:15]
	global_store_dwordx2 v[40:41], v[38:39], off offset:384
	;; [unrolled: 10-line block ×3, first 2 shown]
	s_andn2_b64 vcc, exec, s[4:5]
	s_cbranch_vccnz .LBB207_7
.LBB207_6:
	s_lshl_b64 s[2:3], s[42:43], 3
	s_add_u32 s2, s0, s2
	s_addc_u32 s3, s1, s3
	v_mul_lo_u32 v37, v37, s40
	v_mul_lo_u32 v40, v34, s41
	v_mad_u64_u32 v[38:39], s[0:1], v34, s40, 0
	v_add3_u32 v39, v39, v40, v37
	v_lshlrev_b64 v[38:39], 3, v[38:39]
	v_mov_b32_e32 v37, s3
	v_add_co_u32_e32 v38, vcc, s2, v38
	v_addc_co_u32_e32 v37, vcc, v37, v39, vcc
	v_add_co_u32_e32 v38, vcc, v38, v32
	v_addc_co_u32_e32 v39, vcc, v37, v33, vcc
	global_load_dwordx2 v[40:41], v[38:39], off
	v_mad_u64_u32 v[42:43], s[0:1], v34, s46, 0
	v_add3_u32 v43, v43, v36, v35
	v_lshlrev_b64 v[34:35], 3, v[42:43]
	v_mov_b32_e32 v37, s9
	v_add_co_u32_e32 v34, vcc, s8, v34
	v_addc_co_u32_e32 v35, vcc, v37, v35, vcc
	v_add_co_u32_e32 v32, vcc, v34, v32
	v_addc_co_u32_e32 v33, vcc, v35, v33, vcc
	s_lshl_b64 s[0:1], s[40:41], 7
	s_lshl_b64 s[2:3], s[46:47], 7
	s_waitcnt vmcnt(0)
	v_mul_f64 v[34:35], v[40:41], s[36:37]
	v_fmac_f64_e32 v[34:35], s[14:15], v[30:31]
	global_store_dwordx2 v[32:33], v[34:35], off
	global_load_dwordx2 v[30:31], v[38:39], off offset:128
	s_waitcnt vmcnt(0)
	v_mul_f64 v[30:31], v[30:31], s[36:37]
	v_fmac_f64_e32 v[30:31], s[14:15], v[28:29]
	global_store_dwordx2 v[32:33], v[30:31], off offset:128
	global_load_dwordx2 v[28:29], v[38:39], off offset:256
	v_mov_b32_e32 v30, s1
	v_mov_b32_e32 v31, s3
	s_waitcnt vmcnt(0)
	v_mul_f64 v[28:29], v[28:29], s[36:37]
	v_fmac_f64_e32 v[28:29], s[14:15], v[26:27]
	global_store_dwordx2 v[32:33], v[28:29], off offset:256
	global_load_dwordx2 v[26:27], v[38:39], off offset:384
	v_add_co_u32_e32 v28, vcc, s0, v38
	v_addc_co_u32_e32 v29, vcc, v39, v30, vcc
	s_waitcnt vmcnt(0)
	v_mul_f64 v[26:27], v[26:27], s[36:37]
	v_fmac_f64_e32 v[26:27], s[14:15], v[24:25]
	global_store_dwordx2 v[32:33], v[26:27], off offset:384
	global_load_dwordx2 v[24:25], v[28:29], off
	v_add_co_u32_e32 v26, vcc, s2, v32
	v_addc_co_u32_e32 v27, vcc, v33, v31, vcc
	s_waitcnt vmcnt(0)
	v_mul_f64 v[24:25], v[24:25], s[36:37]
	v_fmac_f64_e32 v[24:25], s[14:15], v[22:23]
	global_store_dwordx2 v[26:27], v[24:25], off
	global_load_dwordx2 v[22:23], v[28:29], off offset:128
	s_waitcnt vmcnt(0)
	v_mul_f64 v[22:23], v[22:23], s[36:37]
	v_fmac_f64_e32 v[22:23], s[14:15], v[20:21]
	global_store_dwordx2 v[26:27], v[22:23], off offset:128
	global_load_dwordx2 v[20:21], v[28:29], off offset:256
	s_waitcnt vmcnt(0)
	v_mul_f64 v[20:21], v[20:21], s[36:37]
	v_fmac_f64_e32 v[20:21], s[14:15], v[18:19]
	global_store_dwordx2 v[26:27], v[20:21], off offset:256
	global_load_dwordx2 v[18:19], v[28:29], off offset:384
	v_add_co_u32_e32 v20, vcc, s0, v28
	v_addc_co_u32_e32 v21, vcc, v29, v30, vcc
	s_waitcnt vmcnt(0)
	v_mul_f64 v[18:19], v[18:19], s[36:37]
	v_fmac_f64_e32 v[18:19], s[14:15], v[16:17]
	global_store_dwordx2 v[26:27], v[18:19], off offset:384
	global_load_dwordx2 v[16:17], v[20:21], off
	v_add_co_u32_e32 v18, vcc, s2, v26
	v_addc_co_u32_e32 v19, vcc, v27, v31, vcc
	s_waitcnt vmcnt(0)
	v_mul_f64 v[16:17], v[16:17], s[36:37]
	v_fmac_f64_e32 v[16:17], s[14:15], v[14:15]
	global_store_dwordx2 v[18:19], v[16:17], off
	global_load_dwordx2 v[14:15], v[20:21], off offset:128
	s_waitcnt vmcnt(0)
	v_mul_f64 v[14:15], v[14:15], s[36:37]
	v_fmac_f64_e32 v[14:15], s[14:15], v[12:13]
	global_store_dwordx2 v[18:19], v[14:15], off offset:128
	global_load_dwordx2 v[12:13], v[20:21], off offset:256
	s_waitcnt vmcnt(0)
	v_mul_f64 v[12:13], v[12:13], s[36:37]
	v_fmac_f64_e32 v[12:13], s[14:15], v[10:11]
	global_store_dwordx2 v[18:19], v[12:13], off offset:256
	global_load_dwordx2 v[10:11], v[20:21], off offset:384
	v_add_co_u32_e32 v12, vcc, s0, v20
	v_addc_co_u32_e32 v13, vcc, v21, v30, vcc
	s_waitcnt vmcnt(0)
	v_mul_f64 v[10:11], v[10:11], s[36:37]
	v_fmac_f64_e32 v[10:11], s[14:15], v[8:9]
	global_store_dwordx2 v[18:19], v[10:11], off offset:384
	global_load_dwordx2 v[8:9], v[12:13], off
	s_waitcnt vmcnt(0)
	v_mul_f64 v[8:9], v[8:9], s[36:37]
	v_fmac_f64_e32 v[8:9], s[14:15], v[6:7]
	v_add_co_u32_e32 v6, vcc, s2, v18
	v_addc_co_u32_e32 v7, vcc, v19, v31, vcc
	global_store_dwordx2 v[6:7], v[8:9], off
	global_load_dwordx2 v[8:9], v[12:13], off offset:128
	s_waitcnt vmcnt(0)
	v_mul_f64 v[8:9], v[8:9], s[36:37]
	v_fmac_f64_e32 v[8:9], s[14:15], v[4:5]
	global_store_dwordx2 v[6:7], v[8:9], off offset:128
	global_load_dwordx2 v[4:5], v[12:13], off offset:256
	s_waitcnt vmcnt(0)
	v_mul_f64 v[4:5], v[4:5], s[36:37]
	v_fmac_f64_e32 v[4:5], s[14:15], v[2:3]
	global_store_dwordx2 v[6:7], v[4:5], off offset:256
	;; [unrolled: 5-line block ×3, first 2 shown]
.LBB207_7:
	s_endpgm
.LBB207_8:
	s_branch .LBB207_6
	.section	.rodata,"a",@progbits
	.p2align	6, 0x0
	.amdhsa_kernel _ZN12_GLOBAL__N_127rocblas_gemm_batched_kernelIdLi16ELi16ELi64ELi64ELi4ELi64ELi4ELi4ELi64ELc78ELc84EKPKdS3_KPdEEvlllT_PT11_llS8_llS6_PT12_llPT13_lli
		.amdhsa_group_segment_fixed_size 4096
		.amdhsa_private_segment_fixed_size 0
		.amdhsa_kernarg_size 140
		.amdhsa_user_sgpr_count 6
		.amdhsa_user_sgpr_private_segment_buffer 1
		.amdhsa_user_sgpr_dispatch_ptr 0
		.amdhsa_user_sgpr_queue_ptr 0
		.amdhsa_user_sgpr_kernarg_segment_ptr 1
		.amdhsa_user_sgpr_dispatch_id 0
		.amdhsa_user_sgpr_flat_scratch_init 0
		.amdhsa_user_sgpr_kernarg_preload_length 0
		.amdhsa_user_sgpr_kernarg_preload_offset 0
		.amdhsa_user_sgpr_private_segment_size 0
		.amdhsa_uses_dynamic_stack 0
		.amdhsa_system_sgpr_private_segment_wavefront_offset 0
		.amdhsa_system_sgpr_workgroup_id_x 1
		.amdhsa_system_sgpr_workgroup_id_y 1
		.amdhsa_system_sgpr_workgroup_id_z 1
		.amdhsa_system_sgpr_workgroup_info 0
		.amdhsa_system_vgpr_workitem_id 1
		.amdhsa_next_free_vgpr 86
		.amdhsa_next_free_sgpr 52
		.amdhsa_accum_offset 88
		.amdhsa_reserve_vcc 1
		.amdhsa_reserve_flat_scratch 0
		.amdhsa_float_round_mode_32 0
		.amdhsa_float_round_mode_16_64 0
		.amdhsa_float_denorm_mode_32 3
		.amdhsa_float_denorm_mode_16_64 3
		.amdhsa_dx10_clamp 1
		.amdhsa_ieee_mode 1
		.amdhsa_fp16_overflow 0
		.amdhsa_tg_split 0
		.amdhsa_exception_fp_ieee_invalid_op 0
		.amdhsa_exception_fp_denorm_src 0
		.amdhsa_exception_fp_ieee_div_zero 0
		.amdhsa_exception_fp_ieee_overflow 0
		.amdhsa_exception_fp_ieee_underflow 0
		.amdhsa_exception_fp_ieee_inexact 0
		.amdhsa_exception_int_div_zero 0
	.end_amdhsa_kernel
	.section	.text._ZN12_GLOBAL__N_127rocblas_gemm_batched_kernelIdLi16ELi16ELi64ELi64ELi4ELi64ELi4ELi4ELi64ELc78ELc84EKPKdS3_KPdEEvlllT_PT11_llS8_llS6_PT12_llPT13_lli,"axG",@progbits,_ZN12_GLOBAL__N_127rocblas_gemm_batched_kernelIdLi16ELi16ELi64ELi64ELi4ELi64ELi4ELi4ELi64ELc78ELc84EKPKdS3_KPdEEvlllT_PT11_llS8_llS6_PT12_llPT13_lli,comdat
.Lfunc_end207:
	.size	_ZN12_GLOBAL__N_127rocblas_gemm_batched_kernelIdLi16ELi16ELi64ELi64ELi4ELi64ELi4ELi4ELi64ELc78ELc84EKPKdS3_KPdEEvlllT_PT11_llS8_llS6_PT12_llPT13_lli, .Lfunc_end207-_ZN12_GLOBAL__N_127rocblas_gemm_batched_kernelIdLi16ELi16ELi64ELi64ELi4ELi64ELi4ELi4ELi64ELc78ELc84EKPKdS3_KPdEEvlllT_PT11_llS8_llS6_PT12_llPT13_lli
                                        ; -- End function
	.section	.AMDGPU.csdata,"",@progbits
; Kernel info:
; codeLenInByte = 2308
; NumSgprs: 56
; NumVgprs: 86
; NumAgprs: 0
; TotalNumVgprs: 86
; ScratchSize: 0
; MemoryBound: 0
; FloatMode: 240
; IeeeMode: 1
; LDSByteSize: 4096 bytes/workgroup (compile time only)
; SGPRBlocks: 6
; VGPRBlocks: 10
; NumSGPRsForWavesPerEU: 56
; NumVGPRsForWavesPerEU: 86
; AccumOffset: 88
; Occupancy: 5
; WaveLimiterHint : 1
; COMPUTE_PGM_RSRC2:SCRATCH_EN: 0
; COMPUTE_PGM_RSRC2:USER_SGPR: 6
; COMPUTE_PGM_RSRC2:TRAP_HANDLER: 0
; COMPUTE_PGM_RSRC2:TGID_X_EN: 1
; COMPUTE_PGM_RSRC2:TGID_Y_EN: 1
; COMPUTE_PGM_RSRC2:TGID_Z_EN: 1
; COMPUTE_PGM_RSRC2:TIDIG_COMP_CNT: 1
; COMPUTE_PGM_RSRC3_GFX90A:ACCUM_OFFSET: 21
; COMPUTE_PGM_RSRC3_GFX90A:TG_SPLIT: 0
	.section	.text._ZN12_GLOBAL__N_127rocblas_gemm_batched_kernelIdLi16ELi16ELi64ELi64ELi4ELi64ELi4ELi4ELi64ELc84ELc84EKPKdS3_KPdEEvlllT_PT11_llS8_llS6_PT12_llPT13_lli,"axG",@progbits,_ZN12_GLOBAL__N_127rocblas_gemm_batched_kernelIdLi16ELi16ELi64ELi64ELi4ELi64ELi4ELi4ELi64ELc84ELc84EKPKdS3_KPdEEvlllT_PT11_llS8_llS6_PT12_llPT13_lli,comdat
	.globl	_ZN12_GLOBAL__N_127rocblas_gemm_batched_kernelIdLi16ELi16ELi64ELi64ELi4ELi64ELi4ELi4ELi64ELc84ELc84EKPKdS3_KPdEEvlllT_PT11_llS8_llS6_PT12_llPT13_lli ; -- Begin function _ZN12_GLOBAL__N_127rocblas_gemm_batched_kernelIdLi16ELi16ELi64ELi64ELi4ELi64ELi4ELi4ELi64ELc84ELc84EKPKdS3_KPdEEvlllT_PT11_llS8_llS6_PT12_llPT13_lli
	.p2align	8
	.type	_ZN12_GLOBAL__N_127rocblas_gemm_batched_kernelIdLi16ELi16ELi64ELi64ELi4ELi64ELi4ELi4ELi64ELc84ELc84EKPKdS3_KPdEEvlllT_PT11_llS8_llS6_PT12_llPT13_lli,@function
_ZN12_GLOBAL__N_127rocblas_gemm_batched_kernelIdLi16ELi16ELi64ELi64ELi4ELi64ELi4ELi4ELi64ELc84ELc84EKPKdS3_KPdEEvlllT_PT11_llS8_llS6_PT12_llPT13_lli: ; @_ZN12_GLOBAL__N_127rocblas_gemm_batched_kernelIdLi16ELi16ELi64ELi64ELi4ELi64ELi4ELi4ELi64ELc84ELc84EKPKdS3_KPdEEvlllT_PT11_llS8_llS6_PT12_llPT13_lli
; %bb.0:
	s_load_dwordx16 s[12:27], s[4:5], 0x10
	s_load_dwordx8 s[44:51], s[4:5], 0x70
	s_load_dwordx8 s[36:43], s[4:5], 0x50
	s_mov_b32 s9, 0
	s_lshl_b64 s[10:11], s[8:9], 3
	s_mov_b32 s28, s7
	v_bfe_u32 v43, v0, 10, 10
	s_waitcnt lgkmcnt(0)
	s_add_u32 s0, s38, s10
	s_addc_u32 s1, s39, s11
	s_add_u32 s2, s44, s10
	s_addc_u32 s3, s45, s11
	s_load_dwordx2 s[0:1], s[0:1], 0x0
	s_ashr_i32 s7, s6, 31
	s_load_dwordx2 s[4:5], s[2:3], 0x0
	s_ashr_i32 s29, s28, 31
	s_lshl_b64 s[2:3], s[6:7], 6
	s_lshl_b64 s[6:7], s[28:29], 6
	v_cmp_lt_i64_e64 s[28:29], s[12:13], 1
	v_and_b32_e32 v42, 0x3ff, v0
	s_mov_b64 s[8:9], 0
	s_and_b64 vcc, exec, s[28:29]
	s_cbranch_vccnz .LBB208_3
; %bb.1:
	s_add_u32 s16, s16, s10
	v_lshl_add_u32 v2, v43, 4, v42
	s_addc_u32 s17, s17, s11
	v_and_b32_e32 v4, 63, v2
	s_add_u32 s10, s22, s10
	v_lshrrev_b32_e32 v0, 2, v2
	v_and_b32_e32 v3, 3, v42
	v_lshrrev_b32_e32 v5, 6, v2
	v_lshlrev_b32_e32 v2, 3, v4
	s_addc_u32 s11, s23, s11
	v_lshl_or_b32 v44, v5, 9, v2
	v_lshlrev_b32_e32 v2, 3, v3
	s_load_dwordx2 s[10:11], s[10:11], 0x0
	v_mov_b32_e32 v1, 0
	v_lshl_or_b32 v2, v0, 5, v2
	v_add_u32_e32 v45, 0x800, v2
	v_mov_b32_e32 v2, 0x800
	s_lshl_b64 s[22:23], s[26:27], 3
	v_mad_u64_u32 v[0:1], s[26:27], v3, s24, v[0:1]
	v_lshl_add_u32 v47, v43, 5, v2
	v_mov_b32_e32 v2, v1
	v_mad_u64_u32 v[2:3], s[26:27], v3, s25, v[2:3]
	v_mov_b32_e32 v1, v2
	v_mov_b32_e32 v2, s7
	v_add_co_u32_e32 v0, vcc, s6, v0
	v_addc_co_u32_e32 v1, vcc, v1, v2, vcc
	s_waitcnt lgkmcnt(0)
	s_add_u32 s10, s10, s22
	v_lshlrev_b64 v[0:1], 3, v[0:1]
	s_addc_u32 s11, s11, s23
	v_mov_b32_e32 v2, s11
	v_add_co_u32_e32 v32, vcc, s10, v0
	v_addc_co_u32_e32 v33, vcc, v2, v1, vcc
	v_mov_b32_e32 v0, s3
	v_add_co_u32_e32 v1, vcc, s2, v4
	v_addc_co_u32_e32 v0, vcc, 0, v0, vcc
	v_mul_lo_u32 v2, s19, v1
	v_mul_lo_u32 v3, s18, v0
	v_mad_u64_u32 v[0:1], s[18:19], s18, v1, 0
	v_add3_u32 v1, v1, v3, v2
	s_load_dwordx2 s[16:17], s[16:17], 0x0
	v_lshlrev_b64 v[0:1], 3, v[0:1]
	s_lshl_b64 s[18:19], s[20:21], 3
	v_mov_b32_e32 v2, s19
	v_add_co_u32_e32 v0, vcc, s18, v0
	v_addc_co_u32_e32 v1, vcc, v1, v2, vcc
	v_lshlrev_b32_e32 v2, 3, v5
	v_add_co_u32_e32 v0, vcc, v0, v2
	v_addc_co_u32_e32 v1, vcc, 0, v1, vcc
	s_lshl_b64 s[10:11], s[24:25], 5
	s_waitcnt lgkmcnt(0)
	v_mov_b32_e32 v2, s17
	v_add_co_u32_e32 v34, vcc, s16, v0
	v_lshlrev_b32_e32 v46, 3, v42
	v_addc_co_u32_e32 v35, vcc, v2, v1, vcc
	v_pk_mov_b32 v[0:1], 0, 0
	v_mov_b32_e32 v48, s11
	v_pk_mov_b32 v[36:37], s[12:13], s[12:13] op_sel:[0,1]
	v_pk_mov_b32 v[2:3], 0, 0
	v_pk_mov_b32 v[4:5], 0, 0
	;; [unrolled: 1-line block ×15, first 2 shown]
.LBB208_2:                              ; =>This Inner Loop Header: Depth=1
	global_load_dwordx2 v[38:39], v[34:35], off
	global_load_dwordx2 v[40:41], v[32:33], off
	v_add_co_u32_e32 v32, vcc, s10, v32
	v_addc_co_u32_e32 v33, vcc, v33, v48, vcc
	s_add_u32 s8, s8, 4
	v_add_co_u32_e32 v34, vcc, 32, v34
	v_addc_co_u32_e32 v35, vcc, 0, v35, vcc
	s_addc_u32 s9, s9, 0
	v_cmp_lt_i64_e32 vcc, s[8:9], v[36:37]
	s_and_b64 vcc, exec, vcc
	s_waitcnt vmcnt(1)
	ds_write_b64 v44, v[38:39]
	s_waitcnt vmcnt(0)
	ds_write_b64 v45, v[40:41]
	s_waitcnt lgkmcnt(0)
	s_barrier
	ds_read2_b64 v[38:41], v46 offset1:16
	ds_read_b128 v[50:53], v47
	ds_read_b128 v[54:57], v47 offset:16
	ds_read_b128 v[58:61], v47 offset:512
	;; [unrolled: 1-line block ×6, first 2 shown]
	s_waitcnt lgkmcnt(6)
	v_fmac_f64_e32 v[30:31], v[38:39], v[50:51]
	v_fmac_f64_e32 v[28:29], v[40:41], v[50:51]
	s_waitcnt lgkmcnt(4)
	v_fmac_f64_e32 v[22:23], v[38:39], v[58:59]
	v_fmac_f64_e32 v[20:21], v[40:41], v[58:59]
	;; [unrolled: 3-line block ×4, first 2 shown]
	ds_read2_b64 v[38:41], v46 offset0:32 offset1:48
	ds_read2_b64 v[82:85], v46 offset0:96 offset1:112
	ds_read_b128 v[78:81], v47 offset:1552
	s_waitcnt lgkmcnt(2)
	v_fmac_f64_e32 v[26:27], v[38:39], v[50:51]
	v_fmac_f64_e32 v[24:25], v[40:41], v[50:51]
	;; [unrolled: 1-line block ×8, first 2 shown]
	ds_read2_b64 v[38:41], v46 offset0:64 offset1:80
	s_waitcnt lgkmcnt(2)
	v_fmac_f64_e32 v[26:27], v[82:83], v[52:53]
	v_fmac_f64_e32 v[24:25], v[84:85], v[52:53]
	;; [unrolled: 1-line block ×4, first 2 shown]
	s_waitcnt lgkmcnt(0)
	v_fmac_f64_e32 v[30:31], v[38:39], v[52:53]
	v_fmac_f64_e32 v[28:29], v[40:41], v[52:53]
	;; [unrolled: 1-line block ×6, first 2 shown]
	ds_read2_b64 v[50:53], v46 offset0:128 offset1:144
	v_fmac_f64_e32 v[6:7], v[38:39], v[76:77]
	v_fmac_f64_e32 v[4:5], v[40:41], v[76:77]
	ds_read2_b64 v[38:41], v46 offset0:160 offset1:176
	v_fmac_f64_e32 v[10:11], v[82:83], v[68:69]
	v_fmac_f64_e32 v[8:9], v[84:85], v[68:69]
	ds_read2_b64 v[58:61], v46 offset0:192 offset1:208
	ds_read2_b64 v[66:69], v46 offset0:224 offset1:240
	v_fmac_f64_e32 v[2:3], v[82:83], v[76:77]
	v_fmac_f64_e32 v[0:1], v[84:85], v[76:77]
	s_waitcnt lgkmcnt(3)
	v_fmac_f64_e32 v[30:31], v[50:51], v[54:55]
	v_fmac_f64_e32 v[28:29], v[52:53], v[54:55]
	;; [unrolled: 1-line block ×8, first 2 shown]
	s_waitcnt lgkmcnt(2)
	v_fmac_f64_e32 v[26:27], v[38:39], v[54:55]
	v_fmac_f64_e32 v[24:25], v[40:41], v[54:55]
	;; [unrolled: 1-line block ×8, first 2 shown]
	s_waitcnt lgkmcnt(1)
	v_fmac_f64_e32 v[30:31], v[58:59], v[56:57]
	v_fmac_f64_e32 v[28:29], v[60:61], v[56:57]
	s_waitcnt lgkmcnt(0)
	v_fmac_f64_e32 v[26:27], v[66:67], v[56:57]
	v_fmac_f64_e32 v[24:25], v[68:69], v[56:57]
	;; [unrolled: 1-line block ×14, first 2 shown]
	s_barrier
	s_cbranch_vccnz .LBB208_2
	s_branch .LBB208_4
.LBB208_3:
	v_pk_mov_b32 v[30:31], 0, 0
	v_pk_mov_b32 v[28:29], 0, 0
	;; [unrolled: 1-line block ×16, first 2 shown]
.LBB208_4:
	v_mov_b32_e32 v32, s7
	v_add_co_u32_e32 v34, vcc, s6, v43
	v_addc_co_u32_e32 v37, vcc, 0, v32, vcc
	s_lshl_b64 s[8:9], s[48:49], 3
	v_mov_b32_e32 v33, s3
	v_add_co_u32_e32 v32, vcc, s2, v42
	s_waitcnt lgkmcnt(0)
	s_add_u32 s8, s4, s8
	v_cmp_neq_f64_e64 s[6:7], s[36:37], 0
	v_addc_co_u32_e32 v33, vcc, 0, v33, vcc
	s_addc_u32 s9, s5, s9
	s_mov_b64 s[4:5], 0
	s_and_b64 vcc, exec, s[6:7]
	v_mul_lo_u32 v35, v37, s46
	v_mul_lo_u32 v36, v34, s47
	v_lshlrev_b64 v[32:33], 3, v[32:33]
	s_cbranch_vccnz .LBB208_8
; %bb.5:
	v_mad_u64_u32 v[38:39], s[2:3], v34, s46, 0
	v_add3_u32 v39, v39, v36, v35
	v_lshlrev_b64 v[38:39], 3, v[38:39]
	v_mov_b32_e32 v40, s9
	v_add_co_u32_e32 v41, vcc, s8, v38
	v_addc_co_u32_e32 v42, vcc, v40, v39, vcc
	v_add_co_u32_e32 v40, vcc, v41, v32
	v_mul_f64 v[38:39], v[30:31], s[14:15]
	v_addc_co_u32_e32 v41, vcc, v42, v33, vcc
	global_store_dwordx2 v[40:41], v[38:39], off
	v_mul_f64 v[38:39], v[28:29], s[14:15]
	global_store_dwordx2 v[40:41], v[38:39], off offset:128
	v_mul_f64 v[38:39], v[26:27], s[14:15]
	global_store_dwordx2 v[40:41], v[38:39], off offset:256
	v_mul_f64 v[38:39], v[24:25], s[14:15]
	s_lshl_b64 s[2:3], s[46:47], 7
	global_store_dwordx2 v[40:41], v[38:39], off offset:384
	v_mov_b32_e32 v42, s3
	v_add_co_u32_e32 v40, vcc, s2, v40
	v_mul_f64 v[38:39], v[22:23], s[14:15]
	v_addc_co_u32_e32 v41, vcc, v41, v42, vcc
	global_store_dwordx2 v[40:41], v[38:39], off
	v_mul_f64 v[38:39], v[20:21], s[14:15]
	global_store_dwordx2 v[40:41], v[38:39], off offset:128
	v_mul_f64 v[38:39], v[18:19], s[14:15]
	global_store_dwordx2 v[40:41], v[38:39], off offset:256
	v_mul_f64 v[38:39], v[16:17], s[14:15]
	global_store_dwordx2 v[40:41], v[38:39], off offset:384
	v_add_co_u32_e32 v40, vcc, s2, v40
	v_mul_f64 v[38:39], v[14:15], s[14:15]
	v_addc_co_u32_e32 v41, vcc, v41, v42, vcc
	global_store_dwordx2 v[40:41], v[38:39], off
	v_mul_f64 v[38:39], v[12:13], s[14:15]
	global_store_dwordx2 v[40:41], v[38:39], off offset:128
	v_mul_f64 v[38:39], v[10:11], s[14:15]
	global_store_dwordx2 v[40:41], v[38:39], off offset:256
	v_mul_f64 v[38:39], v[8:9], s[14:15]
	global_store_dwordx2 v[40:41], v[38:39], off offset:384
	;; [unrolled: 10-line block ×3, first 2 shown]
	s_andn2_b64 vcc, exec, s[4:5]
	s_cbranch_vccnz .LBB208_7
.LBB208_6:
	s_lshl_b64 s[2:3], s[42:43], 3
	s_add_u32 s2, s0, s2
	s_addc_u32 s3, s1, s3
	v_mul_lo_u32 v37, v37, s40
	v_mul_lo_u32 v40, v34, s41
	v_mad_u64_u32 v[38:39], s[0:1], v34, s40, 0
	v_add3_u32 v39, v39, v40, v37
	v_lshlrev_b64 v[38:39], 3, v[38:39]
	v_mov_b32_e32 v37, s3
	v_add_co_u32_e32 v38, vcc, s2, v38
	v_addc_co_u32_e32 v37, vcc, v37, v39, vcc
	v_add_co_u32_e32 v38, vcc, v38, v32
	v_addc_co_u32_e32 v39, vcc, v37, v33, vcc
	global_load_dwordx2 v[40:41], v[38:39], off
	v_mad_u64_u32 v[42:43], s[0:1], v34, s46, 0
	v_add3_u32 v43, v43, v36, v35
	v_lshlrev_b64 v[34:35], 3, v[42:43]
	v_mov_b32_e32 v37, s9
	v_add_co_u32_e32 v34, vcc, s8, v34
	v_addc_co_u32_e32 v35, vcc, v37, v35, vcc
	v_add_co_u32_e32 v32, vcc, v34, v32
	v_addc_co_u32_e32 v33, vcc, v35, v33, vcc
	s_lshl_b64 s[0:1], s[40:41], 7
	s_lshl_b64 s[2:3], s[46:47], 7
	s_waitcnt vmcnt(0)
	v_mul_f64 v[34:35], v[40:41], s[36:37]
	v_fmac_f64_e32 v[34:35], s[14:15], v[30:31]
	global_store_dwordx2 v[32:33], v[34:35], off
	global_load_dwordx2 v[30:31], v[38:39], off offset:128
	s_waitcnt vmcnt(0)
	v_mul_f64 v[30:31], v[30:31], s[36:37]
	v_fmac_f64_e32 v[30:31], s[14:15], v[28:29]
	global_store_dwordx2 v[32:33], v[30:31], off offset:128
	global_load_dwordx2 v[28:29], v[38:39], off offset:256
	v_mov_b32_e32 v30, s1
	v_mov_b32_e32 v31, s3
	s_waitcnt vmcnt(0)
	v_mul_f64 v[28:29], v[28:29], s[36:37]
	v_fmac_f64_e32 v[28:29], s[14:15], v[26:27]
	global_store_dwordx2 v[32:33], v[28:29], off offset:256
	global_load_dwordx2 v[26:27], v[38:39], off offset:384
	v_add_co_u32_e32 v28, vcc, s0, v38
	v_addc_co_u32_e32 v29, vcc, v39, v30, vcc
	s_waitcnt vmcnt(0)
	v_mul_f64 v[26:27], v[26:27], s[36:37]
	v_fmac_f64_e32 v[26:27], s[14:15], v[24:25]
	global_store_dwordx2 v[32:33], v[26:27], off offset:384
	global_load_dwordx2 v[24:25], v[28:29], off
	v_add_co_u32_e32 v26, vcc, s2, v32
	v_addc_co_u32_e32 v27, vcc, v33, v31, vcc
	s_waitcnt vmcnt(0)
	v_mul_f64 v[24:25], v[24:25], s[36:37]
	v_fmac_f64_e32 v[24:25], s[14:15], v[22:23]
	global_store_dwordx2 v[26:27], v[24:25], off
	global_load_dwordx2 v[22:23], v[28:29], off offset:128
	s_waitcnt vmcnt(0)
	v_mul_f64 v[22:23], v[22:23], s[36:37]
	v_fmac_f64_e32 v[22:23], s[14:15], v[20:21]
	global_store_dwordx2 v[26:27], v[22:23], off offset:128
	global_load_dwordx2 v[20:21], v[28:29], off offset:256
	s_waitcnt vmcnt(0)
	v_mul_f64 v[20:21], v[20:21], s[36:37]
	v_fmac_f64_e32 v[20:21], s[14:15], v[18:19]
	global_store_dwordx2 v[26:27], v[20:21], off offset:256
	global_load_dwordx2 v[18:19], v[28:29], off offset:384
	v_add_co_u32_e32 v20, vcc, s0, v28
	v_addc_co_u32_e32 v21, vcc, v29, v30, vcc
	s_waitcnt vmcnt(0)
	v_mul_f64 v[18:19], v[18:19], s[36:37]
	v_fmac_f64_e32 v[18:19], s[14:15], v[16:17]
	global_store_dwordx2 v[26:27], v[18:19], off offset:384
	global_load_dwordx2 v[16:17], v[20:21], off
	v_add_co_u32_e32 v18, vcc, s2, v26
	v_addc_co_u32_e32 v19, vcc, v27, v31, vcc
	s_waitcnt vmcnt(0)
	v_mul_f64 v[16:17], v[16:17], s[36:37]
	v_fmac_f64_e32 v[16:17], s[14:15], v[14:15]
	global_store_dwordx2 v[18:19], v[16:17], off
	global_load_dwordx2 v[14:15], v[20:21], off offset:128
	s_waitcnt vmcnt(0)
	v_mul_f64 v[14:15], v[14:15], s[36:37]
	v_fmac_f64_e32 v[14:15], s[14:15], v[12:13]
	global_store_dwordx2 v[18:19], v[14:15], off offset:128
	global_load_dwordx2 v[12:13], v[20:21], off offset:256
	s_waitcnt vmcnt(0)
	v_mul_f64 v[12:13], v[12:13], s[36:37]
	v_fmac_f64_e32 v[12:13], s[14:15], v[10:11]
	global_store_dwordx2 v[18:19], v[12:13], off offset:256
	global_load_dwordx2 v[10:11], v[20:21], off offset:384
	v_add_co_u32_e32 v12, vcc, s0, v20
	v_addc_co_u32_e32 v13, vcc, v21, v30, vcc
	s_waitcnt vmcnt(0)
	v_mul_f64 v[10:11], v[10:11], s[36:37]
	v_fmac_f64_e32 v[10:11], s[14:15], v[8:9]
	global_store_dwordx2 v[18:19], v[10:11], off offset:384
	global_load_dwordx2 v[8:9], v[12:13], off
	s_waitcnt vmcnt(0)
	v_mul_f64 v[8:9], v[8:9], s[36:37]
	v_fmac_f64_e32 v[8:9], s[14:15], v[6:7]
	v_add_co_u32_e32 v6, vcc, s2, v18
	v_addc_co_u32_e32 v7, vcc, v19, v31, vcc
	global_store_dwordx2 v[6:7], v[8:9], off
	global_load_dwordx2 v[8:9], v[12:13], off offset:128
	s_waitcnt vmcnt(0)
	v_mul_f64 v[8:9], v[8:9], s[36:37]
	v_fmac_f64_e32 v[8:9], s[14:15], v[4:5]
	global_store_dwordx2 v[6:7], v[8:9], off offset:128
	global_load_dwordx2 v[4:5], v[12:13], off offset:256
	s_waitcnt vmcnt(0)
	v_mul_f64 v[4:5], v[4:5], s[36:37]
	v_fmac_f64_e32 v[4:5], s[14:15], v[2:3]
	global_store_dwordx2 v[6:7], v[4:5], off offset:256
	;; [unrolled: 5-line block ×3, first 2 shown]
.LBB208_7:
	s_endpgm
.LBB208_8:
	s_branch .LBB208_6
	.section	.rodata,"a",@progbits
	.p2align	6, 0x0
	.amdhsa_kernel _ZN12_GLOBAL__N_127rocblas_gemm_batched_kernelIdLi16ELi16ELi64ELi64ELi4ELi64ELi4ELi4ELi64ELc84ELc84EKPKdS3_KPdEEvlllT_PT11_llS8_llS6_PT12_llPT13_lli
		.amdhsa_group_segment_fixed_size 4096
		.amdhsa_private_segment_fixed_size 0
		.amdhsa_kernarg_size 140
		.amdhsa_user_sgpr_count 6
		.amdhsa_user_sgpr_private_segment_buffer 1
		.amdhsa_user_sgpr_dispatch_ptr 0
		.amdhsa_user_sgpr_queue_ptr 0
		.amdhsa_user_sgpr_kernarg_segment_ptr 1
		.amdhsa_user_sgpr_dispatch_id 0
		.amdhsa_user_sgpr_flat_scratch_init 0
		.amdhsa_user_sgpr_kernarg_preload_length 0
		.amdhsa_user_sgpr_kernarg_preload_offset 0
		.amdhsa_user_sgpr_private_segment_size 0
		.amdhsa_uses_dynamic_stack 0
		.amdhsa_system_sgpr_private_segment_wavefront_offset 0
		.amdhsa_system_sgpr_workgroup_id_x 1
		.amdhsa_system_sgpr_workgroup_id_y 1
		.amdhsa_system_sgpr_workgroup_id_z 1
		.amdhsa_system_sgpr_workgroup_info 0
		.amdhsa_system_vgpr_workitem_id 1
		.amdhsa_next_free_vgpr 86
		.amdhsa_next_free_sgpr 52
		.amdhsa_accum_offset 88
		.amdhsa_reserve_vcc 1
		.amdhsa_reserve_flat_scratch 0
		.amdhsa_float_round_mode_32 0
		.amdhsa_float_round_mode_16_64 0
		.amdhsa_float_denorm_mode_32 3
		.amdhsa_float_denorm_mode_16_64 3
		.amdhsa_dx10_clamp 1
		.amdhsa_ieee_mode 1
		.amdhsa_fp16_overflow 0
		.amdhsa_tg_split 0
		.amdhsa_exception_fp_ieee_invalid_op 0
		.amdhsa_exception_fp_denorm_src 0
		.amdhsa_exception_fp_ieee_div_zero 0
		.amdhsa_exception_fp_ieee_overflow 0
		.amdhsa_exception_fp_ieee_underflow 0
		.amdhsa_exception_fp_ieee_inexact 0
		.amdhsa_exception_int_div_zero 0
	.end_amdhsa_kernel
	.section	.text._ZN12_GLOBAL__N_127rocblas_gemm_batched_kernelIdLi16ELi16ELi64ELi64ELi4ELi64ELi4ELi4ELi64ELc84ELc84EKPKdS3_KPdEEvlllT_PT11_llS8_llS6_PT12_llPT13_lli,"axG",@progbits,_ZN12_GLOBAL__N_127rocblas_gemm_batched_kernelIdLi16ELi16ELi64ELi64ELi4ELi64ELi4ELi4ELi64ELc84ELc84EKPKdS3_KPdEEvlllT_PT11_llS8_llS6_PT12_llPT13_lli,comdat
.Lfunc_end208:
	.size	_ZN12_GLOBAL__N_127rocblas_gemm_batched_kernelIdLi16ELi16ELi64ELi64ELi4ELi64ELi4ELi4ELi64ELc84ELc84EKPKdS3_KPdEEvlllT_PT11_llS8_llS6_PT12_llPT13_lli, .Lfunc_end208-_ZN12_GLOBAL__N_127rocblas_gemm_batched_kernelIdLi16ELi16ELi64ELi64ELi4ELi64ELi4ELi4ELi64ELc84ELc84EKPKdS3_KPdEEvlllT_PT11_llS8_llS6_PT12_llPT13_lli
                                        ; -- End function
	.section	.AMDGPU.csdata,"",@progbits
; Kernel info:
; codeLenInByte = 2320
; NumSgprs: 56
; NumVgprs: 86
; NumAgprs: 0
; TotalNumVgprs: 86
; ScratchSize: 0
; MemoryBound: 0
; FloatMode: 240
; IeeeMode: 1
; LDSByteSize: 4096 bytes/workgroup (compile time only)
; SGPRBlocks: 6
; VGPRBlocks: 10
; NumSGPRsForWavesPerEU: 56
; NumVGPRsForWavesPerEU: 86
; AccumOffset: 88
; Occupancy: 5
; WaveLimiterHint : 1
; COMPUTE_PGM_RSRC2:SCRATCH_EN: 0
; COMPUTE_PGM_RSRC2:USER_SGPR: 6
; COMPUTE_PGM_RSRC2:TRAP_HANDLER: 0
; COMPUTE_PGM_RSRC2:TGID_X_EN: 1
; COMPUTE_PGM_RSRC2:TGID_Y_EN: 1
; COMPUTE_PGM_RSRC2:TGID_Z_EN: 1
; COMPUTE_PGM_RSRC2:TIDIG_COMP_CNT: 1
; COMPUTE_PGM_RSRC3_GFX90A:ACCUM_OFFSET: 21
; COMPUTE_PGM_RSRC3_GFX90A:TG_SPLIT: 0
	.section	.text._ZN12_GLOBAL__N_127rocblas_gemm_batched_kernelIdLi16ELi16ELi64ELi64ELi4ELi64ELi4ELi4ELi64ELc67ELc67EKPKdS3_KPdEEvlllT_PT11_llS8_llS6_PT12_llPT13_lli,"axG",@progbits,_ZN12_GLOBAL__N_127rocblas_gemm_batched_kernelIdLi16ELi16ELi64ELi64ELi4ELi64ELi4ELi4ELi64ELc67ELc67EKPKdS3_KPdEEvlllT_PT11_llS8_llS6_PT12_llPT13_lli,comdat
	.globl	_ZN12_GLOBAL__N_127rocblas_gemm_batched_kernelIdLi16ELi16ELi64ELi64ELi4ELi64ELi4ELi4ELi64ELc67ELc67EKPKdS3_KPdEEvlllT_PT11_llS8_llS6_PT12_llPT13_lli ; -- Begin function _ZN12_GLOBAL__N_127rocblas_gemm_batched_kernelIdLi16ELi16ELi64ELi64ELi4ELi64ELi4ELi4ELi64ELc67ELc67EKPKdS3_KPdEEvlllT_PT11_llS8_llS6_PT12_llPT13_lli
	.p2align	8
	.type	_ZN12_GLOBAL__N_127rocblas_gemm_batched_kernelIdLi16ELi16ELi64ELi64ELi4ELi64ELi4ELi4ELi64ELc67ELc67EKPKdS3_KPdEEvlllT_PT11_llS8_llS6_PT12_llPT13_lli,@function
_ZN12_GLOBAL__N_127rocblas_gemm_batched_kernelIdLi16ELi16ELi64ELi64ELi4ELi64ELi4ELi4ELi64ELc67ELc67EKPKdS3_KPdEEvlllT_PT11_llS8_llS6_PT12_llPT13_lli: ; @_ZN12_GLOBAL__N_127rocblas_gemm_batched_kernelIdLi16ELi16ELi64ELi64ELi4ELi64ELi4ELi4ELi64ELc67ELc67EKPKdS3_KPdEEvlllT_PT11_llS8_llS6_PT12_llPT13_lli
; %bb.0:
	s_load_dwordx16 s[12:27], s[4:5], 0x10
	s_load_dwordx8 s[44:51], s[4:5], 0x70
	s_load_dwordx8 s[36:43], s[4:5], 0x50
	s_mov_b32 s9, 0
	s_lshl_b64 s[10:11], s[8:9], 3
	s_mov_b32 s28, s7
	v_bfe_u32 v43, v0, 10, 10
	s_waitcnt lgkmcnt(0)
	s_add_u32 s0, s38, s10
	s_addc_u32 s1, s39, s11
	s_add_u32 s2, s44, s10
	s_addc_u32 s3, s45, s11
	s_load_dwordx2 s[0:1], s[0:1], 0x0
	s_ashr_i32 s7, s6, 31
	s_load_dwordx2 s[4:5], s[2:3], 0x0
	s_ashr_i32 s29, s28, 31
	s_lshl_b64 s[2:3], s[6:7], 6
	s_lshl_b64 s[6:7], s[28:29], 6
	v_cmp_lt_i64_e64 s[28:29], s[12:13], 1
	v_and_b32_e32 v42, 0x3ff, v0
	s_mov_b64 s[8:9], 0
	s_and_b64 vcc, exec, s[28:29]
	s_cbranch_vccnz .LBB209_3
; %bb.1:
	s_add_u32 s16, s16, s10
	v_lshl_add_u32 v2, v43, 4, v42
	s_addc_u32 s17, s17, s11
	v_and_b32_e32 v4, 63, v2
	s_add_u32 s10, s22, s10
	v_lshrrev_b32_e32 v0, 2, v2
	v_and_b32_e32 v3, 3, v42
	v_lshrrev_b32_e32 v5, 6, v2
	v_lshlrev_b32_e32 v2, 3, v4
	s_addc_u32 s11, s23, s11
	v_lshl_or_b32 v44, v5, 9, v2
	v_lshlrev_b32_e32 v2, 3, v3
	s_load_dwordx2 s[10:11], s[10:11], 0x0
	v_mov_b32_e32 v1, 0
	v_lshl_or_b32 v2, v0, 5, v2
	v_add_u32_e32 v45, 0x800, v2
	v_mov_b32_e32 v2, 0x800
	s_lshl_b64 s[22:23], s[26:27], 3
	v_mad_u64_u32 v[0:1], s[26:27], v3, s24, v[0:1]
	v_lshl_add_u32 v47, v43, 5, v2
	v_mov_b32_e32 v2, v1
	v_mad_u64_u32 v[2:3], s[26:27], v3, s25, v[2:3]
	v_mov_b32_e32 v1, v2
	v_mov_b32_e32 v2, s7
	v_add_co_u32_e32 v0, vcc, s6, v0
	v_addc_co_u32_e32 v1, vcc, v1, v2, vcc
	s_waitcnt lgkmcnt(0)
	s_add_u32 s10, s10, s22
	v_lshlrev_b64 v[0:1], 3, v[0:1]
	s_addc_u32 s11, s11, s23
	v_mov_b32_e32 v2, s11
	v_add_co_u32_e32 v32, vcc, s10, v0
	v_addc_co_u32_e32 v33, vcc, v2, v1, vcc
	v_mov_b32_e32 v0, s3
	v_add_co_u32_e32 v1, vcc, s2, v4
	v_addc_co_u32_e32 v0, vcc, 0, v0, vcc
	v_mul_lo_u32 v2, s19, v1
	v_mul_lo_u32 v3, s18, v0
	v_mad_u64_u32 v[0:1], s[18:19], s18, v1, 0
	v_add3_u32 v1, v1, v3, v2
	s_load_dwordx2 s[16:17], s[16:17], 0x0
	v_lshlrev_b64 v[0:1], 3, v[0:1]
	s_lshl_b64 s[18:19], s[20:21], 3
	v_mov_b32_e32 v2, s19
	v_add_co_u32_e32 v0, vcc, s18, v0
	v_addc_co_u32_e32 v1, vcc, v1, v2, vcc
	v_lshlrev_b32_e32 v2, 3, v5
	v_add_co_u32_e32 v0, vcc, v0, v2
	v_addc_co_u32_e32 v1, vcc, 0, v1, vcc
	s_lshl_b64 s[10:11], s[24:25], 5
	s_waitcnt lgkmcnt(0)
	v_mov_b32_e32 v2, s17
	v_add_co_u32_e32 v34, vcc, s16, v0
	v_lshlrev_b32_e32 v46, 3, v42
	v_addc_co_u32_e32 v35, vcc, v2, v1, vcc
	v_pk_mov_b32 v[0:1], 0, 0
	v_mov_b32_e32 v48, s11
	v_pk_mov_b32 v[36:37], s[12:13], s[12:13] op_sel:[0,1]
	v_pk_mov_b32 v[2:3], 0, 0
	v_pk_mov_b32 v[4:5], 0, 0
	;; [unrolled: 1-line block ×15, first 2 shown]
.LBB209_2:                              ; =>This Inner Loop Header: Depth=1
	global_load_dwordx2 v[38:39], v[34:35], off
	global_load_dwordx2 v[40:41], v[32:33], off
	v_add_co_u32_e32 v32, vcc, s10, v32
	v_addc_co_u32_e32 v33, vcc, v33, v48, vcc
	s_add_u32 s8, s8, 4
	v_add_co_u32_e32 v34, vcc, 32, v34
	v_addc_co_u32_e32 v35, vcc, 0, v35, vcc
	s_addc_u32 s9, s9, 0
	v_cmp_lt_i64_e32 vcc, s[8:9], v[36:37]
	s_and_b64 vcc, exec, vcc
	s_waitcnt vmcnt(1)
	ds_write_b64 v44, v[38:39]
	s_waitcnt vmcnt(0)
	ds_write_b64 v45, v[40:41]
	s_waitcnt lgkmcnt(0)
	s_barrier
	ds_read2_b64 v[38:41], v46 offset1:16
	ds_read_b128 v[50:53], v47
	ds_read_b128 v[54:57], v47 offset:16
	ds_read_b128 v[58:61], v47 offset:512
	;; [unrolled: 1-line block ×6, first 2 shown]
	s_waitcnt lgkmcnt(6)
	v_fmac_f64_e32 v[30:31], v[38:39], v[50:51]
	v_fmac_f64_e32 v[28:29], v[40:41], v[50:51]
	s_waitcnt lgkmcnt(4)
	v_fmac_f64_e32 v[22:23], v[38:39], v[58:59]
	v_fmac_f64_e32 v[20:21], v[40:41], v[58:59]
	;; [unrolled: 3-line block ×4, first 2 shown]
	ds_read2_b64 v[38:41], v46 offset0:32 offset1:48
	ds_read2_b64 v[82:85], v46 offset0:96 offset1:112
	ds_read_b128 v[78:81], v47 offset:1552
	s_waitcnt lgkmcnt(2)
	v_fmac_f64_e32 v[26:27], v[38:39], v[50:51]
	v_fmac_f64_e32 v[24:25], v[40:41], v[50:51]
	;; [unrolled: 1-line block ×8, first 2 shown]
	ds_read2_b64 v[38:41], v46 offset0:64 offset1:80
	s_waitcnt lgkmcnt(2)
	v_fmac_f64_e32 v[26:27], v[82:83], v[52:53]
	v_fmac_f64_e32 v[24:25], v[84:85], v[52:53]
	;; [unrolled: 1-line block ×4, first 2 shown]
	s_waitcnt lgkmcnt(0)
	v_fmac_f64_e32 v[30:31], v[38:39], v[52:53]
	v_fmac_f64_e32 v[28:29], v[40:41], v[52:53]
	;; [unrolled: 1-line block ×6, first 2 shown]
	ds_read2_b64 v[50:53], v46 offset0:128 offset1:144
	v_fmac_f64_e32 v[6:7], v[38:39], v[76:77]
	v_fmac_f64_e32 v[4:5], v[40:41], v[76:77]
	ds_read2_b64 v[38:41], v46 offset0:160 offset1:176
	v_fmac_f64_e32 v[10:11], v[82:83], v[68:69]
	v_fmac_f64_e32 v[8:9], v[84:85], v[68:69]
	ds_read2_b64 v[58:61], v46 offset0:192 offset1:208
	ds_read2_b64 v[66:69], v46 offset0:224 offset1:240
	v_fmac_f64_e32 v[2:3], v[82:83], v[76:77]
	v_fmac_f64_e32 v[0:1], v[84:85], v[76:77]
	s_waitcnt lgkmcnt(3)
	v_fmac_f64_e32 v[30:31], v[50:51], v[54:55]
	v_fmac_f64_e32 v[28:29], v[52:53], v[54:55]
	;; [unrolled: 1-line block ×8, first 2 shown]
	s_waitcnt lgkmcnt(2)
	v_fmac_f64_e32 v[26:27], v[38:39], v[54:55]
	v_fmac_f64_e32 v[24:25], v[40:41], v[54:55]
	;; [unrolled: 1-line block ×8, first 2 shown]
	s_waitcnt lgkmcnt(1)
	v_fmac_f64_e32 v[30:31], v[58:59], v[56:57]
	v_fmac_f64_e32 v[28:29], v[60:61], v[56:57]
	s_waitcnt lgkmcnt(0)
	v_fmac_f64_e32 v[26:27], v[66:67], v[56:57]
	v_fmac_f64_e32 v[24:25], v[68:69], v[56:57]
	;; [unrolled: 1-line block ×14, first 2 shown]
	s_barrier
	s_cbranch_vccnz .LBB209_2
	s_branch .LBB209_4
.LBB209_3:
	v_pk_mov_b32 v[30:31], 0, 0
	v_pk_mov_b32 v[28:29], 0, 0
	;; [unrolled: 1-line block ×16, first 2 shown]
.LBB209_4:
	v_mov_b32_e32 v32, s7
	v_add_co_u32_e32 v34, vcc, s6, v43
	v_addc_co_u32_e32 v37, vcc, 0, v32, vcc
	s_lshl_b64 s[8:9], s[48:49], 3
	v_mov_b32_e32 v33, s3
	v_add_co_u32_e32 v32, vcc, s2, v42
	s_waitcnt lgkmcnt(0)
	s_add_u32 s8, s4, s8
	v_cmp_neq_f64_e64 s[6:7], s[36:37], 0
	v_addc_co_u32_e32 v33, vcc, 0, v33, vcc
	s_addc_u32 s9, s5, s9
	s_mov_b64 s[4:5], 0
	s_and_b64 vcc, exec, s[6:7]
	v_mul_lo_u32 v35, v37, s46
	v_mul_lo_u32 v36, v34, s47
	v_lshlrev_b64 v[32:33], 3, v[32:33]
	s_cbranch_vccnz .LBB209_8
; %bb.5:
	v_mad_u64_u32 v[38:39], s[2:3], v34, s46, 0
	v_add3_u32 v39, v39, v36, v35
	v_lshlrev_b64 v[38:39], 3, v[38:39]
	v_mov_b32_e32 v40, s9
	v_add_co_u32_e32 v41, vcc, s8, v38
	v_addc_co_u32_e32 v42, vcc, v40, v39, vcc
	v_add_co_u32_e32 v40, vcc, v41, v32
	v_mul_f64 v[38:39], v[30:31], s[14:15]
	v_addc_co_u32_e32 v41, vcc, v42, v33, vcc
	global_store_dwordx2 v[40:41], v[38:39], off
	v_mul_f64 v[38:39], v[28:29], s[14:15]
	global_store_dwordx2 v[40:41], v[38:39], off offset:128
	v_mul_f64 v[38:39], v[26:27], s[14:15]
	global_store_dwordx2 v[40:41], v[38:39], off offset:256
	v_mul_f64 v[38:39], v[24:25], s[14:15]
	s_lshl_b64 s[2:3], s[46:47], 7
	global_store_dwordx2 v[40:41], v[38:39], off offset:384
	v_mov_b32_e32 v42, s3
	v_add_co_u32_e32 v40, vcc, s2, v40
	v_mul_f64 v[38:39], v[22:23], s[14:15]
	v_addc_co_u32_e32 v41, vcc, v41, v42, vcc
	global_store_dwordx2 v[40:41], v[38:39], off
	v_mul_f64 v[38:39], v[20:21], s[14:15]
	global_store_dwordx2 v[40:41], v[38:39], off offset:128
	v_mul_f64 v[38:39], v[18:19], s[14:15]
	global_store_dwordx2 v[40:41], v[38:39], off offset:256
	v_mul_f64 v[38:39], v[16:17], s[14:15]
	global_store_dwordx2 v[40:41], v[38:39], off offset:384
	v_add_co_u32_e32 v40, vcc, s2, v40
	v_mul_f64 v[38:39], v[14:15], s[14:15]
	v_addc_co_u32_e32 v41, vcc, v41, v42, vcc
	global_store_dwordx2 v[40:41], v[38:39], off
	v_mul_f64 v[38:39], v[12:13], s[14:15]
	global_store_dwordx2 v[40:41], v[38:39], off offset:128
	v_mul_f64 v[38:39], v[10:11], s[14:15]
	global_store_dwordx2 v[40:41], v[38:39], off offset:256
	v_mul_f64 v[38:39], v[8:9], s[14:15]
	global_store_dwordx2 v[40:41], v[38:39], off offset:384
	;; [unrolled: 10-line block ×3, first 2 shown]
	s_andn2_b64 vcc, exec, s[4:5]
	s_cbranch_vccnz .LBB209_7
.LBB209_6:
	s_lshl_b64 s[2:3], s[42:43], 3
	s_add_u32 s2, s0, s2
	s_addc_u32 s3, s1, s3
	v_mul_lo_u32 v37, v37, s40
	v_mul_lo_u32 v40, v34, s41
	v_mad_u64_u32 v[38:39], s[0:1], v34, s40, 0
	v_add3_u32 v39, v39, v40, v37
	v_lshlrev_b64 v[38:39], 3, v[38:39]
	v_mov_b32_e32 v37, s3
	v_add_co_u32_e32 v38, vcc, s2, v38
	v_addc_co_u32_e32 v37, vcc, v37, v39, vcc
	v_add_co_u32_e32 v38, vcc, v38, v32
	v_addc_co_u32_e32 v39, vcc, v37, v33, vcc
	global_load_dwordx2 v[40:41], v[38:39], off
	v_mad_u64_u32 v[42:43], s[0:1], v34, s46, 0
	v_add3_u32 v43, v43, v36, v35
	v_lshlrev_b64 v[34:35], 3, v[42:43]
	v_mov_b32_e32 v37, s9
	v_add_co_u32_e32 v34, vcc, s8, v34
	v_addc_co_u32_e32 v35, vcc, v37, v35, vcc
	v_add_co_u32_e32 v32, vcc, v34, v32
	v_addc_co_u32_e32 v33, vcc, v35, v33, vcc
	s_lshl_b64 s[0:1], s[40:41], 7
	s_lshl_b64 s[2:3], s[46:47], 7
	s_waitcnt vmcnt(0)
	v_mul_f64 v[34:35], v[40:41], s[36:37]
	v_fmac_f64_e32 v[34:35], s[14:15], v[30:31]
	global_store_dwordx2 v[32:33], v[34:35], off
	global_load_dwordx2 v[30:31], v[38:39], off offset:128
	s_waitcnt vmcnt(0)
	v_mul_f64 v[30:31], v[30:31], s[36:37]
	v_fmac_f64_e32 v[30:31], s[14:15], v[28:29]
	global_store_dwordx2 v[32:33], v[30:31], off offset:128
	global_load_dwordx2 v[28:29], v[38:39], off offset:256
	v_mov_b32_e32 v30, s1
	v_mov_b32_e32 v31, s3
	s_waitcnt vmcnt(0)
	v_mul_f64 v[28:29], v[28:29], s[36:37]
	v_fmac_f64_e32 v[28:29], s[14:15], v[26:27]
	global_store_dwordx2 v[32:33], v[28:29], off offset:256
	global_load_dwordx2 v[26:27], v[38:39], off offset:384
	v_add_co_u32_e32 v28, vcc, s0, v38
	v_addc_co_u32_e32 v29, vcc, v39, v30, vcc
	s_waitcnt vmcnt(0)
	v_mul_f64 v[26:27], v[26:27], s[36:37]
	v_fmac_f64_e32 v[26:27], s[14:15], v[24:25]
	global_store_dwordx2 v[32:33], v[26:27], off offset:384
	global_load_dwordx2 v[24:25], v[28:29], off
	v_add_co_u32_e32 v26, vcc, s2, v32
	v_addc_co_u32_e32 v27, vcc, v33, v31, vcc
	s_waitcnt vmcnt(0)
	v_mul_f64 v[24:25], v[24:25], s[36:37]
	v_fmac_f64_e32 v[24:25], s[14:15], v[22:23]
	global_store_dwordx2 v[26:27], v[24:25], off
	global_load_dwordx2 v[22:23], v[28:29], off offset:128
	s_waitcnt vmcnt(0)
	v_mul_f64 v[22:23], v[22:23], s[36:37]
	v_fmac_f64_e32 v[22:23], s[14:15], v[20:21]
	global_store_dwordx2 v[26:27], v[22:23], off offset:128
	global_load_dwordx2 v[20:21], v[28:29], off offset:256
	s_waitcnt vmcnt(0)
	v_mul_f64 v[20:21], v[20:21], s[36:37]
	v_fmac_f64_e32 v[20:21], s[14:15], v[18:19]
	global_store_dwordx2 v[26:27], v[20:21], off offset:256
	global_load_dwordx2 v[18:19], v[28:29], off offset:384
	v_add_co_u32_e32 v20, vcc, s0, v28
	v_addc_co_u32_e32 v21, vcc, v29, v30, vcc
	s_waitcnt vmcnt(0)
	v_mul_f64 v[18:19], v[18:19], s[36:37]
	v_fmac_f64_e32 v[18:19], s[14:15], v[16:17]
	global_store_dwordx2 v[26:27], v[18:19], off offset:384
	global_load_dwordx2 v[16:17], v[20:21], off
	v_add_co_u32_e32 v18, vcc, s2, v26
	v_addc_co_u32_e32 v19, vcc, v27, v31, vcc
	s_waitcnt vmcnt(0)
	v_mul_f64 v[16:17], v[16:17], s[36:37]
	v_fmac_f64_e32 v[16:17], s[14:15], v[14:15]
	global_store_dwordx2 v[18:19], v[16:17], off
	global_load_dwordx2 v[14:15], v[20:21], off offset:128
	s_waitcnt vmcnt(0)
	v_mul_f64 v[14:15], v[14:15], s[36:37]
	v_fmac_f64_e32 v[14:15], s[14:15], v[12:13]
	global_store_dwordx2 v[18:19], v[14:15], off offset:128
	global_load_dwordx2 v[12:13], v[20:21], off offset:256
	s_waitcnt vmcnt(0)
	v_mul_f64 v[12:13], v[12:13], s[36:37]
	v_fmac_f64_e32 v[12:13], s[14:15], v[10:11]
	global_store_dwordx2 v[18:19], v[12:13], off offset:256
	global_load_dwordx2 v[10:11], v[20:21], off offset:384
	v_add_co_u32_e32 v12, vcc, s0, v20
	v_addc_co_u32_e32 v13, vcc, v21, v30, vcc
	s_waitcnt vmcnt(0)
	v_mul_f64 v[10:11], v[10:11], s[36:37]
	v_fmac_f64_e32 v[10:11], s[14:15], v[8:9]
	global_store_dwordx2 v[18:19], v[10:11], off offset:384
	global_load_dwordx2 v[8:9], v[12:13], off
	s_waitcnt vmcnt(0)
	v_mul_f64 v[8:9], v[8:9], s[36:37]
	v_fmac_f64_e32 v[8:9], s[14:15], v[6:7]
	v_add_co_u32_e32 v6, vcc, s2, v18
	v_addc_co_u32_e32 v7, vcc, v19, v31, vcc
	global_store_dwordx2 v[6:7], v[8:9], off
	global_load_dwordx2 v[8:9], v[12:13], off offset:128
	s_waitcnt vmcnt(0)
	v_mul_f64 v[8:9], v[8:9], s[36:37]
	v_fmac_f64_e32 v[8:9], s[14:15], v[4:5]
	global_store_dwordx2 v[6:7], v[8:9], off offset:128
	global_load_dwordx2 v[4:5], v[12:13], off offset:256
	s_waitcnt vmcnt(0)
	v_mul_f64 v[4:5], v[4:5], s[36:37]
	v_fmac_f64_e32 v[4:5], s[14:15], v[2:3]
	global_store_dwordx2 v[6:7], v[4:5], off offset:256
	;; [unrolled: 5-line block ×3, first 2 shown]
.LBB209_7:
	s_endpgm
.LBB209_8:
	s_branch .LBB209_6
	.section	.rodata,"a",@progbits
	.p2align	6, 0x0
	.amdhsa_kernel _ZN12_GLOBAL__N_127rocblas_gemm_batched_kernelIdLi16ELi16ELi64ELi64ELi4ELi64ELi4ELi4ELi64ELc67ELc67EKPKdS3_KPdEEvlllT_PT11_llS8_llS6_PT12_llPT13_lli
		.amdhsa_group_segment_fixed_size 4096
		.amdhsa_private_segment_fixed_size 0
		.amdhsa_kernarg_size 140
		.amdhsa_user_sgpr_count 6
		.amdhsa_user_sgpr_private_segment_buffer 1
		.amdhsa_user_sgpr_dispatch_ptr 0
		.amdhsa_user_sgpr_queue_ptr 0
		.amdhsa_user_sgpr_kernarg_segment_ptr 1
		.amdhsa_user_sgpr_dispatch_id 0
		.amdhsa_user_sgpr_flat_scratch_init 0
		.amdhsa_user_sgpr_kernarg_preload_length 0
		.amdhsa_user_sgpr_kernarg_preload_offset 0
		.amdhsa_user_sgpr_private_segment_size 0
		.amdhsa_uses_dynamic_stack 0
		.amdhsa_system_sgpr_private_segment_wavefront_offset 0
		.amdhsa_system_sgpr_workgroup_id_x 1
		.amdhsa_system_sgpr_workgroup_id_y 1
		.amdhsa_system_sgpr_workgroup_id_z 1
		.amdhsa_system_sgpr_workgroup_info 0
		.amdhsa_system_vgpr_workitem_id 1
		.amdhsa_next_free_vgpr 86
		.amdhsa_next_free_sgpr 52
		.amdhsa_accum_offset 88
		.amdhsa_reserve_vcc 1
		.amdhsa_reserve_flat_scratch 0
		.amdhsa_float_round_mode_32 0
		.amdhsa_float_round_mode_16_64 0
		.amdhsa_float_denorm_mode_32 3
		.amdhsa_float_denorm_mode_16_64 3
		.amdhsa_dx10_clamp 1
		.amdhsa_ieee_mode 1
		.amdhsa_fp16_overflow 0
		.amdhsa_tg_split 0
		.amdhsa_exception_fp_ieee_invalid_op 0
		.amdhsa_exception_fp_denorm_src 0
		.amdhsa_exception_fp_ieee_div_zero 0
		.amdhsa_exception_fp_ieee_overflow 0
		.amdhsa_exception_fp_ieee_underflow 0
		.amdhsa_exception_fp_ieee_inexact 0
		.amdhsa_exception_int_div_zero 0
	.end_amdhsa_kernel
	.section	.text._ZN12_GLOBAL__N_127rocblas_gemm_batched_kernelIdLi16ELi16ELi64ELi64ELi4ELi64ELi4ELi4ELi64ELc67ELc67EKPKdS3_KPdEEvlllT_PT11_llS8_llS6_PT12_llPT13_lli,"axG",@progbits,_ZN12_GLOBAL__N_127rocblas_gemm_batched_kernelIdLi16ELi16ELi64ELi64ELi4ELi64ELi4ELi4ELi64ELc67ELc67EKPKdS3_KPdEEvlllT_PT11_llS8_llS6_PT12_llPT13_lli,comdat
.Lfunc_end209:
	.size	_ZN12_GLOBAL__N_127rocblas_gemm_batched_kernelIdLi16ELi16ELi64ELi64ELi4ELi64ELi4ELi4ELi64ELc67ELc67EKPKdS3_KPdEEvlllT_PT11_llS8_llS6_PT12_llPT13_lli, .Lfunc_end209-_ZN12_GLOBAL__N_127rocblas_gemm_batched_kernelIdLi16ELi16ELi64ELi64ELi4ELi64ELi4ELi4ELi64ELc67ELc67EKPKdS3_KPdEEvlllT_PT11_llS8_llS6_PT12_llPT13_lli
                                        ; -- End function
	.section	.AMDGPU.csdata,"",@progbits
; Kernel info:
; codeLenInByte = 2320
; NumSgprs: 56
; NumVgprs: 86
; NumAgprs: 0
; TotalNumVgprs: 86
; ScratchSize: 0
; MemoryBound: 0
; FloatMode: 240
; IeeeMode: 1
; LDSByteSize: 4096 bytes/workgroup (compile time only)
; SGPRBlocks: 6
; VGPRBlocks: 10
; NumSGPRsForWavesPerEU: 56
; NumVGPRsForWavesPerEU: 86
; AccumOffset: 88
; Occupancy: 5
; WaveLimiterHint : 1
; COMPUTE_PGM_RSRC2:SCRATCH_EN: 0
; COMPUTE_PGM_RSRC2:USER_SGPR: 6
; COMPUTE_PGM_RSRC2:TRAP_HANDLER: 0
; COMPUTE_PGM_RSRC2:TGID_X_EN: 1
; COMPUTE_PGM_RSRC2:TGID_Y_EN: 1
; COMPUTE_PGM_RSRC2:TGID_Z_EN: 1
; COMPUTE_PGM_RSRC2:TIDIG_COMP_CNT: 1
; COMPUTE_PGM_RSRC3_GFX90A:ACCUM_OFFSET: 21
; COMPUTE_PGM_RSRC3_GFX90A:TG_SPLIT: 0
	.section	.text._ZN12_GLOBAL__N_127rocblas_gemm_batched_kernelIdLi16ELi16ELi64ELi64ELi4ELi64ELi4ELi4ELi64ELc67ELc78EKPKdS3_KPdEEvlllT_PT11_llS8_llS6_PT12_llPT13_lli,"axG",@progbits,_ZN12_GLOBAL__N_127rocblas_gemm_batched_kernelIdLi16ELi16ELi64ELi64ELi4ELi64ELi4ELi4ELi64ELc67ELc78EKPKdS3_KPdEEvlllT_PT11_llS8_llS6_PT12_llPT13_lli,comdat
	.globl	_ZN12_GLOBAL__N_127rocblas_gemm_batched_kernelIdLi16ELi16ELi64ELi64ELi4ELi64ELi4ELi4ELi64ELc67ELc78EKPKdS3_KPdEEvlllT_PT11_llS8_llS6_PT12_llPT13_lli ; -- Begin function _ZN12_GLOBAL__N_127rocblas_gemm_batched_kernelIdLi16ELi16ELi64ELi64ELi4ELi64ELi4ELi4ELi64ELc67ELc78EKPKdS3_KPdEEvlllT_PT11_llS8_llS6_PT12_llPT13_lli
	.p2align	8
	.type	_ZN12_GLOBAL__N_127rocblas_gemm_batched_kernelIdLi16ELi16ELi64ELi64ELi4ELi64ELi4ELi4ELi64ELc67ELc78EKPKdS3_KPdEEvlllT_PT11_llS8_llS6_PT12_llPT13_lli,@function
_ZN12_GLOBAL__N_127rocblas_gemm_batched_kernelIdLi16ELi16ELi64ELi64ELi4ELi64ELi4ELi4ELi64ELc67ELc78EKPKdS3_KPdEEvlllT_PT11_llS8_llS6_PT12_llPT13_lli: ; @_ZN12_GLOBAL__N_127rocblas_gemm_batched_kernelIdLi16ELi16ELi64ELi64ELi4ELi64ELi4ELi4ELi64ELc67ELc78EKPKdS3_KPdEEvlllT_PT11_llS8_llS6_PT12_llPT13_lli
; %bb.0:
	s_load_dwordx16 s[12:27], s[4:5], 0x10
	s_load_dwordx8 s[44:51], s[4:5], 0x70
	s_load_dwordx8 s[36:43], s[4:5], 0x50
	s_mov_b32 s9, 0
	s_lshl_b64 s[10:11], s[8:9], 3
	s_mov_b32 s28, s7
	v_bfe_u32 v39, v0, 10, 10
	s_waitcnt lgkmcnt(0)
	s_add_u32 s0, s38, s10
	s_addc_u32 s1, s39, s11
	s_add_u32 s2, s44, s10
	s_addc_u32 s3, s45, s11
	s_load_dwordx2 s[0:1], s[0:1], 0x0
	s_ashr_i32 s7, s6, 31
	s_load_dwordx2 s[4:5], s[2:3], 0x0
	s_ashr_i32 s29, s28, 31
	s_lshl_b64 s[2:3], s[6:7], 6
	s_lshl_b64 s[6:7], s[28:29], 6
	v_cmp_lt_i64_e64 s[28:29], s[12:13], 1
	v_and_b32_e32 v38, 0x3ff, v0
	s_mov_b64 s[8:9], 0
	s_and_b64 vcc, exec, s[28:29]
	s_cbranch_vccnz .LBB210_3
; %bb.1:
	v_lshl_add_u32 v0, v39, 4, v38
	v_and_b32_e32 v4, 3, v38
	v_and_b32_e32 v5, 63, v0
	s_add_u32 s16, s16, s10
	v_lshrrev_b32_e32 v1, 2, v0
	v_lshrrev_b32_e32 v6, 6, v0
	v_lshlrev_b32_e32 v0, 3, v5
	v_lshlrev_b32_e32 v4, 3, v4
	s_addc_u32 s17, s17, s11
	v_mov_b32_e32 v2, s7
	v_add_co_u32_e32 v3, vcc, s6, v1
	v_lshl_or_b32 v40, v6, 9, v0
	v_lshl_or_b32 v0, v1, 5, v4
	s_add_u32 s10, s22, s10
	v_addc_co_u32_e32 v2, vcc, 0, v2, vcc
	v_add_u32_e32 v41, 0x800, v0
	v_mov_b32_e32 v0, 0x800
	s_addc_u32 s11, s23, s11
	v_lshl_add_u32 v43, v39, 5, v0
	v_mul_lo_u32 v7, s25, v3
	v_mul_lo_u32 v2, s24, v2
	v_mad_u64_u32 v[0:1], s[22:23], s24, v3, 0
	v_add3_u32 v1, v1, v2, v7
	s_load_dwordx2 s[10:11], s[10:11], 0x0
	v_lshlrev_b64 v[0:1], 3, v[0:1]
	s_lshl_b64 s[22:23], s[26:27], 3
	v_mov_b32_e32 v2, s23
	v_add_co_u32_e32 v0, vcc, s22, v0
	v_addc_co_u32_e32 v1, vcc, v1, v2, vcc
	v_add_co_u32_e32 v0, vcc, v0, v4
	v_addc_co_u32_e32 v1, vcc, 0, v1, vcc
	s_waitcnt lgkmcnt(0)
	v_mov_b32_e32 v2, s11
	v_add_co_u32_e32 v32, vcc, s10, v0
	v_addc_co_u32_e32 v33, vcc, v2, v1, vcc
	v_mov_b32_e32 v0, s3
	v_add_co_u32_e32 v1, vcc, s2, v5
	v_addc_co_u32_e32 v0, vcc, 0, v0, vcc
	v_mul_lo_u32 v2, s19, v1
	v_mul_lo_u32 v3, s18, v0
	v_mad_u64_u32 v[0:1], s[10:11], s18, v1, 0
	v_add3_u32 v1, v1, v3, v2
	s_load_dwordx2 s[16:17], s[16:17], 0x0
	v_lshlrev_b64 v[0:1], 3, v[0:1]
	s_lshl_b64 s[10:11], s[20:21], 3
	v_mov_b32_e32 v2, s11
	v_add_co_u32_e32 v0, vcc, s10, v0
	v_addc_co_u32_e32 v1, vcc, v1, v2, vcc
	v_lshlrev_b32_e32 v2, 3, v6
	v_add_co_u32_e32 v0, vcc, v0, v2
	v_addc_co_u32_e32 v1, vcc, 0, v1, vcc
	s_waitcnt lgkmcnt(0)
	v_mov_b32_e32 v2, s17
	v_add_co_u32_e32 v34, vcc, s16, v0
	v_lshlrev_b32_e32 v42, 3, v38
	v_addc_co_u32_e32 v35, vcc, v2, v1, vcc
	v_pk_mov_b32 v[0:1], 0, 0
	v_pk_mov_b32 v[36:37], s[12:13], s[12:13] op_sel:[0,1]
	v_pk_mov_b32 v[2:3], 0, 0
	v_pk_mov_b32 v[4:5], 0, 0
	;; [unrolled: 1-line block ×15, first 2 shown]
.LBB210_2:                              ; =>This Inner Loop Header: Depth=1
	global_load_dwordx2 v[44:45], v[34:35], off
	global_load_dwordx2 v[46:47], v[32:33], off
	v_add_co_u32_e32 v32, vcc, 32, v32
	v_addc_co_u32_e32 v33, vcc, 0, v33, vcc
	s_add_u32 s8, s8, 4
	v_add_co_u32_e32 v34, vcc, 32, v34
	v_addc_co_u32_e32 v35, vcc, 0, v35, vcc
	s_addc_u32 s9, s9, 0
	v_cmp_lt_i64_e32 vcc, s[8:9], v[36:37]
	s_and_b64 vcc, exec, vcc
	s_waitcnt vmcnt(1)
	ds_write_b64 v40, v[44:45]
	s_waitcnt vmcnt(0)
	ds_write_b64 v41, v[46:47]
	s_waitcnt lgkmcnt(0)
	s_barrier
	ds_read2_b64 v[44:47], v42 offset1:16
	ds_read_b128 v[48:51], v43
	ds_read_b128 v[52:55], v43 offset:16
	ds_read_b128 v[56:59], v43 offset:512
	;; [unrolled: 1-line block ×7, first 2 shown]
	s_waitcnt lgkmcnt(7)
	v_fmac_f64_e32 v[30:31], v[44:45], v[48:49]
	v_fmac_f64_e32 v[28:29], v[46:47], v[48:49]
	s_waitcnt lgkmcnt(5)
	v_fmac_f64_e32 v[22:23], v[44:45], v[56:57]
	v_fmac_f64_e32 v[20:21], v[46:47], v[56:57]
	;; [unrolled: 3-line block ×4, first 2 shown]
	ds_read2_b64 v[44:47], v42 offset0:32 offset1:48
	ds_read2_b64 v[80:83], v42 offset0:96 offset1:112
	s_waitcnt lgkmcnt(1)
	v_fmac_f64_e32 v[26:27], v[44:45], v[48:49]
	v_fmac_f64_e32 v[24:25], v[46:47], v[48:49]
	;; [unrolled: 1-line block ×8, first 2 shown]
	ds_read2_b64 v[44:47], v42 offset0:64 offset1:80
	s_waitcnt lgkmcnt(1)
	v_fmac_f64_e32 v[26:27], v[80:81], v[50:51]
	v_fmac_f64_e32 v[24:25], v[82:83], v[50:51]
	;; [unrolled: 1-line block ×4, first 2 shown]
	s_waitcnt lgkmcnt(0)
	v_fmac_f64_e32 v[30:31], v[44:45], v[50:51]
	v_fmac_f64_e32 v[28:29], v[46:47], v[50:51]
	;; [unrolled: 1-line block ×8, first 2 shown]
	ds_read2_b64 v[44:47], v42 offset0:128 offset1:144
	ds_read2_b64 v[48:51], v42 offset0:160 offset1:176
	v_fmac_f64_e32 v[10:11], v[80:81], v[66:67]
	v_fmac_f64_e32 v[8:9], v[82:83], v[66:67]
	;; [unrolled: 1-line block ×4, first 2 shown]
	s_waitcnt lgkmcnt(1)
	v_fmac_f64_e32 v[30:31], v[44:45], v[52:53]
	v_fmac_f64_e32 v[28:29], v[46:47], v[52:53]
	;; [unrolled: 1-line block ×8, first 2 shown]
	ds_read2_b64 v[44:47], v42 offset0:192 offset1:208
	s_waitcnt lgkmcnt(1)
	v_fmac_f64_e32 v[26:27], v[48:49], v[52:53]
	v_fmac_f64_e32 v[24:25], v[50:51], v[52:53]
	;; [unrolled: 1-line block ×8, first 2 shown]
	ds_read2_b64 v[48:51], v42 offset0:224 offset1:240
	s_waitcnt lgkmcnt(1)
	v_fmac_f64_e32 v[30:31], v[44:45], v[54:55]
	v_fmac_f64_e32 v[28:29], v[46:47], v[54:55]
	;; [unrolled: 1-line block ×4, first 2 shown]
	s_waitcnt lgkmcnt(0)
	v_fmac_f64_e32 v[26:27], v[48:49], v[54:55]
	v_fmac_f64_e32 v[24:25], v[50:51], v[54:55]
	;; [unrolled: 1-line block ×12, first 2 shown]
	s_barrier
	s_cbranch_vccnz .LBB210_2
	s_branch .LBB210_4
.LBB210_3:
	v_pk_mov_b32 v[30:31], 0, 0
	v_pk_mov_b32 v[28:29], 0, 0
	;; [unrolled: 1-line block ×16, first 2 shown]
.LBB210_4:
	v_mov_b32_e32 v32, s7
	v_add_co_u32_e32 v34, vcc, s6, v39
	v_addc_co_u32_e32 v37, vcc, 0, v32, vcc
	s_lshl_b64 s[8:9], s[48:49], 3
	v_mov_b32_e32 v33, s3
	v_add_co_u32_e32 v32, vcc, s2, v38
	s_waitcnt lgkmcnt(0)
	s_add_u32 s8, s4, s8
	v_cmp_neq_f64_e64 s[6:7], s[36:37], 0
	v_addc_co_u32_e32 v33, vcc, 0, v33, vcc
	s_addc_u32 s9, s5, s9
	s_mov_b64 s[4:5], 0
	s_and_b64 vcc, exec, s[6:7]
	v_mul_lo_u32 v35, v37, s46
	v_mul_lo_u32 v36, v34, s47
	v_lshlrev_b64 v[32:33], 3, v[32:33]
	s_cbranch_vccnz .LBB210_8
; %bb.5:
	v_mad_u64_u32 v[38:39], s[2:3], v34, s46, 0
	v_add3_u32 v39, v39, v36, v35
	v_lshlrev_b64 v[38:39], 3, v[38:39]
	v_mov_b32_e32 v40, s9
	v_add_co_u32_e32 v41, vcc, s8, v38
	v_addc_co_u32_e32 v42, vcc, v40, v39, vcc
	v_add_co_u32_e32 v40, vcc, v41, v32
	v_mul_f64 v[38:39], v[30:31], s[14:15]
	v_addc_co_u32_e32 v41, vcc, v42, v33, vcc
	global_store_dwordx2 v[40:41], v[38:39], off
	v_mul_f64 v[38:39], v[28:29], s[14:15]
	global_store_dwordx2 v[40:41], v[38:39], off offset:128
	v_mul_f64 v[38:39], v[26:27], s[14:15]
	global_store_dwordx2 v[40:41], v[38:39], off offset:256
	v_mul_f64 v[38:39], v[24:25], s[14:15]
	s_lshl_b64 s[2:3], s[46:47], 7
	global_store_dwordx2 v[40:41], v[38:39], off offset:384
	v_mov_b32_e32 v42, s3
	v_add_co_u32_e32 v40, vcc, s2, v40
	v_mul_f64 v[38:39], v[22:23], s[14:15]
	v_addc_co_u32_e32 v41, vcc, v41, v42, vcc
	global_store_dwordx2 v[40:41], v[38:39], off
	v_mul_f64 v[38:39], v[20:21], s[14:15]
	global_store_dwordx2 v[40:41], v[38:39], off offset:128
	v_mul_f64 v[38:39], v[18:19], s[14:15]
	global_store_dwordx2 v[40:41], v[38:39], off offset:256
	v_mul_f64 v[38:39], v[16:17], s[14:15]
	global_store_dwordx2 v[40:41], v[38:39], off offset:384
	v_add_co_u32_e32 v40, vcc, s2, v40
	v_mul_f64 v[38:39], v[14:15], s[14:15]
	v_addc_co_u32_e32 v41, vcc, v41, v42, vcc
	global_store_dwordx2 v[40:41], v[38:39], off
	v_mul_f64 v[38:39], v[12:13], s[14:15]
	global_store_dwordx2 v[40:41], v[38:39], off offset:128
	v_mul_f64 v[38:39], v[10:11], s[14:15]
	global_store_dwordx2 v[40:41], v[38:39], off offset:256
	v_mul_f64 v[38:39], v[8:9], s[14:15]
	global_store_dwordx2 v[40:41], v[38:39], off offset:384
	;; [unrolled: 10-line block ×3, first 2 shown]
	s_andn2_b64 vcc, exec, s[4:5]
	s_cbranch_vccnz .LBB210_7
.LBB210_6:
	s_lshl_b64 s[2:3], s[42:43], 3
	s_add_u32 s2, s0, s2
	s_addc_u32 s3, s1, s3
	v_mul_lo_u32 v37, v37, s40
	v_mul_lo_u32 v40, v34, s41
	v_mad_u64_u32 v[38:39], s[0:1], v34, s40, 0
	v_add3_u32 v39, v39, v40, v37
	v_lshlrev_b64 v[38:39], 3, v[38:39]
	v_mov_b32_e32 v37, s3
	v_add_co_u32_e32 v38, vcc, s2, v38
	v_addc_co_u32_e32 v37, vcc, v37, v39, vcc
	v_add_co_u32_e32 v38, vcc, v38, v32
	v_addc_co_u32_e32 v39, vcc, v37, v33, vcc
	global_load_dwordx2 v[40:41], v[38:39], off
	v_mad_u64_u32 v[42:43], s[0:1], v34, s46, 0
	v_add3_u32 v43, v43, v36, v35
	v_lshlrev_b64 v[34:35], 3, v[42:43]
	v_mov_b32_e32 v37, s9
	v_add_co_u32_e32 v34, vcc, s8, v34
	v_addc_co_u32_e32 v35, vcc, v37, v35, vcc
	v_add_co_u32_e32 v32, vcc, v34, v32
	v_addc_co_u32_e32 v33, vcc, v35, v33, vcc
	s_lshl_b64 s[0:1], s[40:41], 7
	s_lshl_b64 s[2:3], s[46:47], 7
	s_waitcnt vmcnt(0)
	v_mul_f64 v[34:35], v[40:41], s[36:37]
	v_fmac_f64_e32 v[34:35], s[14:15], v[30:31]
	global_store_dwordx2 v[32:33], v[34:35], off
	global_load_dwordx2 v[30:31], v[38:39], off offset:128
	s_waitcnt vmcnt(0)
	v_mul_f64 v[30:31], v[30:31], s[36:37]
	v_fmac_f64_e32 v[30:31], s[14:15], v[28:29]
	global_store_dwordx2 v[32:33], v[30:31], off offset:128
	global_load_dwordx2 v[28:29], v[38:39], off offset:256
	v_mov_b32_e32 v30, s1
	v_mov_b32_e32 v31, s3
	s_waitcnt vmcnt(0)
	v_mul_f64 v[28:29], v[28:29], s[36:37]
	v_fmac_f64_e32 v[28:29], s[14:15], v[26:27]
	global_store_dwordx2 v[32:33], v[28:29], off offset:256
	global_load_dwordx2 v[26:27], v[38:39], off offset:384
	v_add_co_u32_e32 v28, vcc, s0, v38
	v_addc_co_u32_e32 v29, vcc, v39, v30, vcc
	s_waitcnt vmcnt(0)
	v_mul_f64 v[26:27], v[26:27], s[36:37]
	v_fmac_f64_e32 v[26:27], s[14:15], v[24:25]
	global_store_dwordx2 v[32:33], v[26:27], off offset:384
	global_load_dwordx2 v[24:25], v[28:29], off
	v_add_co_u32_e32 v26, vcc, s2, v32
	v_addc_co_u32_e32 v27, vcc, v33, v31, vcc
	s_waitcnt vmcnt(0)
	v_mul_f64 v[24:25], v[24:25], s[36:37]
	v_fmac_f64_e32 v[24:25], s[14:15], v[22:23]
	global_store_dwordx2 v[26:27], v[24:25], off
	global_load_dwordx2 v[22:23], v[28:29], off offset:128
	s_waitcnt vmcnt(0)
	v_mul_f64 v[22:23], v[22:23], s[36:37]
	v_fmac_f64_e32 v[22:23], s[14:15], v[20:21]
	global_store_dwordx2 v[26:27], v[22:23], off offset:128
	global_load_dwordx2 v[20:21], v[28:29], off offset:256
	s_waitcnt vmcnt(0)
	v_mul_f64 v[20:21], v[20:21], s[36:37]
	v_fmac_f64_e32 v[20:21], s[14:15], v[18:19]
	global_store_dwordx2 v[26:27], v[20:21], off offset:256
	global_load_dwordx2 v[18:19], v[28:29], off offset:384
	v_add_co_u32_e32 v20, vcc, s0, v28
	v_addc_co_u32_e32 v21, vcc, v29, v30, vcc
	s_waitcnt vmcnt(0)
	v_mul_f64 v[18:19], v[18:19], s[36:37]
	v_fmac_f64_e32 v[18:19], s[14:15], v[16:17]
	global_store_dwordx2 v[26:27], v[18:19], off offset:384
	global_load_dwordx2 v[16:17], v[20:21], off
	v_add_co_u32_e32 v18, vcc, s2, v26
	v_addc_co_u32_e32 v19, vcc, v27, v31, vcc
	s_waitcnt vmcnt(0)
	v_mul_f64 v[16:17], v[16:17], s[36:37]
	v_fmac_f64_e32 v[16:17], s[14:15], v[14:15]
	global_store_dwordx2 v[18:19], v[16:17], off
	global_load_dwordx2 v[14:15], v[20:21], off offset:128
	s_waitcnt vmcnt(0)
	v_mul_f64 v[14:15], v[14:15], s[36:37]
	v_fmac_f64_e32 v[14:15], s[14:15], v[12:13]
	global_store_dwordx2 v[18:19], v[14:15], off offset:128
	global_load_dwordx2 v[12:13], v[20:21], off offset:256
	s_waitcnt vmcnt(0)
	v_mul_f64 v[12:13], v[12:13], s[36:37]
	v_fmac_f64_e32 v[12:13], s[14:15], v[10:11]
	global_store_dwordx2 v[18:19], v[12:13], off offset:256
	global_load_dwordx2 v[10:11], v[20:21], off offset:384
	v_add_co_u32_e32 v12, vcc, s0, v20
	v_addc_co_u32_e32 v13, vcc, v21, v30, vcc
	s_waitcnt vmcnt(0)
	v_mul_f64 v[10:11], v[10:11], s[36:37]
	v_fmac_f64_e32 v[10:11], s[14:15], v[8:9]
	global_store_dwordx2 v[18:19], v[10:11], off offset:384
	global_load_dwordx2 v[8:9], v[12:13], off
	s_waitcnt vmcnt(0)
	v_mul_f64 v[8:9], v[8:9], s[36:37]
	v_fmac_f64_e32 v[8:9], s[14:15], v[6:7]
	v_add_co_u32_e32 v6, vcc, s2, v18
	v_addc_co_u32_e32 v7, vcc, v19, v31, vcc
	global_store_dwordx2 v[6:7], v[8:9], off
	global_load_dwordx2 v[8:9], v[12:13], off offset:128
	s_waitcnt vmcnt(0)
	v_mul_f64 v[8:9], v[8:9], s[36:37]
	v_fmac_f64_e32 v[8:9], s[14:15], v[4:5]
	global_store_dwordx2 v[6:7], v[8:9], off offset:128
	global_load_dwordx2 v[4:5], v[12:13], off offset:256
	s_waitcnt vmcnt(0)
	v_mul_f64 v[4:5], v[4:5], s[36:37]
	v_fmac_f64_e32 v[4:5], s[14:15], v[2:3]
	global_store_dwordx2 v[6:7], v[4:5], off offset:256
	global_load_dwordx2 v[2:3], v[12:13], off offset:384
	s_waitcnt vmcnt(0)
	v_mul_f64 v[2:3], v[2:3], s[36:37]
	v_fmac_f64_e32 v[2:3], s[14:15], v[0:1]
	global_store_dwordx2 v[6:7], v[2:3], off offset:384
.LBB210_7:
	s_endpgm
.LBB210_8:
	s_branch .LBB210_6
	.section	.rodata,"a",@progbits
	.p2align	6, 0x0
	.amdhsa_kernel _ZN12_GLOBAL__N_127rocblas_gemm_batched_kernelIdLi16ELi16ELi64ELi64ELi4ELi64ELi4ELi4ELi64ELc67ELc78EKPKdS3_KPdEEvlllT_PT11_llS8_llS6_PT12_llPT13_lli
		.amdhsa_group_segment_fixed_size 4096
		.amdhsa_private_segment_fixed_size 0
		.amdhsa_kernarg_size 140
		.amdhsa_user_sgpr_count 6
		.amdhsa_user_sgpr_private_segment_buffer 1
		.amdhsa_user_sgpr_dispatch_ptr 0
		.amdhsa_user_sgpr_queue_ptr 0
		.amdhsa_user_sgpr_kernarg_segment_ptr 1
		.amdhsa_user_sgpr_dispatch_id 0
		.amdhsa_user_sgpr_flat_scratch_init 0
		.amdhsa_user_sgpr_kernarg_preload_length 0
		.amdhsa_user_sgpr_kernarg_preload_offset 0
		.amdhsa_user_sgpr_private_segment_size 0
		.amdhsa_uses_dynamic_stack 0
		.amdhsa_system_sgpr_private_segment_wavefront_offset 0
		.amdhsa_system_sgpr_workgroup_id_x 1
		.amdhsa_system_sgpr_workgroup_id_y 1
		.amdhsa_system_sgpr_workgroup_id_z 1
		.amdhsa_system_sgpr_workgroup_info 0
		.amdhsa_system_vgpr_workitem_id 1
		.amdhsa_next_free_vgpr 84
		.amdhsa_next_free_sgpr 52
		.amdhsa_accum_offset 84
		.amdhsa_reserve_vcc 1
		.amdhsa_reserve_flat_scratch 0
		.amdhsa_float_round_mode_32 0
		.amdhsa_float_round_mode_16_64 0
		.amdhsa_float_denorm_mode_32 3
		.amdhsa_float_denorm_mode_16_64 3
		.amdhsa_dx10_clamp 1
		.amdhsa_ieee_mode 1
		.amdhsa_fp16_overflow 0
		.amdhsa_tg_split 0
		.amdhsa_exception_fp_ieee_invalid_op 0
		.amdhsa_exception_fp_denorm_src 0
		.amdhsa_exception_fp_ieee_div_zero 0
		.amdhsa_exception_fp_ieee_overflow 0
		.amdhsa_exception_fp_ieee_underflow 0
		.amdhsa_exception_fp_ieee_inexact 0
		.amdhsa_exception_int_div_zero 0
	.end_amdhsa_kernel
	.section	.text._ZN12_GLOBAL__N_127rocblas_gemm_batched_kernelIdLi16ELi16ELi64ELi64ELi4ELi64ELi4ELi4ELi64ELc67ELc78EKPKdS3_KPdEEvlllT_PT11_llS8_llS6_PT12_llPT13_lli,"axG",@progbits,_ZN12_GLOBAL__N_127rocblas_gemm_batched_kernelIdLi16ELi16ELi64ELi64ELi4ELi64ELi4ELi4ELi64ELc67ELc78EKPKdS3_KPdEEvlllT_PT11_llS8_llS6_PT12_llPT13_lli,comdat
.Lfunc_end210:
	.size	_ZN12_GLOBAL__N_127rocblas_gemm_batched_kernelIdLi16ELi16ELi64ELi64ELi4ELi64ELi4ELi4ELi64ELc67ELc78EKPKdS3_KPdEEvlllT_PT11_llS8_llS6_PT12_llPT13_lli, .Lfunc_end210-_ZN12_GLOBAL__N_127rocblas_gemm_batched_kernelIdLi16ELi16ELi64ELi64ELi4ELi64ELi4ELi4ELi64ELc67ELc78EKPKdS3_KPdEEvlllT_PT11_llS8_llS6_PT12_llPT13_lli
                                        ; -- End function
	.section	.AMDGPU.csdata,"",@progbits
; Kernel info:
; codeLenInByte = 2328
; NumSgprs: 56
; NumVgprs: 84
; NumAgprs: 0
; TotalNumVgprs: 84
; ScratchSize: 0
; MemoryBound: 0
; FloatMode: 240
; IeeeMode: 1
; LDSByteSize: 4096 bytes/workgroup (compile time only)
; SGPRBlocks: 6
; VGPRBlocks: 10
; NumSGPRsForWavesPerEU: 56
; NumVGPRsForWavesPerEU: 84
; AccumOffset: 84
; Occupancy: 5
; WaveLimiterHint : 1
; COMPUTE_PGM_RSRC2:SCRATCH_EN: 0
; COMPUTE_PGM_RSRC2:USER_SGPR: 6
; COMPUTE_PGM_RSRC2:TRAP_HANDLER: 0
; COMPUTE_PGM_RSRC2:TGID_X_EN: 1
; COMPUTE_PGM_RSRC2:TGID_Y_EN: 1
; COMPUTE_PGM_RSRC2:TGID_Z_EN: 1
; COMPUTE_PGM_RSRC2:TIDIG_COMP_CNT: 1
; COMPUTE_PGM_RSRC3_GFX90A:ACCUM_OFFSET: 20
; COMPUTE_PGM_RSRC3_GFX90A:TG_SPLIT: 0
	.section	.text._ZN12_GLOBAL__N_127rocblas_gemm_batched_kernelIdLi16ELi16ELi64ELi64ELi4ELi64ELi4ELi4ELi64ELc67ELc84EKPKdS3_KPdEEvlllT_PT11_llS8_llS6_PT12_llPT13_lli,"axG",@progbits,_ZN12_GLOBAL__N_127rocblas_gemm_batched_kernelIdLi16ELi16ELi64ELi64ELi4ELi64ELi4ELi4ELi64ELc67ELc84EKPKdS3_KPdEEvlllT_PT11_llS8_llS6_PT12_llPT13_lli,comdat
	.globl	_ZN12_GLOBAL__N_127rocblas_gemm_batched_kernelIdLi16ELi16ELi64ELi64ELi4ELi64ELi4ELi4ELi64ELc67ELc84EKPKdS3_KPdEEvlllT_PT11_llS8_llS6_PT12_llPT13_lli ; -- Begin function _ZN12_GLOBAL__N_127rocblas_gemm_batched_kernelIdLi16ELi16ELi64ELi64ELi4ELi64ELi4ELi4ELi64ELc67ELc84EKPKdS3_KPdEEvlllT_PT11_llS8_llS6_PT12_llPT13_lli
	.p2align	8
	.type	_ZN12_GLOBAL__N_127rocblas_gemm_batched_kernelIdLi16ELi16ELi64ELi64ELi4ELi64ELi4ELi4ELi64ELc67ELc84EKPKdS3_KPdEEvlllT_PT11_llS8_llS6_PT12_llPT13_lli,@function
_ZN12_GLOBAL__N_127rocblas_gemm_batched_kernelIdLi16ELi16ELi64ELi64ELi4ELi64ELi4ELi4ELi64ELc67ELc84EKPKdS3_KPdEEvlllT_PT11_llS8_llS6_PT12_llPT13_lli: ; @_ZN12_GLOBAL__N_127rocblas_gemm_batched_kernelIdLi16ELi16ELi64ELi64ELi4ELi64ELi4ELi4ELi64ELc67ELc84EKPKdS3_KPdEEvlllT_PT11_llS8_llS6_PT12_llPT13_lli
; %bb.0:
	s_load_dwordx16 s[12:27], s[4:5], 0x10
	s_load_dwordx8 s[44:51], s[4:5], 0x70
	s_load_dwordx8 s[36:43], s[4:5], 0x50
	s_mov_b32 s9, 0
	s_lshl_b64 s[10:11], s[8:9], 3
	s_mov_b32 s28, s7
	v_bfe_u32 v43, v0, 10, 10
	s_waitcnt lgkmcnt(0)
	s_add_u32 s0, s38, s10
	s_addc_u32 s1, s39, s11
	s_add_u32 s2, s44, s10
	s_addc_u32 s3, s45, s11
	s_load_dwordx2 s[0:1], s[0:1], 0x0
	s_ashr_i32 s7, s6, 31
	s_load_dwordx2 s[4:5], s[2:3], 0x0
	s_ashr_i32 s29, s28, 31
	s_lshl_b64 s[2:3], s[6:7], 6
	s_lshl_b64 s[6:7], s[28:29], 6
	v_cmp_lt_i64_e64 s[28:29], s[12:13], 1
	v_and_b32_e32 v42, 0x3ff, v0
	s_mov_b64 s[8:9], 0
	s_and_b64 vcc, exec, s[28:29]
	s_cbranch_vccnz .LBB211_3
; %bb.1:
	s_add_u32 s16, s16, s10
	v_lshl_add_u32 v2, v43, 4, v42
	s_addc_u32 s17, s17, s11
	v_and_b32_e32 v4, 63, v2
	s_add_u32 s10, s22, s10
	v_lshrrev_b32_e32 v0, 2, v2
	v_and_b32_e32 v3, 3, v42
	v_lshrrev_b32_e32 v5, 6, v2
	v_lshlrev_b32_e32 v2, 3, v4
	s_addc_u32 s11, s23, s11
	v_lshl_or_b32 v44, v5, 9, v2
	v_lshlrev_b32_e32 v2, 3, v3
	s_load_dwordx2 s[10:11], s[10:11], 0x0
	v_mov_b32_e32 v1, 0
	v_lshl_or_b32 v2, v0, 5, v2
	v_add_u32_e32 v45, 0x800, v2
	v_mov_b32_e32 v2, 0x800
	s_lshl_b64 s[22:23], s[26:27], 3
	v_mad_u64_u32 v[0:1], s[26:27], v3, s24, v[0:1]
	v_lshl_add_u32 v47, v43, 5, v2
	v_mov_b32_e32 v2, v1
	v_mad_u64_u32 v[2:3], s[26:27], v3, s25, v[2:3]
	v_mov_b32_e32 v1, v2
	v_mov_b32_e32 v2, s7
	v_add_co_u32_e32 v0, vcc, s6, v0
	v_addc_co_u32_e32 v1, vcc, v1, v2, vcc
	s_waitcnt lgkmcnt(0)
	s_add_u32 s10, s10, s22
	v_lshlrev_b64 v[0:1], 3, v[0:1]
	s_addc_u32 s11, s11, s23
	v_mov_b32_e32 v2, s11
	v_add_co_u32_e32 v32, vcc, s10, v0
	v_addc_co_u32_e32 v33, vcc, v2, v1, vcc
	v_mov_b32_e32 v0, s3
	v_add_co_u32_e32 v1, vcc, s2, v4
	v_addc_co_u32_e32 v0, vcc, 0, v0, vcc
	v_mul_lo_u32 v2, s19, v1
	v_mul_lo_u32 v3, s18, v0
	v_mad_u64_u32 v[0:1], s[18:19], s18, v1, 0
	v_add3_u32 v1, v1, v3, v2
	s_load_dwordx2 s[16:17], s[16:17], 0x0
	v_lshlrev_b64 v[0:1], 3, v[0:1]
	s_lshl_b64 s[18:19], s[20:21], 3
	v_mov_b32_e32 v2, s19
	v_add_co_u32_e32 v0, vcc, s18, v0
	v_addc_co_u32_e32 v1, vcc, v1, v2, vcc
	v_lshlrev_b32_e32 v2, 3, v5
	v_add_co_u32_e32 v0, vcc, v0, v2
	v_addc_co_u32_e32 v1, vcc, 0, v1, vcc
	s_lshl_b64 s[10:11], s[24:25], 5
	s_waitcnt lgkmcnt(0)
	v_mov_b32_e32 v2, s17
	v_add_co_u32_e32 v34, vcc, s16, v0
	v_lshlrev_b32_e32 v46, 3, v42
	v_addc_co_u32_e32 v35, vcc, v2, v1, vcc
	v_pk_mov_b32 v[0:1], 0, 0
	v_mov_b32_e32 v48, s11
	v_pk_mov_b32 v[36:37], s[12:13], s[12:13] op_sel:[0,1]
	v_pk_mov_b32 v[2:3], 0, 0
	v_pk_mov_b32 v[4:5], 0, 0
	;; [unrolled: 1-line block ×15, first 2 shown]
.LBB211_2:                              ; =>This Inner Loop Header: Depth=1
	global_load_dwordx2 v[38:39], v[34:35], off
	global_load_dwordx2 v[40:41], v[32:33], off
	v_add_co_u32_e32 v32, vcc, s10, v32
	v_addc_co_u32_e32 v33, vcc, v33, v48, vcc
	s_add_u32 s8, s8, 4
	v_add_co_u32_e32 v34, vcc, 32, v34
	v_addc_co_u32_e32 v35, vcc, 0, v35, vcc
	s_addc_u32 s9, s9, 0
	v_cmp_lt_i64_e32 vcc, s[8:9], v[36:37]
	s_and_b64 vcc, exec, vcc
	s_waitcnt vmcnt(1)
	ds_write_b64 v44, v[38:39]
	s_waitcnt vmcnt(0)
	ds_write_b64 v45, v[40:41]
	s_waitcnt lgkmcnt(0)
	s_barrier
	ds_read2_b64 v[38:41], v46 offset1:16
	ds_read_b128 v[50:53], v47
	ds_read_b128 v[54:57], v47 offset:16
	ds_read_b128 v[58:61], v47 offset:512
	;; [unrolled: 1-line block ×6, first 2 shown]
	s_waitcnt lgkmcnt(6)
	v_fmac_f64_e32 v[30:31], v[38:39], v[50:51]
	v_fmac_f64_e32 v[28:29], v[40:41], v[50:51]
	s_waitcnt lgkmcnt(4)
	v_fmac_f64_e32 v[22:23], v[38:39], v[58:59]
	v_fmac_f64_e32 v[20:21], v[40:41], v[58:59]
	;; [unrolled: 3-line block ×4, first 2 shown]
	ds_read2_b64 v[38:41], v46 offset0:32 offset1:48
	ds_read2_b64 v[82:85], v46 offset0:96 offset1:112
	ds_read_b128 v[78:81], v47 offset:1552
	s_waitcnt lgkmcnt(2)
	v_fmac_f64_e32 v[26:27], v[38:39], v[50:51]
	v_fmac_f64_e32 v[24:25], v[40:41], v[50:51]
	;; [unrolled: 1-line block ×8, first 2 shown]
	ds_read2_b64 v[38:41], v46 offset0:64 offset1:80
	s_waitcnt lgkmcnt(2)
	v_fmac_f64_e32 v[26:27], v[82:83], v[52:53]
	v_fmac_f64_e32 v[24:25], v[84:85], v[52:53]
	;; [unrolled: 1-line block ×4, first 2 shown]
	s_waitcnt lgkmcnt(0)
	v_fmac_f64_e32 v[30:31], v[38:39], v[52:53]
	v_fmac_f64_e32 v[28:29], v[40:41], v[52:53]
	;; [unrolled: 1-line block ×6, first 2 shown]
	ds_read2_b64 v[50:53], v46 offset0:128 offset1:144
	v_fmac_f64_e32 v[6:7], v[38:39], v[76:77]
	v_fmac_f64_e32 v[4:5], v[40:41], v[76:77]
	ds_read2_b64 v[38:41], v46 offset0:160 offset1:176
	v_fmac_f64_e32 v[10:11], v[82:83], v[68:69]
	v_fmac_f64_e32 v[8:9], v[84:85], v[68:69]
	ds_read2_b64 v[58:61], v46 offset0:192 offset1:208
	ds_read2_b64 v[66:69], v46 offset0:224 offset1:240
	v_fmac_f64_e32 v[2:3], v[82:83], v[76:77]
	v_fmac_f64_e32 v[0:1], v[84:85], v[76:77]
	s_waitcnt lgkmcnt(3)
	v_fmac_f64_e32 v[30:31], v[50:51], v[54:55]
	v_fmac_f64_e32 v[28:29], v[52:53], v[54:55]
	;; [unrolled: 1-line block ×8, first 2 shown]
	s_waitcnt lgkmcnt(2)
	v_fmac_f64_e32 v[26:27], v[38:39], v[54:55]
	v_fmac_f64_e32 v[24:25], v[40:41], v[54:55]
	;; [unrolled: 1-line block ×8, first 2 shown]
	s_waitcnt lgkmcnt(1)
	v_fmac_f64_e32 v[30:31], v[58:59], v[56:57]
	v_fmac_f64_e32 v[28:29], v[60:61], v[56:57]
	s_waitcnt lgkmcnt(0)
	v_fmac_f64_e32 v[26:27], v[66:67], v[56:57]
	v_fmac_f64_e32 v[24:25], v[68:69], v[56:57]
	v_fmac_f64_e32 v[22:23], v[58:59], v[64:65]
	v_fmac_f64_e32 v[20:21], v[60:61], v[64:65]
	v_fmac_f64_e32 v[18:19], v[66:67], v[64:65]
	v_fmac_f64_e32 v[16:17], v[68:69], v[64:65]
	v_fmac_f64_e32 v[14:15], v[58:59], v[72:73]
	v_fmac_f64_e32 v[12:13], v[60:61], v[72:73]
	v_fmac_f64_e32 v[10:11], v[66:67], v[72:73]
	v_fmac_f64_e32 v[8:9], v[68:69], v[72:73]
	v_fmac_f64_e32 v[6:7], v[58:59], v[80:81]
	v_fmac_f64_e32 v[4:5], v[60:61], v[80:81]
	v_fmac_f64_e32 v[2:3], v[66:67], v[80:81]
	v_fmac_f64_e32 v[0:1], v[68:69], v[80:81]
	s_barrier
	s_cbranch_vccnz .LBB211_2
	s_branch .LBB211_4
.LBB211_3:
	v_pk_mov_b32 v[30:31], 0, 0
	v_pk_mov_b32 v[28:29], 0, 0
	;; [unrolled: 1-line block ×16, first 2 shown]
.LBB211_4:
	v_mov_b32_e32 v32, s7
	v_add_co_u32_e32 v34, vcc, s6, v43
	v_addc_co_u32_e32 v37, vcc, 0, v32, vcc
	s_lshl_b64 s[8:9], s[48:49], 3
	v_mov_b32_e32 v33, s3
	v_add_co_u32_e32 v32, vcc, s2, v42
	s_waitcnt lgkmcnt(0)
	s_add_u32 s8, s4, s8
	v_cmp_neq_f64_e64 s[6:7], s[36:37], 0
	v_addc_co_u32_e32 v33, vcc, 0, v33, vcc
	s_addc_u32 s9, s5, s9
	s_mov_b64 s[4:5], 0
	s_and_b64 vcc, exec, s[6:7]
	v_mul_lo_u32 v35, v37, s46
	v_mul_lo_u32 v36, v34, s47
	v_lshlrev_b64 v[32:33], 3, v[32:33]
	s_cbranch_vccnz .LBB211_8
; %bb.5:
	v_mad_u64_u32 v[38:39], s[2:3], v34, s46, 0
	v_add3_u32 v39, v39, v36, v35
	v_lshlrev_b64 v[38:39], 3, v[38:39]
	v_mov_b32_e32 v40, s9
	v_add_co_u32_e32 v41, vcc, s8, v38
	v_addc_co_u32_e32 v42, vcc, v40, v39, vcc
	v_add_co_u32_e32 v40, vcc, v41, v32
	v_mul_f64 v[38:39], v[30:31], s[14:15]
	v_addc_co_u32_e32 v41, vcc, v42, v33, vcc
	global_store_dwordx2 v[40:41], v[38:39], off
	v_mul_f64 v[38:39], v[28:29], s[14:15]
	global_store_dwordx2 v[40:41], v[38:39], off offset:128
	v_mul_f64 v[38:39], v[26:27], s[14:15]
	global_store_dwordx2 v[40:41], v[38:39], off offset:256
	v_mul_f64 v[38:39], v[24:25], s[14:15]
	s_lshl_b64 s[2:3], s[46:47], 7
	global_store_dwordx2 v[40:41], v[38:39], off offset:384
	v_mov_b32_e32 v42, s3
	v_add_co_u32_e32 v40, vcc, s2, v40
	v_mul_f64 v[38:39], v[22:23], s[14:15]
	v_addc_co_u32_e32 v41, vcc, v41, v42, vcc
	global_store_dwordx2 v[40:41], v[38:39], off
	v_mul_f64 v[38:39], v[20:21], s[14:15]
	global_store_dwordx2 v[40:41], v[38:39], off offset:128
	v_mul_f64 v[38:39], v[18:19], s[14:15]
	global_store_dwordx2 v[40:41], v[38:39], off offset:256
	v_mul_f64 v[38:39], v[16:17], s[14:15]
	global_store_dwordx2 v[40:41], v[38:39], off offset:384
	v_add_co_u32_e32 v40, vcc, s2, v40
	v_mul_f64 v[38:39], v[14:15], s[14:15]
	v_addc_co_u32_e32 v41, vcc, v41, v42, vcc
	global_store_dwordx2 v[40:41], v[38:39], off
	v_mul_f64 v[38:39], v[12:13], s[14:15]
	global_store_dwordx2 v[40:41], v[38:39], off offset:128
	v_mul_f64 v[38:39], v[10:11], s[14:15]
	global_store_dwordx2 v[40:41], v[38:39], off offset:256
	v_mul_f64 v[38:39], v[8:9], s[14:15]
	global_store_dwordx2 v[40:41], v[38:39], off offset:384
	;; [unrolled: 10-line block ×3, first 2 shown]
	s_andn2_b64 vcc, exec, s[4:5]
	s_cbranch_vccnz .LBB211_7
.LBB211_6:
	s_lshl_b64 s[2:3], s[42:43], 3
	s_add_u32 s2, s0, s2
	s_addc_u32 s3, s1, s3
	v_mul_lo_u32 v37, v37, s40
	v_mul_lo_u32 v40, v34, s41
	v_mad_u64_u32 v[38:39], s[0:1], v34, s40, 0
	v_add3_u32 v39, v39, v40, v37
	v_lshlrev_b64 v[38:39], 3, v[38:39]
	v_mov_b32_e32 v37, s3
	v_add_co_u32_e32 v38, vcc, s2, v38
	v_addc_co_u32_e32 v37, vcc, v37, v39, vcc
	v_add_co_u32_e32 v38, vcc, v38, v32
	v_addc_co_u32_e32 v39, vcc, v37, v33, vcc
	global_load_dwordx2 v[40:41], v[38:39], off
	v_mad_u64_u32 v[42:43], s[0:1], v34, s46, 0
	v_add3_u32 v43, v43, v36, v35
	v_lshlrev_b64 v[34:35], 3, v[42:43]
	v_mov_b32_e32 v37, s9
	v_add_co_u32_e32 v34, vcc, s8, v34
	v_addc_co_u32_e32 v35, vcc, v37, v35, vcc
	v_add_co_u32_e32 v32, vcc, v34, v32
	v_addc_co_u32_e32 v33, vcc, v35, v33, vcc
	s_lshl_b64 s[0:1], s[40:41], 7
	s_lshl_b64 s[2:3], s[46:47], 7
	s_waitcnt vmcnt(0)
	v_mul_f64 v[34:35], v[40:41], s[36:37]
	v_fmac_f64_e32 v[34:35], s[14:15], v[30:31]
	global_store_dwordx2 v[32:33], v[34:35], off
	global_load_dwordx2 v[30:31], v[38:39], off offset:128
	s_waitcnt vmcnt(0)
	v_mul_f64 v[30:31], v[30:31], s[36:37]
	v_fmac_f64_e32 v[30:31], s[14:15], v[28:29]
	global_store_dwordx2 v[32:33], v[30:31], off offset:128
	global_load_dwordx2 v[28:29], v[38:39], off offset:256
	v_mov_b32_e32 v30, s1
	v_mov_b32_e32 v31, s3
	s_waitcnt vmcnt(0)
	v_mul_f64 v[28:29], v[28:29], s[36:37]
	v_fmac_f64_e32 v[28:29], s[14:15], v[26:27]
	global_store_dwordx2 v[32:33], v[28:29], off offset:256
	global_load_dwordx2 v[26:27], v[38:39], off offset:384
	v_add_co_u32_e32 v28, vcc, s0, v38
	v_addc_co_u32_e32 v29, vcc, v39, v30, vcc
	s_waitcnt vmcnt(0)
	v_mul_f64 v[26:27], v[26:27], s[36:37]
	v_fmac_f64_e32 v[26:27], s[14:15], v[24:25]
	global_store_dwordx2 v[32:33], v[26:27], off offset:384
	global_load_dwordx2 v[24:25], v[28:29], off
	v_add_co_u32_e32 v26, vcc, s2, v32
	v_addc_co_u32_e32 v27, vcc, v33, v31, vcc
	s_waitcnt vmcnt(0)
	v_mul_f64 v[24:25], v[24:25], s[36:37]
	v_fmac_f64_e32 v[24:25], s[14:15], v[22:23]
	global_store_dwordx2 v[26:27], v[24:25], off
	global_load_dwordx2 v[22:23], v[28:29], off offset:128
	s_waitcnt vmcnt(0)
	v_mul_f64 v[22:23], v[22:23], s[36:37]
	v_fmac_f64_e32 v[22:23], s[14:15], v[20:21]
	global_store_dwordx2 v[26:27], v[22:23], off offset:128
	global_load_dwordx2 v[20:21], v[28:29], off offset:256
	s_waitcnt vmcnt(0)
	v_mul_f64 v[20:21], v[20:21], s[36:37]
	v_fmac_f64_e32 v[20:21], s[14:15], v[18:19]
	global_store_dwordx2 v[26:27], v[20:21], off offset:256
	global_load_dwordx2 v[18:19], v[28:29], off offset:384
	v_add_co_u32_e32 v20, vcc, s0, v28
	v_addc_co_u32_e32 v21, vcc, v29, v30, vcc
	s_waitcnt vmcnt(0)
	v_mul_f64 v[18:19], v[18:19], s[36:37]
	v_fmac_f64_e32 v[18:19], s[14:15], v[16:17]
	global_store_dwordx2 v[26:27], v[18:19], off offset:384
	global_load_dwordx2 v[16:17], v[20:21], off
	v_add_co_u32_e32 v18, vcc, s2, v26
	v_addc_co_u32_e32 v19, vcc, v27, v31, vcc
	s_waitcnt vmcnt(0)
	v_mul_f64 v[16:17], v[16:17], s[36:37]
	v_fmac_f64_e32 v[16:17], s[14:15], v[14:15]
	global_store_dwordx2 v[18:19], v[16:17], off
	global_load_dwordx2 v[14:15], v[20:21], off offset:128
	s_waitcnt vmcnt(0)
	v_mul_f64 v[14:15], v[14:15], s[36:37]
	v_fmac_f64_e32 v[14:15], s[14:15], v[12:13]
	global_store_dwordx2 v[18:19], v[14:15], off offset:128
	global_load_dwordx2 v[12:13], v[20:21], off offset:256
	s_waitcnt vmcnt(0)
	v_mul_f64 v[12:13], v[12:13], s[36:37]
	v_fmac_f64_e32 v[12:13], s[14:15], v[10:11]
	global_store_dwordx2 v[18:19], v[12:13], off offset:256
	global_load_dwordx2 v[10:11], v[20:21], off offset:384
	v_add_co_u32_e32 v12, vcc, s0, v20
	v_addc_co_u32_e32 v13, vcc, v21, v30, vcc
	s_waitcnt vmcnt(0)
	v_mul_f64 v[10:11], v[10:11], s[36:37]
	v_fmac_f64_e32 v[10:11], s[14:15], v[8:9]
	global_store_dwordx2 v[18:19], v[10:11], off offset:384
	global_load_dwordx2 v[8:9], v[12:13], off
	s_waitcnt vmcnt(0)
	v_mul_f64 v[8:9], v[8:9], s[36:37]
	v_fmac_f64_e32 v[8:9], s[14:15], v[6:7]
	v_add_co_u32_e32 v6, vcc, s2, v18
	v_addc_co_u32_e32 v7, vcc, v19, v31, vcc
	global_store_dwordx2 v[6:7], v[8:9], off
	global_load_dwordx2 v[8:9], v[12:13], off offset:128
	s_waitcnt vmcnt(0)
	v_mul_f64 v[8:9], v[8:9], s[36:37]
	v_fmac_f64_e32 v[8:9], s[14:15], v[4:5]
	global_store_dwordx2 v[6:7], v[8:9], off offset:128
	global_load_dwordx2 v[4:5], v[12:13], off offset:256
	s_waitcnt vmcnt(0)
	v_mul_f64 v[4:5], v[4:5], s[36:37]
	v_fmac_f64_e32 v[4:5], s[14:15], v[2:3]
	global_store_dwordx2 v[6:7], v[4:5], off offset:256
	;; [unrolled: 5-line block ×3, first 2 shown]
.LBB211_7:
	s_endpgm
.LBB211_8:
	s_branch .LBB211_6
	.section	.rodata,"a",@progbits
	.p2align	6, 0x0
	.amdhsa_kernel _ZN12_GLOBAL__N_127rocblas_gemm_batched_kernelIdLi16ELi16ELi64ELi64ELi4ELi64ELi4ELi4ELi64ELc67ELc84EKPKdS3_KPdEEvlllT_PT11_llS8_llS6_PT12_llPT13_lli
		.amdhsa_group_segment_fixed_size 4096
		.amdhsa_private_segment_fixed_size 0
		.amdhsa_kernarg_size 140
		.amdhsa_user_sgpr_count 6
		.amdhsa_user_sgpr_private_segment_buffer 1
		.amdhsa_user_sgpr_dispatch_ptr 0
		.amdhsa_user_sgpr_queue_ptr 0
		.amdhsa_user_sgpr_kernarg_segment_ptr 1
		.amdhsa_user_sgpr_dispatch_id 0
		.amdhsa_user_sgpr_flat_scratch_init 0
		.amdhsa_user_sgpr_kernarg_preload_length 0
		.amdhsa_user_sgpr_kernarg_preload_offset 0
		.amdhsa_user_sgpr_private_segment_size 0
		.amdhsa_uses_dynamic_stack 0
		.amdhsa_system_sgpr_private_segment_wavefront_offset 0
		.amdhsa_system_sgpr_workgroup_id_x 1
		.amdhsa_system_sgpr_workgroup_id_y 1
		.amdhsa_system_sgpr_workgroup_id_z 1
		.amdhsa_system_sgpr_workgroup_info 0
		.amdhsa_system_vgpr_workitem_id 1
		.amdhsa_next_free_vgpr 86
		.amdhsa_next_free_sgpr 52
		.amdhsa_accum_offset 88
		.amdhsa_reserve_vcc 1
		.amdhsa_reserve_flat_scratch 0
		.amdhsa_float_round_mode_32 0
		.amdhsa_float_round_mode_16_64 0
		.amdhsa_float_denorm_mode_32 3
		.amdhsa_float_denorm_mode_16_64 3
		.amdhsa_dx10_clamp 1
		.amdhsa_ieee_mode 1
		.amdhsa_fp16_overflow 0
		.amdhsa_tg_split 0
		.amdhsa_exception_fp_ieee_invalid_op 0
		.amdhsa_exception_fp_denorm_src 0
		.amdhsa_exception_fp_ieee_div_zero 0
		.amdhsa_exception_fp_ieee_overflow 0
		.amdhsa_exception_fp_ieee_underflow 0
		.amdhsa_exception_fp_ieee_inexact 0
		.amdhsa_exception_int_div_zero 0
	.end_amdhsa_kernel
	.section	.text._ZN12_GLOBAL__N_127rocblas_gemm_batched_kernelIdLi16ELi16ELi64ELi64ELi4ELi64ELi4ELi4ELi64ELc67ELc84EKPKdS3_KPdEEvlllT_PT11_llS8_llS6_PT12_llPT13_lli,"axG",@progbits,_ZN12_GLOBAL__N_127rocblas_gemm_batched_kernelIdLi16ELi16ELi64ELi64ELi4ELi64ELi4ELi4ELi64ELc67ELc84EKPKdS3_KPdEEvlllT_PT11_llS8_llS6_PT12_llPT13_lli,comdat
.Lfunc_end211:
	.size	_ZN12_GLOBAL__N_127rocblas_gemm_batched_kernelIdLi16ELi16ELi64ELi64ELi4ELi64ELi4ELi4ELi64ELc67ELc84EKPKdS3_KPdEEvlllT_PT11_llS8_llS6_PT12_llPT13_lli, .Lfunc_end211-_ZN12_GLOBAL__N_127rocblas_gemm_batched_kernelIdLi16ELi16ELi64ELi64ELi4ELi64ELi4ELi4ELi64ELc67ELc84EKPKdS3_KPdEEvlllT_PT11_llS8_llS6_PT12_llPT13_lli
                                        ; -- End function
	.section	.AMDGPU.csdata,"",@progbits
; Kernel info:
; codeLenInByte = 2320
; NumSgprs: 56
; NumVgprs: 86
; NumAgprs: 0
; TotalNumVgprs: 86
; ScratchSize: 0
; MemoryBound: 0
; FloatMode: 240
; IeeeMode: 1
; LDSByteSize: 4096 bytes/workgroup (compile time only)
; SGPRBlocks: 6
; VGPRBlocks: 10
; NumSGPRsForWavesPerEU: 56
; NumVGPRsForWavesPerEU: 86
; AccumOffset: 88
; Occupancy: 5
; WaveLimiterHint : 1
; COMPUTE_PGM_RSRC2:SCRATCH_EN: 0
; COMPUTE_PGM_RSRC2:USER_SGPR: 6
; COMPUTE_PGM_RSRC2:TRAP_HANDLER: 0
; COMPUTE_PGM_RSRC2:TGID_X_EN: 1
; COMPUTE_PGM_RSRC2:TGID_Y_EN: 1
; COMPUTE_PGM_RSRC2:TGID_Z_EN: 1
; COMPUTE_PGM_RSRC2:TIDIG_COMP_CNT: 1
; COMPUTE_PGM_RSRC3_GFX90A:ACCUM_OFFSET: 21
; COMPUTE_PGM_RSRC3_GFX90A:TG_SPLIT: 0
	.section	.text._ZN12_GLOBAL__N_127rocblas_gemm_batched_kernelIdLi16ELi16ELi64ELi64ELi4ELi64ELi4ELi4ELi64ELc78ELc67EKPKdS3_KPdEEvlllT_PT11_llS8_llS6_PT12_llPT13_lli,"axG",@progbits,_ZN12_GLOBAL__N_127rocblas_gemm_batched_kernelIdLi16ELi16ELi64ELi64ELi4ELi64ELi4ELi4ELi64ELc78ELc67EKPKdS3_KPdEEvlllT_PT11_llS8_llS6_PT12_llPT13_lli,comdat
	.globl	_ZN12_GLOBAL__N_127rocblas_gemm_batched_kernelIdLi16ELi16ELi64ELi64ELi4ELi64ELi4ELi4ELi64ELc78ELc67EKPKdS3_KPdEEvlllT_PT11_llS8_llS6_PT12_llPT13_lli ; -- Begin function _ZN12_GLOBAL__N_127rocblas_gemm_batched_kernelIdLi16ELi16ELi64ELi64ELi4ELi64ELi4ELi4ELi64ELc78ELc67EKPKdS3_KPdEEvlllT_PT11_llS8_llS6_PT12_llPT13_lli
	.p2align	8
	.type	_ZN12_GLOBAL__N_127rocblas_gemm_batched_kernelIdLi16ELi16ELi64ELi64ELi4ELi64ELi4ELi4ELi64ELc78ELc67EKPKdS3_KPdEEvlllT_PT11_llS8_llS6_PT12_llPT13_lli,@function
_ZN12_GLOBAL__N_127rocblas_gemm_batched_kernelIdLi16ELi16ELi64ELi64ELi4ELi64ELi4ELi4ELi64ELc78ELc67EKPKdS3_KPdEEvlllT_PT11_llS8_llS6_PT12_llPT13_lli: ; @_ZN12_GLOBAL__N_127rocblas_gemm_batched_kernelIdLi16ELi16ELi64ELi64ELi4ELi64ELi4ELi4ELi64ELc78ELc67EKPKdS3_KPdEEvlllT_PT11_llS8_llS6_PT12_llPT13_lli
; %bb.0:
	s_load_dwordx16 s[12:27], s[4:5], 0x10
	s_load_dwordx8 s[44:51], s[4:5], 0x70
	s_load_dwordx8 s[36:43], s[4:5], 0x50
	s_mov_b32 s9, 0
	s_lshl_b64 s[10:11], s[8:9], 3
	s_mov_b32 s28, s7
	v_bfe_u32 v43, v0, 10, 10
	s_waitcnt lgkmcnt(0)
	s_add_u32 s0, s38, s10
	s_addc_u32 s1, s39, s11
	s_add_u32 s2, s44, s10
	s_addc_u32 s3, s45, s11
	s_load_dwordx2 s[0:1], s[0:1], 0x0
	s_ashr_i32 s7, s6, 31
	s_load_dwordx2 s[4:5], s[2:3], 0x0
	s_ashr_i32 s29, s28, 31
	s_lshl_b64 s[2:3], s[6:7], 6
	s_lshl_b64 s[6:7], s[28:29], 6
	v_cmp_lt_i64_e64 s[28:29], s[12:13], 1
	v_and_b32_e32 v42, 0x3ff, v0
	s_mov_b64 s[8:9], 0
	s_and_b64 vcc, exec, s[28:29]
	s_cbranch_vccnz .LBB212_3
; %bb.1:
	s_add_u32 s16, s16, s10
	v_lshl_add_u32 v2, v43, 4, v42
	s_addc_u32 s17, s17, s11
	v_and_b32_e32 v4, 63, v2
	s_add_u32 s10, s22, s10
	v_lshrrev_b32_e32 v0, 2, v2
	v_and_b32_e32 v3, 3, v42
	v_lshrrev_b32_e32 v5, 6, v2
	v_lshlrev_b32_e32 v2, 3, v4
	s_addc_u32 s11, s23, s11
	v_lshl_or_b32 v44, v5, 9, v2
	v_lshlrev_b32_e32 v2, 3, v3
	s_load_dwordx2 s[10:11], s[10:11], 0x0
	v_mov_b32_e32 v1, 0
	v_lshl_or_b32 v2, v0, 5, v2
	v_add_u32_e32 v45, 0x800, v2
	v_mov_b32_e32 v2, 0x800
	s_lshl_b64 s[22:23], s[26:27], 3
	v_mad_u64_u32 v[0:1], s[26:27], v3, s24, v[0:1]
	v_lshl_add_u32 v47, v43, 5, v2
	v_mov_b32_e32 v2, v1
	v_mad_u64_u32 v[2:3], s[26:27], v3, s25, v[2:3]
	v_mov_b32_e32 v1, v2
	v_mov_b32_e32 v2, s7
	v_add_co_u32_e32 v0, vcc, s6, v0
	v_addc_co_u32_e32 v1, vcc, v1, v2, vcc
	s_waitcnt lgkmcnt(0)
	s_add_u32 s10, s10, s22
	v_lshlrev_b64 v[0:1], 3, v[0:1]
	s_addc_u32 s11, s11, s23
	v_mov_b32_e32 v2, s11
	v_add_co_u32_e32 v32, vcc, s10, v0
	s_load_dwordx2 s[16:17], s[16:17], 0x0
	v_addc_co_u32_e32 v33, vcc, v2, v1, vcc
	v_pk_mov_b32 v[0:1], s[2:3], s[2:3] op_sel:[0,1]
	v_mad_u64_u32 v[0:1], s[22:23], v5, s18, v[0:1]
	v_mov_b32_e32 v2, v1
	v_mad_u64_u32 v[2:3], s[22:23], v5, s19, v[2:3]
	s_lshl_b64 s[10:11], s[24:25], 5
	s_lshl_b64 s[20:21], s[20:21], 3
	v_mov_b32_e32 v1, v2
	v_add_co_u32_e32 v0, vcc, v0, v4
	v_addc_co_u32_e32 v1, vcc, 0, v1, vcc
	s_waitcnt lgkmcnt(0)
	s_add_u32 s16, s16, s20
	v_lshlrev_b64 v[0:1], 3, v[0:1]
	s_addc_u32 s17, s17, s21
	v_mov_b32_e32 v2, s17
	v_add_co_u32_e32 v34, vcc, s16, v0
	s_lshl_b64 s[16:17], s[18:19], 5
	v_lshlrev_b32_e32 v46, 3, v42
	v_addc_co_u32_e32 v35, vcc, v2, v1, vcc
	v_pk_mov_b32 v[0:1], 0, 0
	v_mov_b32_e32 v48, s11
	v_mov_b32_e32 v49, s17
	v_pk_mov_b32 v[36:37], s[12:13], s[12:13] op_sel:[0,1]
	v_pk_mov_b32 v[2:3], 0, 0
	v_pk_mov_b32 v[4:5], 0, 0
	;; [unrolled: 1-line block ×15, first 2 shown]
.LBB212_2:                              ; =>This Inner Loop Header: Depth=1
	global_load_dwordx2 v[38:39], v[34:35], off
	global_load_dwordx2 v[40:41], v[32:33], off
	v_add_co_u32_e32 v32, vcc, s10, v32
	v_addc_co_u32_e32 v33, vcc, v33, v48, vcc
	s_add_u32 s8, s8, 4
	v_add_co_u32_e32 v34, vcc, s16, v34
	v_addc_co_u32_e32 v35, vcc, v35, v49, vcc
	s_addc_u32 s9, s9, 0
	v_cmp_lt_i64_e32 vcc, s[8:9], v[36:37]
	s_and_b64 vcc, exec, vcc
	s_waitcnt vmcnt(1)
	ds_write_b64 v44, v[38:39]
	s_waitcnt vmcnt(0)
	ds_write_b64 v45, v[40:41]
	s_waitcnt lgkmcnt(0)
	s_barrier
	ds_read2_b64 v[38:41], v46 offset1:16
	ds_read_b128 v[50:53], v47
	ds_read_b128 v[54:57], v47 offset:16
	ds_read_b128 v[58:61], v47 offset:512
	ds_read_b128 v[62:65], v47 offset:528
	ds_read_b128 v[66:69], v47 offset:1024
	ds_read_b128 v[70:73], v47 offset:1040
	ds_read_b128 v[74:77], v47 offset:1536
	s_waitcnt lgkmcnt(6)
	v_fmac_f64_e32 v[30:31], v[38:39], v[50:51]
	v_fmac_f64_e32 v[28:29], v[40:41], v[50:51]
	s_waitcnt lgkmcnt(4)
	v_fmac_f64_e32 v[22:23], v[38:39], v[58:59]
	v_fmac_f64_e32 v[20:21], v[40:41], v[58:59]
	;; [unrolled: 3-line block ×4, first 2 shown]
	ds_read2_b64 v[38:41], v46 offset0:32 offset1:48
	ds_read2_b64 v[82:85], v46 offset0:96 offset1:112
	ds_read_b128 v[78:81], v47 offset:1552
	s_waitcnt lgkmcnt(2)
	v_fmac_f64_e32 v[26:27], v[38:39], v[50:51]
	v_fmac_f64_e32 v[24:25], v[40:41], v[50:51]
	;; [unrolled: 1-line block ×8, first 2 shown]
	ds_read2_b64 v[38:41], v46 offset0:64 offset1:80
	s_waitcnt lgkmcnt(2)
	v_fmac_f64_e32 v[26:27], v[82:83], v[52:53]
	v_fmac_f64_e32 v[24:25], v[84:85], v[52:53]
	;; [unrolled: 1-line block ×4, first 2 shown]
	s_waitcnt lgkmcnt(0)
	v_fmac_f64_e32 v[30:31], v[38:39], v[52:53]
	v_fmac_f64_e32 v[28:29], v[40:41], v[52:53]
	;; [unrolled: 1-line block ×6, first 2 shown]
	ds_read2_b64 v[50:53], v46 offset0:128 offset1:144
	v_fmac_f64_e32 v[6:7], v[38:39], v[76:77]
	v_fmac_f64_e32 v[4:5], v[40:41], v[76:77]
	ds_read2_b64 v[38:41], v46 offset0:160 offset1:176
	v_fmac_f64_e32 v[10:11], v[82:83], v[68:69]
	v_fmac_f64_e32 v[8:9], v[84:85], v[68:69]
	ds_read2_b64 v[58:61], v46 offset0:192 offset1:208
	ds_read2_b64 v[66:69], v46 offset0:224 offset1:240
	v_fmac_f64_e32 v[2:3], v[82:83], v[76:77]
	v_fmac_f64_e32 v[0:1], v[84:85], v[76:77]
	s_waitcnt lgkmcnt(3)
	v_fmac_f64_e32 v[30:31], v[50:51], v[54:55]
	v_fmac_f64_e32 v[28:29], v[52:53], v[54:55]
	;; [unrolled: 1-line block ×8, first 2 shown]
	s_waitcnt lgkmcnt(2)
	v_fmac_f64_e32 v[26:27], v[38:39], v[54:55]
	v_fmac_f64_e32 v[24:25], v[40:41], v[54:55]
	;; [unrolled: 1-line block ×8, first 2 shown]
	s_waitcnt lgkmcnt(1)
	v_fmac_f64_e32 v[30:31], v[58:59], v[56:57]
	v_fmac_f64_e32 v[28:29], v[60:61], v[56:57]
	s_waitcnt lgkmcnt(0)
	v_fmac_f64_e32 v[26:27], v[66:67], v[56:57]
	v_fmac_f64_e32 v[24:25], v[68:69], v[56:57]
	;; [unrolled: 1-line block ×14, first 2 shown]
	s_barrier
	s_cbranch_vccnz .LBB212_2
	s_branch .LBB212_4
.LBB212_3:
	v_pk_mov_b32 v[30:31], 0, 0
	v_pk_mov_b32 v[28:29], 0, 0
	;; [unrolled: 1-line block ×16, first 2 shown]
.LBB212_4:
	v_mov_b32_e32 v32, s7
	v_add_co_u32_e32 v34, vcc, s6, v43
	v_addc_co_u32_e32 v37, vcc, 0, v32, vcc
	s_lshl_b64 s[8:9], s[48:49], 3
	v_mov_b32_e32 v33, s3
	v_add_co_u32_e32 v32, vcc, s2, v42
	s_waitcnt lgkmcnt(0)
	s_add_u32 s8, s4, s8
	v_cmp_neq_f64_e64 s[6:7], s[36:37], 0
	v_addc_co_u32_e32 v33, vcc, 0, v33, vcc
	s_addc_u32 s9, s5, s9
	s_mov_b64 s[4:5], 0
	s_and_b64 vcc, exec, s[6:7]
	v_mul_lo_u32 v35, v37, s46
	v_mul_lo_u32 v36, v34, s47
	v_lshlrev_b64 v[32:33], 3, v[32:33]
	s_cbranch_vccnz .LBB212_8
; %bb.5:
	v_mad_u64_u32 v[38:39], s[2:3], v34, s46, 0
	v_add3_u32 v39, v39, v36, v35
	v_lshlrev_b64 v[38:39], 3, v[38:39]
	v_mov_b32_e32 v40, s9
	v_add_co_u32_e32 v41, vcc, s8, v38
	v_addc_co_u32_e32 v42, vcc, v40, v39, vcc
	v_add_co_u32_e32 v40, vcc, v41, v32
	v_mul_f64 v[38:39], v[30:31], s[14:15]
	v_addc_co_u32_e32 v41, vcc, v42, v33, vcc
	global_store_dwordx2 v[40:41], v[38:39], off
	v_mul_f64 v[38:39], v[28:29], s[14:15]
	global_store_dwordx2 v[40:41], v[38:39], off offset:128
	v_mul_f64 v[38:39], v[26:27], s[14:15]
	global_store_dwordx2 v[40:41], v[38:39], off offset:256
	v_mul_f64 v[38:39], v[24:25], s[14:15]
	s_lshl_b64 s[2:3], s[46:47], 7
	global_store_dwordx2 v[40:41], v[38:39], off offset:384
	v_mov_b32_e32 v42, s3
	v_add_co_u32_e32 v40, vcc, s2, v40
	v_mul_f64 v[38:39], v[22:23], s[14:15]
	v_addc_co_u32_e32 v41, vcc, v41, v42, vcc
	global_store_dwordx2 v[40:41], v[38:39], off
	v_mul_f64 v[38:39], v[20:21], s[14:15]
	global_store_dwordx2 v[40:41], v[38:39], off offset:128
	v_mul_f64 v[38:39], v[18:19], s[14:15]
	global_store_dwordx2 v[40:41], v[38:39], off offset:256
	v_mul_f64 v[38:39], v[16:17], s[14:15]
	global_store_dwordx2 v[40:41], v[38:39], off offset:384
	v_add_co_u32_e32 v40, vcc, s2, v40
	v_mul_f64 v[38:39], v[14:15], s[14:15]
	v_addc_co_u32_e32 v41, vcc, v41, v42, vcc
	global_store_dwordx2 v[40:41], v[38:39], off
	v_mul_f64 v[38:39], v[12:13], s[14:15]
	global_store_dwordx2 v[40:41], v[38:39], off offset:128
	v_mul_f64 v[38:39], v[10:11], s[14:15]
	global_store_dwordx2 v[40:41], v[38:39], off offset:256
	v_mul_f64 v[38:39], v[8:9], s[14:15]
	global_store_dwordx2 v[40:41], v[38:39], off offset:384
	;; [unrolled: 10-line block ×3, first 2 shown]
	s_andn2_b64 vcc, exec, s[4:5]
	s_cbranch_vccnz .LBB212_7
.LBB212_6:
	s_lshl_b64 s[2:3], s[42:43], 3
	s_add_u32 s2, s0, s2
	s_addc_u32 s3, s1, s3
	v_mul_lo_u32 v37, v37, s40
	v_mul_lo_u32 v40, v34, s41
	v_mad_u64_u32 v[38:39], s[0:1], v34, s40, 0
	v_add3_u32 v39, v39, v40, v37
	v_lshlrev_b64 v[38:39], 3, v[38:39]
	v_mov_b32_e32 v37, s3
	v_add_co_u32_e32 v38, vcc, s2, v38
	v_addc_co_u32_e32 v37, vcc, v37, v39, vcc
	v_add_co_u32_e32 v38, vcc, v38, v32
	v_addc_co_u32_e32 v39, vcc, v37, v33, vcc
	global_load_dwordx2 v[40:41], v[38:39], off
	v_mad_u64_u32 v[42:43], s[0:1], v34, s46, 0
	v_add3_u32 v43, v43, v36, v35
	v_lshlrev_b64 v[34:35], 3, v[42:43]
	v_mov_b32_e32 v37, s9
	v_add_co_u32_e32 v34, vcc, s8, v34
	v_addc_co_u32_e32 v35, vcc, v37, v35, vcc
	v_add_co_u32_e32 v32, vcc, v34, v32
	v_addc_co_u32_e32 v33, vcc, v35, v33, vcc
	s_lshl_b64 s[0:1], s[40:41], 7
	s_lshl_b64 s[2:3], s[46:47], 7
	s_waitcnt vmcnt(0)
	v_mul_f64 v[34:35], v[40:41], s[36:37]
	v_fmac_f64_e32 v[34:35], s[14:15], v[30:31]
	global_store_dwordx2 v[32:33], v[34:35], off
	global_load_dwordx2 v[30:31], v[38:39], off offset:128
	s_waitcnt vmcnt(0)
	v_mul_f64 v[30:31], v[30:31], s[36:37]
	v_fmac_f64_e32 v[30:31], s[14:15], v[28:29]
	global_store_dwordx2 v[32:33], v[30:31], off offset:128
	global_load_dwordx2 v[28:29], v[38:39], off offset:256
	v_mov_b32_e32 v30, s1
	v_mov_b32_e32 v31, s3
	s_waitcnt vmcnt(0)
	v_mul_f64 v[28:29], v[28:29], s[36:37]
	v_fmac_f64_e32 v[28:29], s[14:15], v[26:27]
	global_store_dwordx2 v[32:33], v[28:29], off offset:256
	global_load_dwordx2 v[26:27], v[38:39], off offset:384
	v_add_co_u32_e32 v28, vcc, s0, v38
	v_addc_co_u32_e32 v29, vcc, v39, v30, vcc
	s_waitcnt vmcnt(0)
	v_mul_f64 v[26:27], v[26:27], s[36:37]
	v_fmac_f64_e32 v[26:27], s[14:15], v[24:25]
	global_store_dwordx2 v[32:33], v[26:27], off offset:384
	global_load_dwordx2 v[24:25], v[28:29], off
	v_add_co_u32_e32 v26, vcc, s2, v32
	v_addc_co_u32_e32 v27, vcc, v33, v31, vcc
	s_waitcnt vmcnt(0)
	v_mul_f64 v[24:25], v[24:25], s[36:37]
	v_fmac_f64_e32 v[24:25], s[14:15], v[22:23]
	global_store_dwordx2 v[26:27], v[24:25], off
	global_load_dwordx2 v[22:23], v[28:29], off offset:128
	s_waitcnt vmcnt(0)
	v_mul_f64 v[22:23], v[22:23], s[36:37]
	v_fmac_f64_e32 v[22:23], s[14:15], v[20:21]
	global_store_dwordx2 v[26:27], v[22:23], off offset:128
	global_load_dwordx2 v[20:21], v[28:29], off offset:256
	s_waitcnt vmcnt(0)
	v_mul_f64 v[20:21], v[20:21], s[36:37]
	v_fmac_f64_e32 v[20:21], s[14:15], v[18:19]
	global_store_dwordx2 v[26:27], v[20:21], off offset:256
	global_load_dwordx2 v[18:19], v[28:29], off offset:384
	v_add_co_u32_e32 v20, vcc, s0, v28
	v_addc_co_u32_e32 v21, vcc, v29, v30, vcc
	s_waitcnt vmcnt(0)
	v_mul_f64 v[18:19], v[18:19], s[36:37]
	v_fmac_f64_e32 v[18:19], s[14:15], v[16:17]
	global_store_dwordx2 v[26:27], v[18:19], off offset:384
	global_load_dwordx2 v[16:17], v[20:21], off
	v_add_co_u32_e32 v18, vcc, s2, v26
	v_addc_co_u32_e32 v19, vcc, v27, v31, vcc
	s_waitcnt vmcnt(0)
	v_mul_f64 v[16:17], v[16:17], s[36:37]
	v_fmac_f64_e32 v[16:17], s[14:15], v[14:15]
	global_store_dwordx2 v[18:19], v[16:17], off
	global_load_dwordx2 v[14:15], v[20:21], off offset:128
	s_waitcnt vmcnt(0)
	v_mul_f64 v[14:15], v[14:15], s[36:37]
	v_fmac_f64_e32 v[14:15], s[14:15], v[12:13]
	global_store_dwordx2 v[18:19], v[14:15], off offset:128
	global_load_dwordx2 v[12:13], v[20:21], off offset:256
	s_waitcnt vmcnt(0)
	v_mul_f64 v[12:13], v[12:13], s[36:37]
	v_fmac_f64_e32 v[12:13], s[14:15], v[10:11]
	global_store_dwordx2 v[18:19], v[12:13], off offset:256
	global_load_dwordx2 v[10:11], v[20:21], off offset:384
	v_add_co_u32_e32 v12, vcc, s0, v20
	v_addc_co_u32_e32 v13, vcc, v21, v30, vcc
	s_waitcnt vmcnt(0)
	v_mul_f64 v[10:11], v[10:11], s[36:37]
	v_fmac_f64_e32 v[10:11], s[14:15], v[8:9]
	global_store_dwordx2 v[18:19], v[10:11], off offset:384
	global_load_dwordx2 v[8:9], v[12:13], off
	s_waitcnt vmcnt(0)
	v_mul_f64 v[8:9], v[8:9], s[36:37]
	v_fmac_f64_e32 v[8:9], s[14:15], v[6:7]
	v_add_co_u32_e32 v6, vcc, s2, v18
	v_addc_co_u32_e32 v7, vcc, v19, v31, vcc
	global_store_dwordx2 v[6:7], v[8:9], off
	global_load_dwordx2 v[8:9], v[12:13], off offset:128
	s_waitcnt vmcnt(0)
	v_mul_f64 v[8:9], v[8:9], s[36:37]
	v_fmac_f64_e32 v[8:9], s[14:15], v[4:5]
	global_store_dwordx2 v[6:7], v[8:9], off offset:128
	global_load_dwordx2 v[4:5], v[12:13], off offset:256
	s_waitcnt vmcnt(0)
	v_mul_f64 v[4:5], v[4:5], s[36:37]
	v_fmac_f64_e32 v[4:5], s[14:15], v[2:3]
	global_store_dwordx2 v[6:7], v[4:5], off offset:256
	global_load_dwordx2 v[2:3], v[12:13], off offset:384
	s_waitcnt vmcnt(0)
	v_mul_f64 v[2:3], v[2:3], s[36:37]
	v_fmac_f64_e32 v[2:3], s[14:15], v[0:1]
	global_store_dwordx2 v[6:7], v[2:3], off offset:384
.LBB212_7:
	s_endpgm
.LBB212_8:
	s_branch .LBB212_6
	.section	.rodata,"a",@progbits
	.p2align	6, 0x0
	.amdhsa_kernel _ZN12_GLOBAL__N_127rocblas_gemm_batched_kernelIdLi16ELi16ELi64ELi64ELi4ELi64ELi4ELi4ELi64ELc78ELc67EKPKdS3_KPdEEvlllT_PT11_llS8_llS6_PT12_llPT13_lli
		.amdhsa_group_segment_fixed_size 4096
		.amdhsa_private_segment_fixed_size 0
		.amdhsa_kernarg_size 140
		.amdhsa_user_sgpr_count 6
		.amdhsa_user_sgpr_private_segment_buffer 1
		.amdhsa_user_sgpr_dispatch_ptr 0
		.amdhsa_user_sgpr_queue_ptr 0
		.amdhsa_user_sgpr_kernarg_segment_ptr 1
		.amdhsa_user_sgpr_dispatch_id 0
		.amdhsa_user_sgpr_flat_scratch_init 0
		.amdhsa_user_sgpr_kernarg_preload_length 0
		.amdhsa_user_sgpr_kernarg_preload_offset 0
		.amdhsa_user_sgpr_private_segment_size 0
		.amdhsa_uses_dynamic_stack 0
		.amdhsa_system_sgpr_private_segment_wavefront_offset 0
		.amdhsa_system_sgpr_workgroup_id_x 1
		.amdhsa_system_sgpr_workgroup_id_y 1
		.amdhsa_system_sgpr_workgroup_id_z 1
		.amdhsa_system_sgpr_workgroup_info 0
		.amdhsa_system_vgpr_workitem_id 1
		.amdhsa_next_free_vgpr 86
		.amdhsa_next_free_sgpr 52
		.amdhsa_accum_offset 88
		.amdhsa_reserve_vcc 1
		.amdhsa_reserve_flat_scratch 0
		.amdhsa_float_round_mode_32 0
		.amdhsa_float_round_mode_16_64 0
		.amdhsa_float_denorm_mode_32 3
		.amdhsa_float_denorm_mode_16_64 3
		.amdhsa_dx10_clamp 1
		.amdhsa_ieee_mode 1
		.amdhsa_fp16_overflow 0
		.amdhsa_tg_split 0
		.amdhsa_exception_fp_ieee_invalid_op 0
		.amdhsa_exception_fp_denorm_src 0
		.amdhsa_exception_fp_ieee_div_zero 0
		.amdhsa_exception_fp_ieee_overflow 0
		.amdhsa_exception_fp_ieee_underflow 0
		.amdhsa_exception_fp_ieee_inexact 0
		.amdhsa_exception_int_div_zero 0
	.end_amdhsa_kernel
	.section	.text._ZN12_GLOBAL__N_127rocblas_gemm_batched_kernelIdLi16ELi16ELi64ELi64ELi4ELi64ELi4ELi4ELi64ELc78ELc67EKPKdS3_KPdEEvlllT_PT11_llS8_llS6_PT12_llPT13_lli,"axG",@progbits,_ZN12_GLOBAL__N_127rocblas_gemm_batched_kernelIdLi16ELi16ELi64ELi64ELi4ELi64ELi4ELi4ELi64ELc78ELc67EKPKdS3_KPdEEvlllT_PT11_llS8_llS6_PT12_llPT13_lli,comdat
.Lfunc_end212:
	.size	_ZN12_GLOBAL__N_127rocblas_gemm_batched_kernelIdLi16ELi16ELi64ELi64ELi4ELi64ELi4ELi4ELi64ELc78ELc67EKPKdS3_KPdEEvlllT_PT11_llS8_llS6_PT12_llPT13_lli, .Lfunc_end212-_ZN12_GLOBAL__N_127rocblas_gemm_batched_kernelIdLi16ELi16ELi64ELi64ELi4ELi64ELi4ELi4ELi64ELc78ELc67EKPKdS3_KPdEEvlllT_PT11_llS8_llS6_PT12_llPT13_lli
                                        ; -- End function
	.section	.AMDGPU.csdata,"",@progbits
; Kernel info:
; codeLenInByte = 2308
; NumSgprs: 56
; NumVgprs: 86
; NumAgprs: 0
; TotalNumVgprs: 86
; ScratchSize: 0
; MemoryBound: 0
; FloatMode: 240
; IeeeMode: 1
; LDSByteSize: 4096 bytes/workgroup (compile time only)
; SGPRBlocks: 6
; VGPRBlocks: 10
; NumSGPRsForWavesPerEU: 56
; NumVGPRsForWavesPerEU: 86
; AccumOffset: 88
; Occupancy: 5
; WaveLimiterHint : 1
; COMPUTE_PGM_RSRC2:SCRATCH_EN: 0
; COMPUTE_PGM_RSRC2:USER_SGPR: 6
; COMPUTE_PGM_RSRC2:TRAP_HANDLER: 0
; COMPUTE_PGM_RSRC2:TGID_X_EN: 1
; COMPUTE_PGM_RSRC2:TGID_Y_EN: 1
; COMPUTE_PGM_RSRC2:TGID_Z_EN: 1
; COMPUTE_PGM_RSRC2:TIDIG_COMP_CNT: 1
; COMPUTE_PGM_RSRC3_GFX90A:ACCUM_OFFSET: 21
; COMPUTE_PGM_RSRC3_GFX90A:TG_SPLIT: 0
	.section	.text._ZN12_GLOBAL__N_127rocblas_gemm_batched_kernelIdLi16ELi16ELi64ELi64ELi4ELi64ELi4ELi4ELi64ELc84ELc67EKPKdS3_KPdEEvlllT_PT11_llS8_llS6_PT12_llPT13_lli,"axG",@progbits,_ZN12_GLOBAL__N_127rocblas_gemm_batched_kernelIdLi16ELi16ELi64ELi64ELi4ELi64ELi4ELi4ELi64ELc84ELc67EKPKdS3_KPdEEvlllT_PT11_llS8_llS6_PT12_llPT13_lli,comdat
	.globl	_ZN12_GLOBAL__N_127rocblas_gemm_batched_kernelIdLi16ELi16ELi64ELi64ELi4ELi64ELi4ELi4ELi64ELc84ELc67EKPKdS3_KPdEEvlllT_PT11_llS8_llS6_PT12_llPT13_lli ; -- Begin function _ZN12_GLOBAL__N_127rocblas_gemm_batched_kernelIdLi16ELi16ELi64ELi64ELi4ELi64ELi4ELi4ELi64ELc84ELc67EKPKdS3_KPdEEvlllT_PT11_llS8_llS6_PT12_llPT13_lli
	.p2align	8
	.type	_ZN12_GLOBAL__N_127rocblas_gemm_batched_kernelIdLi16ELi16ELi64ELi64ELi4ELi64ELi4ELi4ELi64ELc84ELc67EKPKdS3_KPdEEvlllT_PT11_llS8_llS6_PT12_llPT13_lli,@function
_ZN12_GLOBAL__N_127rocblas_gemm_batched_kernelIdLi16ELi16ELi64ELi64ELi4ELi64ELi4ELi4ELi64ELc84ELc67EKPKdS3_KPdEEvlllT_PT11_llS8_llS6_PT12_llPT13_lli: ; @_ZN12_GLOBAL__N_127rocblas_gemm_batched_kernelIdLi16ELi16ELi64ELi64ELi4ELi64ELi4ELi4ELi64ELc84ELc67EKPKdS3_KPdEEvlllT_PT11_llS8_llS6_PT12_llPT13_lli
; %bb.0:
	s_load_dwordx16 s[12:27], s[4:5], 0x10
	s_load_dwordx8 s[44:51], s[4:5], 0x70
	s_load_dwordx8 s[36:43], s[4:5], 0x50
	s_mov_b32 s9, 0
	s_lshl_b64 s[10:11], s[8:9], 3
	s_mov_b32 s28, s7
	v_bfe_u32 v43, v0, 10, 10
	s_waitcnt lgkmcnt(0)
	s_add_u32 s0, s38, s10
	s_addc_u32 s1, s39, s11
	s_add_u32 s2, s44, s10
	s_addc_u32 s3, s45, s11
	s_load_dwordx2 s[0:1], s[0:1], 0x0
	s_ashr_i32 s7, s6, 31
	s_load_dwordx2 s[4:5], s[2:3], 0x0
	s_ashr_i32 s29, s28, 31
	s_lshl_b64 s[2:3], s[6:7], 6
	s_lshl_b64 s[6:7], s[28:29], 6
	v_cmp_lt_i64_e64 s[28:29], s[12:13], 1
	v_and_b32_e32 v42, 0x3ff, v0
	s_mov_b64 s[8:9], 0
	s_and_b64 vcc, exec, s[28:29]
	s_cbranch_vccnz .LBB213_3
; %bb.1:
	s_add_u32 s16, s16, s10
	v_lshl_add_u32 v2, v43, 4, v42
	s_addc_u32 s17, s17, s11
	v_and_b32_e32 v4, 63, v2
	s_add_u32 s10, s22, s10
	v_lshrrev_b32_e32 v0, 2, v2
	v_and_b32_e32 v3, 3, v42
	v_lshrrev_b32_e32 v5, 6, v2
	v_lshlrev_b32_e32 v2, 3, v4
	s_addc_u32 s11, s23, s11
	v_lshl_or_b32 v44, v5, 9, v2
	v_lshlrev_b32_e32 v2, 3, v3
	s_load_dwordx2 s[10:11], s[10:11], 0x0
	v_mov_b32_e32 v1, 0
	v_lshl_or_b32 v2, v0, 5, v2
	v_add_u32_e32 v45, 0x800, v2
	v_mov_b32_e32 v2, 0x800
	s_lshl_b64 s[22:23], s[26:27], 3
	v_mad_u64_u32 v[0:1], s[26:27], v3, s24, v[0:1]
	v_lshl_add_u32 v47, v43, 5, v2
	v_mov_b32_e32 v2, v1
	v_mad_u64_u32 v[2:3], s[26:27], v3, s25, v[2:3]
	v_mov_b32_e32 v1, v2
	v_mov_b32_e32 v2, s7
	v_add_co_u32_e32 v0, vcc, s6, v0
	v_addc_co_u32_e32 v1, vcc, v1, v2, vcc
	s_waitcnt lgkmcnt(0)
	s_add_u32 s10, s10, s22
	v_lshlrev_b64 v[0:1], 3, v[0:1]
	s_addc_u32 s11, s11, s23
	v_mov_b32_e32 v2, s11
	v_add_co_u32_e32 v32, vcc, s10, v0
	v_addc_co_u32_e32 v33, vcc, v2, v1, vcc
	v_mov_b32_e32 v0, s3
	v_add_co_u32_e32 v1, vcc, s2, v4
	v_addc_co_u32_e32 v0, vcc, 0, v0, vcc
	v_mul_lo_u32 v2, s19, v1
	v_mul_lo_u32 v3, s18, v0
	v_mad_u64_u32 v[0:1], s[18:19], s18, v1, 0
	v_add3_u32 v1, v1, v3, v2
	s_load_dwordx2 s[16:17], s[16:17], 0x0
	v_lshlrev_b64 v[0:1], 3, v[0:1]
	s_lshl_b64 s[18:19], s[20:21], 3
	v_mov_b32_e32 v2, s19
	v_add_co_u32_e32 v0, vcc, s18, v0
	v_addc_co_u32_e32 v1, vcc, v1, v2, vcc
	v_lshlrev_b32_e32 v2, 3, v5
	v_add_co_u32_e32 v0, vcc, v0, v2
	v_addc_co_u32_e32 v1, vcc, 0, v1, vcc
	s_lshl_b64 s[10:11], s[24:25], 5
	s_waitcnt lgkmcnt(0)
	v_mov_b32_e32 v2, s17
	v_add_co_u32_e32 v34, vcc, s16, v0
	v_lshlrev_b32_e32 v46, 3, v42
	v_addc_co_u32_e32 v35, vcc, v2, v1, vcc
	v_pk_mov_b32 v[0:1], 0, 0
	v_mov_b32_e32 v48, s11
	v_pk_mov_b32 v[36:37], s[12:13], s[12:13] op_sel:[0,1]
	v_pk_mov_b32 v[2:3], 0, 0
	v_pk_mov_b32 v[4:5], 0, 0
	;; [unrolled: 1-line block ×15, first 2 shown]
.LBB213_2:                              ; =>This Inner Loop Header: Depth=1
	global_load_dwordx2 v[38:39], v[34:35], off
	global_load_dwordx2 v[40:41], v[32:33], off
	v_add_co_u32_e32 v32, vcc, s10, v32
	v_addc_co_u32_e32 v33, vcc, v33, v48, vcc
	s_add_u32 s8, s8, 4
	v_add_co_u32_e32 v34, vcc, 32, v34
	v_addc_co_u32_e32 v35, vcc, 0, v35, vcc
	s_addc_u32 s9, s9, 0
	v_cmp_lt_i64_e32 vcc, s[8:9], v[36:37]
	s_and_b64 vcc, exec, vcc
	s_waitcnt vmcnt(1)
	ds_write_b64 v44, v[38:39]
	s_waitcnt vmcnt(0)
	ds_write_b64 v45, v[40:41]
	s_waitcnt lgkmcnt(0)
	s_barrier
	ds_read2_b64 v[38:41], v46 offset1:16
	ds_read_b128 v[50:53], v47
	ds_read_b128 v[54:57], v47 offset:16
	ds_read_b128 v[58:61], v47 offset:512
	;; [unrolled: 1-line block ×6, first 2 shown]
	s_waitcnt lgkmcnt(6)
	v_fmac_f64_e32 v[30:31], v[38:39], v[50:51]
	v_fmac_f64_e32 v[28:29], v[40:41], v[50:51]
	s_waitcnt lgkmcnt(4)
	v_fmac_f64_e32 v[22:23], v[38:39], v[58:59]
	v_fmac_f64_e32 v[20:21], v[40:41], v[58:59]
	;; [unrolled: 3-line block ×4, first 2 shown]
	ds_read2_b64 v[38:41], v46 offset0:32 offset1:48
	ds_read2_b64 v[82:85], v46 offset0:96 offset1:112
	ds_read_b128 v[78:81], v47 offset:1552
	s_waitcnt lgkmcnt(2)
	v_fmac_f64_e32 v[26:27], v[38:39], v[50:51]
	v_fmac_f64_e32 v[24:25], v[40:41], v[50:51]
	;; [unrolled: 1-line block ×8, first 2 shown]
	ds_read2_b64 v[38:41], v46 offset0:64 offset1:80
	s_waitcnt lgkmcnt(2)
	v_fmac_f64_e32 v[26:27], v[82:83], v[52:53]
	v_fmac_f64_e32 v[24:25], v[84:85], v[52:53]
	;; [unrolled: 1-line block ×4, first 2 shown]
	s_waitcnt lgkmcnt(0)
	v_fmac_f64_e32 v[30:31], v[38:39], v[52:53]
	v_fmac_f64_e32 v[28:29], v[40:41], v[52:53]
	;; [unrolled: 1-line block ×6, first 2 shown]
	ds_read2_b64 v[50:53], v46 offset0:128 offset1:144
	v_fmac_f64_e32 v[6:7], v[38:39], v[76:77]
	v_fmac_f64_e32 v[4:5], v[40:41], v[76:77]
	ds_read2_b64 v[38:41], v46 offset0:160 offset1:176
	v_fmac_f64_e32 v[10:11], v[82:83], v[68:69]
	v_fmac_f64_e32 v[8:9], v[84:85], v[68:69]
	ds_read2_b64 v[58:61], v46 offset0:192 offset1:208
	ds_read2_b64 v[66:69], v46 offset0:224 offset1:240
	v_fmac_f64_e32 v[2:3], v[82:83], v[76:77]
	v_fmac_f64_e32 v[0:1], v[84:85], v[76:77]
	s_waitcnt lgkmcnt(3)
	v_fmac_f64_e32 v[30:31], v[50:51], v[54:55]
	v_fmac_f64_e32 v[28:29], v[52:53], v[54:55]
	v_fmac_f64_e32 v[22:23], v[50:51], v[62:63]
	v_fmac_f64_e32 v[20:21], v[52:53], v[62:63]
	v_fmac_f64_e32 v[14:15], v[50:51], v[70:71]
	v_fmac_f64_e32 v[12:13], v[52:53], v[70:71]
	v_fmac_f64_e32 v[6:7], v[50:51], v[78:79]
	v_fmac_f64_e32 v[4:5], v[52:53], v[78:79]
	s_waitcnt lgkmcnt(2)
	v_fmac_f64_e32 v[26:27], v[38:39], v[54:55]
	v_fmac_f64_e32 v[24:25], v[40:41], v[54:55]
	;; [unrolled: 1-line block ×8, first 2 shown]
	s_waitcnt lgkmcnt(1)
	v_fmac_f64_e32 v[30:31], v[58:59], v[56:57]
	v_fmac_f64_e32 v[28:29], v[60:61], v[56:57]
	s_waitcnt lgkmcnt(0)
	v_fmac_f64_e32 v[26:27], v[66:67], v[56:57]
	v_fmac_f64_e32 v[24:25], v[68:69], v[56:57]
	v_fmac_f64_e32 v[22:23], v[58:59], v[64:65]
	v_fmac_f64_e32 v[20:21], v[60:61], v[64:65]
	v_fmac_f64_e32 v[18:19], v[66:67], v[64:65]
	v_fmac_f64_e32 v[16:17], v[68:69], v[64:65]
	v_fmac_f64_e32 v[14:15], v[58:59], v[72:73]
	v_fmac_f64_e32 v[12:13], v[60:61], v[72:73]
	v_fmac_f64_e32 v[10:11], v[66:67], v[72:73]
	v_fmac_f64_e32 v[8:9], v[68:69], v[72:73]
	v_fmac_f64_e32 v[6:7], v[58:59], v[80:81]
	v_fmac_f64_e32 v[4:5], v[60:61], v[80:81]
	v_fmac_f64_e32 v[2:3], v[66:67], v[80:81]
	v_fmac_f64_e32 v[0:1], v[68:69], v[80:81]
	s_barrier
	s_cbranch_vccnz .LBB213_2
	s_branch .LBB213_4
.LBB213_3:
	v_pk_mov_b32 v[30:31], 0, 0
	v_pk_mov_b32 v[28:29], 0, 0
	;; [unrolled: 1-line block ×16, first 2 shown]
.LBB213_4:
	v_mov_b32_e32 v32, s7
	v_add_co_u32_e32 v34, vcc, s6, v43
	v_addc_co_u32_e32 v37, vcc, 0, v32, vcc
	s_lshl_b64 s[8:9], s[48:49], 3
	v_mov_b32_e32 v33, s3
	v_add_co_u32_e32 v32, vcc, s2, v42
	s_waitcnt lgkmcnt(0)
	s_add_u32 s8, s4, s8
	v_cmp_neq_f64_e64 s[6:7], s[36:37], 0
	v_addc_co_u32_e32 v33, vcc, 0, v33, vcc
	s_addc_u32 s9, s5, s9
	s_mov_b64 s[4:5], 0
	s_and_b64 vcc, exec, s[6:7]
	v_mul_lo_u32 v35, v37, s46
	v_mul_lo_u32 v36, v34, s47
	v_lshlrev_b64 v[32:33], 3, v[32:33]
	s_cbranch_vccnz .LBB213_8
; %bb.5:
	v_mad_u64_u32 v[38:39], s[2:3], v34, s46, 0
	v_add3_u32 v39, v39, v36, v35
	v_lshlrev_b64 v[38:39], 3, v[38:39]
	v_mov_b32_e32 v40, s9
	v_add_co_u32_e32 v41, vcc, s8, v38
	v_addc_co_u32_e32 v42, vcc, v40, v39, vcc
	v_add_co_u32_e32 v40, vcc, v41, v32
	v_mul_f64 v[38:39], v[30:31], s[14:15]
	v_addc_co_u32_e32 v41, vcc, v42, v33, vcc
	global_store_dwordx2 v[40:41], v[38:39], off
	v_mul_f64 v[38:39], v[28:29], s[14:15]
	global_store_dwordx2 v[40:41], v[38:39], off offset:128
	v_mul_f64 v[38:39], v[26:27], s[14:15]
	global_store_dwordx2 v[40:41], v[38:39], off offset:256
	v_mul_f64 v[38:39], v[24:25], s[14:15]
	s_lshl_b64 s[2:3], s[46:47], 7
	global_store_dwordx2 v[40:41], v[38:39], off offset:384
	v_mov_b32_e32 v42, s3
	v_add_co_u32_e32 v40, vcc, s2, v40
	v_mul_f64 v[38:39], v[22:23], s[14:15]
	v_addc_co_u32_e32 v41, vcc, v41, v42, vcc
	global_store_dwordx2 v[40:41], v[38:39], off
	v_mul_f64 v[38:39], v[20:21], s[14:15]
	global_store_dwordx2 v[40:41], v[38:39], off offset:128
	v_mul_f64 v[38:39], v[18:19], s[14:15]
	global_store_dwordx2 v[40:41], v[38:39], off offset:256
	v_mul_f64 v[38:39], v[16:17], s[14:15]
	global_store_dwordx2 v[40:41], v[38:39], off offset:384
	v_add_co_u32_e32 v40, vcc, s2, v40
	v_mul_f64 v[38:39], v[14:15], s[14:15]
	v_addc_co_u32_e32 v41, vcc, v41, v42, vcc
	global_store_dwordx2 v[40:41], v[38:39], off
	v_mul_f64 v[38:39], v[12:13], s[14:15]
	global_store_dwordx2 v[40:41], v[38:39], off offset:128
	v_mul_f64 v[38:39], v[10:11], s[14:15]
	global_store_dwordx2 v[40:41], v[38:39], off offset:256
	v_mul_f64 v[38:39], v[8:9], s[14:15]
	global_store_dwordx2 v[40:41], v[38:39], off offset:384
	;; [unrolled: 10-line block ×3, first 2 shown]
	s_andn2_b64 vcc, exec, s[4:5]
	s_cbranch_vccnz .LBB213_7
.LBB213_6:
	s_lshl_b64 s[2:3], s[42:43], 3
	s_add_u32 s2, s0, s2
	s_addc_u32 s3, s1, s3
	v_mul_lo_u32 v37, v37, s40
	v_mul_lo_u32 v40, v34, s41
	v_mad_u64_u32 v[38:39], s[0:1], v34, s40, 0
	v_add3_u32 v39, v39, v40, v37
	v_lshlrev_b64 v[38:39], 3, v[38:39]
	v_mov_b32_e32 v37, s3
	v_add_co_u32_e32 v38, vcc, s2, v38
	v_addc_co_u32_e32 v37, vcc, v37, v39, vcc
	v_add_co_u32_e32 v38, vcc, v38, v32
	v_addc_co_u32_e32 v39, vcc, v37, v33, vcc
	global_load_dwordx2 v[40:41], v[38:39], off
	v_mad_u64_u32 v[42:43], s[0:1], v34, s46, 0
	v_add3_u32 v43, v43, v36, v35
	v_lshlrev_b64 v[34:35], 3, v[42:43]
	v_mov_b32_e32 v37, s9
	v_add_co_u32_e32 v34, vcc, s8, v34
	v_addc_co_u32_e32 v35, vcc, v37, v35, vcc
	v_add_co_u32_e32 v32, vcc, v34, v32
	v_addc_co_u32_e32 v33, vcc, v35, v33, vcc
	s_lshl_b64 s[0:1], s[40:41], 7
	s_lshl_b64 s[2:3], s[46:47], 7
	s_waitcnt vmcnt(0)
	v_mul_f64 v[34:35], v[40:41], s[36:37]
	v_fmac_f64_e32 v[34:35], s[14:15], v[30:31]
	global_store_dwordx2 v[32:33], v[34:35], off
	global_load_dwordx2 v[30:31], v[38:39], off offset:128
	s_waitcnt vmcnt(0)
	v_mul_f64 v[30:31], v[30:31], s[36:37]
	v_fmac_f64_e32 v[30:31], s[14:15], v[28:29]
	global_store_dwordx2 v[32:33], v[30:31], off offset:128
	global_load_dwordx2 v[28:29], v[38:39], off offset:256
	v_mov_b32_e32 v30, s1
	v_mov_b32_e32 v31, s3
	s_waitcnt vmcnt(0)
	v_mul_f64 v[28:29], v[28:29], s[36:37]
	v_fmac_f64_e32 v[28:29], s[14:15], v[26:27]
	global_store_dwordx2 v[32:33], v[28:29], off offset:256
	global_load_dwordx2 v[26:27], v[38:39], off offset:384
	v_add_co_u32_e32 v28, vcc, s0, v38
	v_addc_co_u32_e32 v29, vcc, v39, v30, vcc
	s_waitcnt vmcnt(0)
	v_mul_f64 v[26:27], v[26:27], s[36:37]
	v_fmac_f64_e32 v[26:27], s[14:15], v[24:25]
	global_store_dwordx2 v[32:33], v[26:27], off offset:384
	global_load_dwordx2 v[24:25], v[28:29], off
	v_add_co_u32_e32 v26, vcc, s2, v32
	v_addc_co_u32_e32 v27, vcc, v33, v31, vcc
	s_waitcnt vmcnt(0)
	v_mul_f64 v[24:25], v[24:25], s[36:37]
	v_fmac_f64_e32 v[24:25], s[14:15], v[22:23]
	global_store_dwordx2 v[26:27], v[24:25], off
	global_load_dwordx2 v[22:23], v[28:29], off offset:128
	s_waitcnt vmcnt(0)
	v_mul_f64 v[22:23], v[22:23], s[36:37]
	v_fmac_f64_e32 v[22:23], s[14:15], v[20:21]
	global_store_dwordx2 v[26:27], v[22:23], off offset:128
	global_load_dwordx2 v[20:21], v[28:29], off offset:256
	s_waitcnt vmcnt(0)
	v_mul_f64 v[20:21], v[20:21], s[36:37]
	v_fmac_f64_e32 v[20:21], s[14:15], v[18:19]
	global_store_dwordx2 v[26:27], v[20:21], off offset:256
	global_load_dwordx2 v[18:19], v[28:29], off offset:384
	v_add_co_u32_e32 v20, vcc, s0, v28
	v_addc_co_u32_e32 v21, vcc, v29, v30, vcc
	s_waitcnt vmcnt(0)
	v_mul_f64 v[18:19], v[18:19], s[36:37]
	v_fmac_f64_e32 v[18:19], s[14:15], v[16:17]
	global_store_dwordx2 v[26:27], v[18:19], off offset:384
	global_load_dwordx2 v[16:17], v[20:21], off
	v_add_co_u32_e32 v18, vcc, s2, v26
	v_addc_co_u32_e32 v19, vcc, v27, v31, vcc
	s_waitcnt vmcnt(0)
	v_mul_f64 v[16:17], v[16:17], s[36:37]
	v_fmac_f64_e32 v[16:17], s[14:15], v[14:15]
	global_store_dwordx2 v[18:19], v[16:17], off
	global_load_dwordx2 v[14:15], v[20:21], off offset:128
	s_waitcnt vmcnt(0)
	v_mul_f64 v[14:15], v[14:15], s[36:37]
	v_fmac_f64_e32 v[14:15], s[14:15], v[12:13]
	global_store_dwordx2 v[18:19], v[14:15], off offset:128
	global_load_dwordx2 v[12:13], v[20:21], off offset:256
	s_waitcnt vmcnt(0)
	v_mul_f64 v[12:13], v[12:13], s[36:37]
	v_fmac_f64_e32 v[12:13], s[14:15], v[10:11]
	global_store_dwordx2 v[18:19], v[12:13], off offset:256
	global_load_dwordx2 v[10:11], v[20:21], off offset:384
	v_add_co_u32_e32 v12, vcc, s0, v20
	v_addc_co_u32_e32 v13, vcc, v21, v30, vcc
	s_waitcnt vmcnt(0)
	v_mul_f64 v[10:11], v[10:11], s[36:37]
	v_fmac_f64_e32 v[10:11], s[14:15], v[8:9]
	global_store_dwordx2 v[18:19], v[10:11], off offset:384
	global_load_dwordx2 v[8:9], v[12:13], off
	s_waitcnt vmcnt(0)
	v_mul_f64 v[8:9], v[8:9], s[36:37]
	v_fmac_f64_e32 v[8:9], s[14:15], v[6:7]
	v_add_co_u32_e32 v6, vcc, s2, v18
	v_addc_co_u32_e32 v7, vcc, v19, v31, vcc
	global_store_dwordx2 v[6:7], v[8:9], off
	global_load_dwordx2 v[8:9], v[12:13], off offset:128
	s_waitcnt vmcnt(0)
	v_mul_f64 v[8:9], v[8:9], s[36:37]
	v_fmac_f64_e32 v[8:9], s[14:15], v[4:5]
	global_store_dwordx2 v[6:7], v[8:9], off offset:128
	global_load_dwordx2 v[4:5], v[12:13], off offset:256
	s_waitcnt vmcnt(0)
	v_mul_f64 v[4:5], v[4:5], s[36:37]
	v_fmac_f64_e32 v[4:5], s[14:15], v[2:3]
	global_store_dwordx2 v[6:7], v[4:5], off offset:256
	;; [unrolled: 5-line block ×3, first 2 shown]
.LBB213_7:
	s_endpgm
.LBB213_8:
	s_branch .LBB213_6
	.section	.rodata,"a",@progbits
	.p2align	6, 0x0
	.amdhsa_kernel _ZN12_GLOBAL__N_127rocblas_gemm_batched_kernelIdLi16ELi16ELi64ELi64ELi4ELi64ELi4ELi4ELi64ELc84ELc67EKPKdS3_KPdEEvlllT_PT11_llS8_llS6_PT12_llPT13_lli
		.amdhsa_group_segment_fixed_size 4096
		.amdhsa_private_segment_fixed_size 0
		.amdhsa_kernarg_size 140
		.amdhsa_user_sgpr_count 6
		.amdhsa_user_sgpr_private_segment_buffer 1
		.amdhsa_user_sgpr_dispatch_ptr 0
		.amdhsa_user_sgpr_queue_ptr 0
		.amdhsa_user_sgpr_kernarg_segment_ptr 1
		.amdhsa_user_sgpr_dispatch_id 0
		.amdhsa_user_sgpr_flat_scratch_init 0
		.amdhsa_user_sgpr_kernarg_preload_length 0
		.amdhsa_user_sgpr_kernarg_preload_offset 0
		.amdhsa_user_sgpr_private_segment_size 0
		.amdhsa_uses_dynamic_stack 0
		.amdhsa_system_sgpr_private_segment_wavefront_offset 0
		.amdhsa_system_sgpr_workgroup_id_x 1
		.amdhsa_system_sgpr_workgroup_id_y 1
		.amdhsa_system_sgpr_workgroup_id_z 1
		.amdhsa_system_sgpr_workgroup_info 0
		.amdhsa_system_vgpr_workitem_id 1
		.amdhsa_next_free_vgpr 86
		.amdhsa_next_free_sgpr 52
		.amdhsa_accum_offset 88
		.amdhsa_reserve_vcc 1
		.amdhsa_reserve_flat_scratch 0
		.amdhsa_float_round_mode_32 0
		.amdhsa_float_round_mode_16_64 0
		.amdhsa_float_denorm_mode_32 3
		.amdhsa_float_denorm_mode_16_64 3
		.amdhsa_dx10_clamp 1
		.amdhsa_ieee_mode 1
		.amdhsa_fp16_overflow 0
		.amdhsa_tg_split 0
		.amdhsa_exception_fp_ieee_invalid_op 0
		.amdhsa_exception_fp_denorm_src 0
		.amdhsa_exception_fp_ieee_div_zero 0
		.amdhsa_exception_fp_ieee_overflow 0
		.amdhsa_exception_fp_ieee_underflow 0
		.amdhsa_exception_fp_ieee_inexact 0
		.amdhsa_exception_int_div_zero 0
	.end_amdhsa_kernel
	.section	.text._ZN12_GLOBAL__N_127rocblas_gemm_batched_kernelIdLi16ELi16ELi64ELi64ELi4ELi64ELi4ELi4ELi64ELc84ELc67EKPKdS3_KPdEEvlllT_PT11_llS8_llS6_PT12_llPT13_lli,"axG",@progbits,_ZN12_GLOBAL__N_127rocblas_gemm_batched_kernelIdLi16ELi16ELi64ELi64ELi4ELi64ELi4ELi4ELi64ELc84ELc67EKPKdS3_KPdEEvlllT_PT11_llS8_llS6_PT12_llPT13_lli,comdat
.Lfunc_end213:
	.size	_ZN12_GLOBAL__N_127rocblas_gemm_batched_kernelIdLi16ELi16ELi64ELi64ELi4ELi64ELi4ELi4ELi64ELc84ELc67EKPKdS3_KPdEEvlllT_PT11_llS8_llS6_PT12_llPT13_lli, .Lfunc_end213-_ZN12_GLOBAL__N_127rocblas_gemm_batched_kernelIdLi16ELi16ELi64ELi64ELi4ELi64ELi4ELi4ELi64ELc84ELc67EKPKdS3_KPdEEvlllT_PT11_llS8_llS6_PT12_llPT13_lli
                                        ; -- End function
	.section	.AMDGPU.csdata,"",@progbits
; Kernel info:
; codeLenInByte = 2320
; NumSgprs: 56
; NumVgprs: 86
; NumAgprs: 0
; TotalNumVgprs: 86
; ScratchSize: 0
; MemoryBound: 0
; FloatMode: 240
; IeeeMode: 1
; LDSByteSize: 4096 bytes/workgroup (compile time only)
; SGPRBlocks: 6
; VGPRBlocks: 10
; NumSGPRsForWavesPerEU: 56
; NumVGPRsForWavesPerEU: 86
; AccumOffset: 88
; Occupancy: 5
; WaveLimiterHint : 1
; COMPUTE_PGM_RSRC2:SCRATCH_EN: 0
; COMPUTE_PGM_RSRC2:USER_SGPR: 6
; COMPUTE_PGM_RSRC2:TRAP_HANDLER: 0
; COMPUTE_PGM_RSRC2:TGID_X_EN: 1
; COMPUTE_PGM_RSRC2:TGID_Y_EN: 1
; COMPUTE_PGM_RSRC2:TGID_Z_EN: 1
; COMPUTE_PGM_RSRC2:TIDIG_COMP_CNT: 1
; COMPUTE_PGM_RSRC3_GFX90A:ACCUM_OFFSET: 21
; COMPUTE_PGM_RSRC3_GFX90A:TG_SPLIT: 0
	.section	.text._ZN12_GLOBAL__N_127rocblas_gemm_batched_kernelIdLi16ELi16ELi32ELi32ELi8ELi32ELi8ELi8ELi32ELc78ELc78EKPKdS3_KPdEEvlllT_PT11_llS8_llS6_PT12_llPT13_lli,"axG",@progbits,_ZN12_GLOBAL__N_127rocblas_gemm_batched_kernelIdLi16ELi16ELi32ELi32ELi8ELi32ELi8ELi8ELi32ELc78ELc78EKPKdS3_KPdEEvlllT_PT11_llS8_llS6_PT12_llPT13_lli,comdat
	.globl	_ZN12_GLOBAL__N_127rocblas_gemm_batched_kernelIdLi16ELi16ELi32ELi32ELi8ELi32ELi8ELi8ELi32ELc78ELc78EKPKdS3_KPdEEvlllT_PT11_llS8_llS6_PT12_llPT13_lli ; -- Begin function _ZN12_GLOBAL__N_127rocblas_gemm_batched_kernelIdLi16ELi16ELi32ELi32ELi8ELi32ELi8ELi8ELi32ELc78ELc78EKPKdS3_KPdEEvlllT_PT11_llS8_llS6_PT12_llPT13_lli
	.p2align	8
	.type	_ZN12_GLOBAL__N_127rocblas_gemm_batched_kernelIdLi16ELi16ELi32ELi32ELi8ELi32ELi8ELi8ELi32ELc78ELc78EKPKdS3_KPdEEvlllT_PT11_llS8_llS6_PT12_llPT13_lli,@function
_ZN12_GLOBAL__N_127rocblas_gemm_batched_kernelIdLi16ELi16ELi32ELi32ELi8ELi32ELi8ELi8ELi32ELc78ELc78EKPKdS3_KPdEEvlllT_PT11_llS8_llS6_PT12_llPT13_lli: ; @_ZN12_GLOBAL__N_127rocblas_gemm_batched_kernelIdLi16ELi16ELi32ELi32ELi8ELi32ELi8ELi8ELi32ELc78ELc78EKPKdS3_KPdEEvlllT_PT11_llS8_llS6_PT12_llPT13_lli
; %bb.0:
	s_load_dwordx16 s[12:27], s[4:5], 0x10
	s_load_dwordx8 s[44:51], s[4:5], 0x70
	s_load_dwordx8 s[36:43], s[4:5], 0x50
	s_mov_b32 s9, 0
	s_lshl_b64 s[10:11], s[8:9], 3
	s_mov_b32 s28, s7
	v_bfe_u32 v15, v0, 10, 10
	s_waitcnt lgkmcnt(0)
	s_add_u32 s0, s38, s10
	s_addc_u32 s1, s39, s11
	s_add_u32 s2, s44, s10
	s_addc_u32 s3, s45, s11
	s_load_dwordx2 s[0:1], s[0:1], 0x0
	s_ashr_i32 s7, s6, 31
	s_load_dwordx2 s[4:5], s[2:3], 0x0
	s_ashr_i32 s29, s28, 31
	s_lshl_b64 s[2:3], s[6:7], 5
	s_lshl_b64 s[6:7], s[28:29], 5
	v_cmp_lt_i64_e64 s[28:29], s[12:13], 1
	v_and_b32_e32 v14, 0x3ff, v0
	s_mov_b64 s[8:9], 0
	s_and_b64 vcc, exec, s[28:29]
	s_cbranch_vccnz .LBB214_3
; %bb.1:
	v_lshl_add_u32 v0, v15, 4, v14
	v_and_b32_e32 v4, 7, v14
	v_and_b32_e32 v5, 31, v0
	s_add_u32 s16, s16, s10
	v_lshrrev_b32_e32 v1, 3, v0
	v_lshrrev_b32_e32 v6, 5, v0
	v_lshlrev_b32_e32 v0, 3, v5
	v_lshlrev_b32_e32 v4, 3, v4
	s_addc_u32 s17, s17, s11
	v_mov_b32_e32 v2, s7
	v_add_co_u32_e32 v3, vcc, s6, v1
	v_lshl_or_b32 v16, v6, 8, v0
	v_lshl_or_b32 v0, v1, 6, v4
	s_add_u32 s10, s22, s10
	v_addc_co_u32_e32 v2, vcc, 0, v2, vcc
	v_add_u32_e32 v17, 0x800, v0
	v_mov_b32_e32 v0, 0x800
	s_addc_u32 s11, s23, s11
	v_lshl_add_u32 v19, v15, 6, v0
	v_mul_lo_u32 v7, s25, v3
	v_mul_lo_u32 v2, s24, v2
	v_mad_u64_u32 v[0:1], s[22:23], s24, v3, 0
	v_add3_u32 v1, v1, v2, v7
	s_load_dwordx2 s[10:11], s[10:11], 0x0
	v_lshlrev_b64 v[0:1], 3, v[0:1]
	s_lshl_b64 s[22:23], s[26:27], 3
	v_mov_b32_e32 v2, s23
	v_add_co_u32_e32 v0, vcc, s22, v0
	v_addc_co_u32_e32 v1, vcc, v1, v2, vcc
	v_add_co_u32_e32 v0, vcc, v0, v4
	v_addc_co_u32_e32 v1, vcc, 0, v1, vcc
	s_waitcnt lgkmcnt(0)
	v_mov_b32_e32 v2, s11
	v_add_co_u32_e32 v8, vcc, s10, v0
	s_load_dwordx2 s[16:17], s[16:17], 0x0
	v_addc_co_u32_e32 v9, vcc, v2, v1, vcc
	v_pk_mov_b32 v[0:1], s[2:3], s[2:3] op_sel:[0,1]
	s_lshl_b64 s[10:11], s[20:21], 3
	v_mad_u64_u32 v[0:1], s[20:21], v6, s18, v[0:1]
	v_mov_b32_e32 v2, v1
	v_mad_u64_u32 v[2:3], s[20:21], v6, s19, v[2:3]
	v_mov_b32_e32 v1, v2
	v_add_co_u32_e32 v0, vcc, v0, v5
	v_addc_co_u32_e32 v1, vcc, 0, v1, vcc
	s_waitcnt lgkmcnt(0)
	s_add_u32 s10, s16, s10
	v_lshlrev_b64 v[0:1], 3, v[0:1]
	s_addc_u32 s11, s17, s11
	v_mov_b32_e32 v2, s11
	v_add_co_u32_e32 v10, vcc, s10, v0
	s_lshl_b64 s[10:11], s[18:19], 6
	v_lshlrev_b32_e32 v18, 3, v14
	v_addc_co_u32_e32 v11, vcc, v2, v1, vcc
	v_pk_mov_b32 v[0:1], 0, 0
	v_mov_b32_e32 v20, s11
	v_pk_mov_b32 v[12:13], s[12:13], s[12:13] op_sel:[0,1]
	v_pk_mov_b32 v[2:3], 0, 0
	v_pk_mov_b32 v[4:5], 0, 0
	;; [unrolled: 1-line block ×3, first 2 shown]
.LBB214_2:                              ; =>This Inner Loop Header: Depth=1
	global_load_dwordx2 v[22:23], v[10:11], off
	global_load_dwordx2 v[24:25], v[8:9], off
	v_add_co_u32_e32 v8, vcc, 64, v8
	v_addc_co_u32_e32 v9, vcc, 0, v9, vcc
	s_add_u32 s8, s8, 8
	v_add_co_u32_e32 v10, vcc, s10, v10
	v_addc_co_u32_e32 v11, vcc, v11, v20, vcc
	s_addc_u32 s9, s9, 0
	v_cmp_lt_i64_e32 vcc, s[8:9], v[12:13]
	s_and_b64 vcc, exec, vcc
	s_waitcnt vmcnt(1)
	ds_write_b64 v16, v[22:23]
	s_waitcnt vmcnt(0)
	ds_write_b64 v17, v[24:25]
	s_waitcnt lgkmcnt(0)
	s_barrier
	ds_read_b128 v[22:25], v19
	ds_read_b128 v[26:29], v19 offset:16
	ds_read_b128 v[30:33], v19 offset:32
	;; [unrolled: 1-line block ×3, first 2 shown]
	ds_read2_b64 v[38:41], v18 offset1:16
	ds_read2_b64 v[42:45], v18 offset0:32 offset1:48
	ds_read2_b64 v[46:49], v18 offset0:64 offset1:80
	ds_read_b128 v[50:53], v19 offset:1024
	ds_read_b128 v[54:57], v19 offset:1040
	ds_read2_b64 v[58:61], v18 offset0:96 offset1:112
	s_waitcnt lgkmcnt(5)
	v_fmac_f64_e32 v[6:7], v[38:39], v[22:23]
	v_fmac_f64_e32 v[4:5], v[40:41], v[22:23]
	s_waitcnt lgkmcnt(2)
	v_fmac_f64_e32 v[2:3], v[38:39], v[50:51]
	v_fmac_f64_e32 v[0:1], v[40:41], v[50:51]
	ds_read2_b64 v[38:41], v18 offset0:128 offset1:144
	v_fmac_f64_e32 v[6:7], v[42:43], v[24:25]
	v_fmac_f64_e32 v[4:5], v[44:45], v[24:25]
	ds_read2_b64 v[22:25], v18 offset0:160 offset1:176
	;; [unrolled: 3-line block ×3, first 2 shown]
	ds_read_b128 v[50:53], v19 offset:1056
	v_fmac_f64_e32 v[6:7], v[46:47], v[26:27]
	v_fmac_f64_e32 v[4:5], v[48:49], v[26:27]
	s_waitcnt lgkmcnt(5)
	v_fmac_f64_e32 v[2:3], v[46:47], v[54:55]
	v_fmac_f64_e32 v[0:1], v[48:49], v[54:55]
	ds_read_b128 v[46:49], v19 offset:1072
	s_waitcnt lgkmcnt(5)
	v_fmac_f64_e32 v[6:7], v[58:59], v[28:29]
	v_fmac_f64_e32 v[4:5], v[60:61], v[28:29]
	ds_read2_b64 v[26:29], v18 offset0:224 offset1:240
	v_fmac_f64_e32 v[2:3], v[58:59], v[56:57]
	v_fmac_f64_e32 v[0:1], v[60:61], v[56:57]
	s_waitcnt lgkmcnt(5)
	v_fmac_f64_e32 v[6:7], v[38:39], v[30:31]
	v_fmac_f64_e32 v[4:5], v[40:41], v[30:31]
	s_waitcnt lgkmcnt(2)
	v_fmac_f64_e32 v[2:3], v[38:39], v[50:51]
	v_fmac_f64_e32 v[0:1], v[40:41], v[50:51]
	;; [unrolled: 1-line block ×8, first 2 shown]
	s_waitcnt lgkmcnt(1)
	v_fmac_f64_e32 v[2:3], v[42:43], v[46:47]
	v_fmac_f64_e32 v[0:1], v[44:45], v[46:47]
	s_waitcnt lgkmcnt(0)
	v_fmac_f64_e32 v[6:7], v[26:27], v[36:37]
	v_fmac_f64_e32 v[4:5], v[28:29], v[36:37]
	;; [unrolled: 1-line block ×4, first 2 shown]
	s_barrier
	s_cbranch_vccnz .LBB214_2
	s_branch .LBB214_4
.LBB214_3:
	v_pk_mov_b32 v[6:7], 0, 0
	v_pk_mov_b32 v[4:5], 0, 0
	;; [unrolled: 1-line block ×4, first 2 shown]
.LBB214_4:
	v_mov_b32_e32 v8, s7
	v_add_co_u32_e32 v10, vcc, s6, v15
	v_addc_co_u32_e32 v13, vcc, 0, v8, vcc
	s_lshl_b64 s[8:9], s[48:49], 3
	v_mov_b32_e32 v9, s3
	v_add_co_u32_e32 v8, vcc, s2, v14
	s_waitcnt lgkmcnt(0)
	s_add_u32 s8, s4, s8
	v_cmp_neq_f64_e64 s[6:7], s[36:37], 0
	v_addc_co_u32_e32 v9, vcc, 0, v9, vcc
	s_addc_u32 s9, s5, s9
	s_mov_b64 s[4:5], 0
	s_and_b64 vcc, exec, s[6:7]
	v_mul_lo_u32 v11, v13, s46
	v_mul_lo_u32 v12, v10, s47
	v_lshlrev_b64 v[8:9], 3, v[8:9]
	s_cbranch_vccnz .LBB214_8
; %bb.5:
	v_mad_u64_u32 v[14:15], s[2:3], v10, s46, 0
	v_add3_u32 v15, v15, v12, v11
	v_lshlrev_b64 v[14:15], 3, v[14:15]
	v_mov_b32_e32 v16, s9
	v_add_co_u32_e32 v17, vcc, s8, v14
	v_addc_co_u32_e32 v18, vcc, v16, v15, vcc
	v_add_co_u32_e32 v16, vcc, v17, v8
	v_mul_f64 v[14:15], v[6:7], s[14:15]
	v_addc_co_u32_e32 v17, vcc, v18, v9, vcc
	global_store_dwordx2 v[16:17], v[14:15], off
	v_mul_f64 v[14:15], v[4:5], s[14:15]
	s_lshl_b64 s[2:3], s[46:47], 7
	global_store_dwordx2 v[16:17], v[14:15], off offset:128
	v_mov_b32_e32 v18, s3
	v_add_co_u32_e32 v16, vcc, s2, v16
	v_mul_f64 v[14:15], v[2:3], s[14:15]
	v_addc_co_u32_e32 v17, vcc, v17, v18, vcc
	global_store_dwordx2 v[16:17], v[14:15], off
	v_mul_f64 v[14:15], v[0:1], s[14:15]
	global_store_dwordx2 v[16:17], v[14:15], off offset:128
	s_andn2_b64 vcc, exec, s[4:5]
	s_cbranch_vccnz .LBB214_7
.LBB214_6:
	s_lshl_b64 s[2:3], s[42:43], 3
	s_add_u32 s2, s0, s2
	s_addc_u32 s3, s1, s3
	v_mul_lo_u32 v13, v13, s40
	v_mul_lo_u32 v16, v10, s41
	v_mad_u64_u32 v[14:15], s[0:1], v10, s40, 0
	v_add3_u32 v15, v15, v16, v13
	v_lshlrev_b64 v[14:15], 3, v[14:15]
	v_mov_b32_e32 v13, s3
	v_add_co_u32_e32 v14, vcc, s2, v14
	v_addc_co_u32_e32 v13, vcc, v13, v15, vcc
	v_add_co_u32_e32 v14, vcc, v14, v8
	v_addc_co_u32_e32 v15, vcc, v13, v9, vcc
	global_load_dwordx2 v[16:17], v[14:15], off
	v_mad_u64_u32 v[18:19], s[0:1], v10, s46, 0
	v_add3_u32 v19, v19, v12, v11
	v_lshlrev_b64 v[10:11], 3, v[18:19]
	v_mov_b32_e32 v13, s9
	v_add_co_u32_e32 v10, vcc, s8, v10
	v_addc_co_u32_e32 v11, vcc, v13, v11, vcc
	v_add_co_u32_e32 v8, vcc, v10, v8
	v_addc_co_u32_e32 v9, vcc, v11, v9, vcc
	s_lshl_b64 s[0:1], s[40:41], 7
	s_waitcnt vmcnt(0)
	v_mul_f64 v[10:11], v[16:17], s[36:37]
	v_fmac_f64_e32 v[10:11], s[14:15], v[6:7]
	global_store_dwordx2 v[8:9], v[10:11], off
	global_load_dwordx2 v[6:7], v[14:15], off offset:128
	v_mov_b32_e32 v11, s1
	v_add_co_u32_e32 v10, vcc, s0, v14
	v_addc_co_u32_e32 v11, vcc, v15, v11, vcc
	s_lshl_b64 s[0:1], s[46:47], 7
	s_waitcnt vmcnt(0)
	v_mul_f64 v[6:7], v[6:7], s[36:37]
	v_fmac_f64_e32 v[6:7], s[14:15], v[4:5]
	global_store_dwordx2 v[8:9], v[6:7], off offset:128
	global_load_dwordx2 v[4:5], v[10:11], off
	v_mov_b32_e32 v6, s1
	s_waitcnt vmcnt(0)
	v_mul_f64 v[4:5], v[4:5], s[36:37]
	v_fmac_f64_e32 v[4:5], s[14:15], v[2:3]
	v_add_co_u32_e32 v2, vcc, s0, v8
	v_addc_co_u32_e32 v3, vcc, v9, v6, vcc
	global_store_dwordx2 v[2:3], v[4:5], off
	global_load_dwordx2 v[4:5], v[10:11], off offset:128
	s_waitcnt vmcnt(0)
	v_mul_f64 v[4:5], v[4:5], s[36:37]
	v_fmac_f64_e32 v[4:5], s[14:15], v[0:1]
	global_store_dwordx2 v[2:3], v[4:5], off offset:128
.LBB214_7:
	s_endpgm
.LBB214_8:
	s_branch .LBB214_6
	.section	.rodata,"a",@progbits
	.p2align	6, 0x0
	.amdhsa_kernel _ZN12_GLOBAL__N_127rocblas_gemm_batched_kernelIdLi16ELi16ELi32ELi32ELi8ELi32ELi8ELi8ELi32ELc78ELc78EKPKdS3_KPdEEvlllT_PT11_llS8_llS6_PT12_llPT13_lli
		.amdhsa_group_segment_fixed_size 4096
		.amdhsa_private_segment_fixed_size 0
		.amdhsa_kernarg_size 140
		.amdhsa_user_sgpr_count 6
		.amdhsa_user_sgpr_private_segment_buffer 1
		.amdhsa_user_sgpr_dispatch_ptr 0
		.amdhsa_user_sgpr_queue_ptr 0
		.amdhsa_user_sgpr_kernarg_segment_ptr 1
		.amdhsa_user_sgpr_dispatch_id 0
		.amdhsa_user_sgpr_flat_scratch_init 0
		.amdhsa_user_sgpr_kernarg_preload_length 0
		.amdhsa_user_sgpr_kernarg_preload_offset 0
		.amdhsa_user_sgpr_private_segment_size 0
		.amdhsa_uses_dynamic_stack 0
		.amdhsa_system_sgpr_private_segment_wavefront_offset 0
		.amdhsa_system_sgpr_workgroup_id_x 1
		.amdhsa_system_sgpr_workgroup_id_y 1
		.amdhsa_system_sgpr_workgroup_id_z 1
		.amdhsa_system_sgpr_workgroup_info 0
		.amdhsa_system_vgpr_workitem_id 1
		.amdhsa_next_free_vgpr 62
		.amdhsa_next_free_sgpr 52
		.amdhsa_accum_offset 64
		.amdhsa_reserve_vcc 1
		.amdhsa_reserve_flat_scratch 0
		.amdhsa_float_round_mode_32 0
		.amdhsa_float_round_mode_16_64 0
		.amdhsa_float_denorm_mode_32 3
		.amdhsa_float_denorm_mode_16_64 3
		.amdhsa_dx10_clamp 1
		.amdhsa_ieee_mode 1
		.amdhsa_fp16_overflow 0
		.amdhsa_tg_split 0
		.amdhsa_exception_fp_ieee_invalid_op 0
		.amdhsa_exception_fp_denorm_src 0
		.amdhsa_exception_fp_ieee_div_zero 0
		.amdhsa_exception_fp_ieee_overflow 0
		.amdhsa_exception_fp_ieee_underflow 0
		.amdhsa_exception_fp_ieee_inexact 0
		.amdhsa_exception_int_div_zero 0
	.end_amdhsa_kernel
	.section	.text._ZN12_GLOBAL__N_127rocblas_gemm_batched_kernelIdLi16ELi16ELi32ELi32ELi8ELi32ELi8ELi8ELi32ELc78ELc78EKPKdS3_KPdEEvlllT_PT11_llS8_llS6_PT12_llPT13_lli,"axG",@progbits,_ZN12_GLOBAL__N_127rocblas_gemm_batched_kernelIdLi16ELi16ELi32ELi32ELi8ELi32ELi8ELi8ELi32ELc78ELc78EKPKdS3_KPdEEvlllT_PT11_llS8_llS6_PT12_llPT13_lli,comdat
.Lfunc_end214:
	.size	_ZN12_GLOBAL__N_127rocblas_gemm_batched_kernelIdLi16ELi16ELi32ELi32ELi8ELi32ELi8ELi8ELi32ELc78ELc78EKPKdS3_KPdEEvlllT_PT11_llS8_llS6_PT12_llPT13_lli, .Lfunc_end214-_ZN12_GLOBAL__N_127rocblas_gemm_batched_kernelIdLi16ELi16ELi32ELi32ELi8ELi32ELi8ELi8ELi32ELc78ELc78EKPKdS3_KPdEEvlllT_PT11_llS8_llS6_PT12_llPT13_lli
                                        ; -- End function
	.section	.AMDGPU.csdata,"",@progbits
; Kernel info:
; codeLenInByte = 1360
; NumSgprs: 56
; NumVgprs: 62
; NumAgprs: 0
; TotalNumVgprs: 62
; ScratchSize: 0
; MemoryBound: 0
; FloatMode: 240
; IeeeMode: 1
; LDSByteSize: 4096 bytes/workgroup (compile time only)
; SGPRBlocks: 6
; VGPRBlocks: 7
; NumSGPRsForWavesPerEU: 56
; NumVGPRsForWavesPerEU: 62
; AccumOffset: 64
; Occupancy: 8
; WaveLimiterHint : 1
; COMPUTE_PGM_RSRC2:SCRATCH_EN: 0
; COMPUTE_PGM_RSRC2:USER_SGPR: 6
; COMPUTE_PGM_RSRC2:TRAP_HANDLER: 0
; COMPUTE_PGM_RSRC2:TGID_X_EN: 1
; COMPUTE_PGM_RSRC2:TGID_Y_EN: 1
; COMPUTE_PGM_RSRC2:TGID_Z_EN: 1
; COMPUTE_PGM_RSRC2:TIDIG_COMP_CNT: 1
; COMPUTE_PGM_RSRC3_GFX90A:ACCUM_OFFSET: 15
; COMPUTE_PGM_RSRC3_GFX90A:TG_SPLIT: 0
	.section	.text._ZN12_GLOBAL__N_127rocblas_gemm_batched_kernelIdLi16ELi16ELi32ELi32ELi8ELi32ELi8ELi8ELi32ELc84ELc78EKPKdS3_KPdEEvlllT_PT11_llS8_llS6_PT12_llPT13_lli,"axG",@progbits,_ZN12_GLOBAL__N_127rocblas_gemm_batched_kernelIdLi16ELi16ELi32ELi32ELi8ELi32ELi8ELi8ELi32ELc84ELc78EKPKdS3_KPdEEvlllT_PT11_llS8_llS6_PT12_llPT13_lli,comdat
	.globl	_ZN12_GLOBAL__N_127rocblas_gemm_batched_kernelIdLi16ELi16ELi32ELi32ELi8ELi32ELi8ELi8ELi32ELc84ELc78EKPKdS3_KPdEEvlllT_PT11_llS8_llS6_PT12_llPT13_lli ; -- Begin function _ZN12_GLOBAL__N_127rocblas_gemm_batched_kernelIdLi16ELi16ELi32ELi32ELi8ELi32ELi8ELi8ELi32ELc84ELc78EKPKdS3_KPdEEvlllT_PT11_llS8_llS6_PT12_llPT13_lli
	.p2align	8
	.type	_ZN12_GLOBAL__N_127rocblas_gemm_batched_kernelIdLi16ELi16ELi32ELi32ELi8ELi32ELi8ELi8ELi32ELc84ELc78EKPKdS3_KPdEEvlllT_PT11_llS8_llS6_PT12_llPT13_lli,@function
_ZN12_GLOBAL__N_127rocblas_gemm_batched_kernelIdLi16ELi16ELi32ELi32ELi8ELi32ELi8ELi8ELi32ELc84ELc78EKPKdS3_KPdEEvlllT_PT11_llS8_llS6_PT12_llPT13_lli: ; @_ZN12_GLOBAL__N_127rocblas_gemm_batched_kernelIdLi16ELi16ELi32ELi32ELi8ELi32ELi8ELi8ELi32ELc84ELc78EKPKdS3_KPdEEvlllT_PT11_llS8_llS6_PT12_llPT13_lli
; %bb.0:
	s_load_dwordx16 s[12:27], s[4:5], 0x10
	s_load_dwordx8 s[44:51], s[4:5], 0x70
	s_load_dwordx8 s[36:43], s[4:5], 0x50
	s_mov_b32 s9, 0
	s_lshl_b64 s[10:11], s[8:9], 3
	s_mov_b32 s28, s7
	v_bfe_u32 v15, v0, 10, 10
	s_waitcnt lgkmcnt(0)
	s_add_u32 s0, s38, s10
	s_addc_u32 s1, s39, s11
	s_add_u32 s2, s44, s10
	s_addc_u32 s3, s45, s11
	s_load_dwordx2 s[0:1], s[0:1], 0x0
	s_ashr_i32 s7, s6, 31
	s_load_dwordx2 s[4:5], s[2:3], 0x0
	s_ashr_i32 s29, s28, 31
	s_lshl_b64 s[2:3], s[6:7], 5
	s_lshl_b64 s[6:7], s[28:29], 5
	v_cmp_lt_i64_e64 s[28:29], s[12:13], 1
	v_and_b32_e32 v14, 0x3ff, v0
	s_mov_b64 s[8:9], 0
	s_and_b64 vcc, exec, s[28:29]
	s_cbranch_vccnz .LBB215_3
; %bb.1:
	v_lshl_add_u32 v0, v15, 4, v14
	v_and_b32_e32 v4, 7, v14
	v_and_b32_e32 v5, 31, v0
	s_add_u32 s16, s16, s10
	v_lshrrev_b32_e32 v1, 3, v0
	v_lshrrev_b32_e32 v6, 5, v0
	v_lshlrev_b32_e32 v0, 3, v5
	v_lshlrev_b32_e32 v4, 3, v4
	s_addc_u32 s17, s17, s11
	v_mov_b32_e32 v2, s7
	v_add_co_u32_e32 v3, vcc, s6, v1
	v_lshl_or_b32 v16, v6, 8, v0
	v_lshl_or_b32 v0, v1, 6, v4
	s_add_u32 s10, s22, s10
	v_addc_co_u32_e32 v2, vcc, 0, v2, vcc
	v_add_u32_e32 v17, 0x800, v0
	v_mov_b32_e32 v0, 0x800
	s_addc_u32 s11, s23, s11
	v_lshl_add_u32 v19, v15, 6, v0
	v_mul_lo_u32 v7, s25, v3
	v_mul_lo_u32 v2, s24, v2
	v_mad_u64_u32 v[0:1], s[22:23], s24, v3, 0
	v_add3_u32 v1, v1, v2, v7
	s_load_dwordx2 s[10:11], s[10:11], 0x0
	v_lshlrev_b64 v[0:1], 3, v[0:1]
	s_lshl_b64 s[22:23], s[26:27], 3
	v_mov_b32_e32 v2, s23
	v_add_co_u32_e32 v0, vcc, s22, v0
	v_addc_co_u32_e32 v1, vcc, v1, v2, vcc
	v_add_co_u32_e32 v0, vcc, v0, v4
	v_addc_co_u32_e32 v1, vcc, 0, v1, vcc
	s_waitcnt lgkmcnt(0)
	v_mov_b32_e32 v2, s11
	v_add_co_u32_e32 v8, vcc, s10, v0
	v_addc_co_u32_e32 v9, vcc, v2, v1, vcc
	v_mov_b32_e32 v0, s3
	v_add_co_u32_e32 v1, vcc, s2, v5
	v_addc_co_u32_e32 v0, vcc, 0, v0, vcc
	v_mul_lo_u32 v2, s19, v1
	v_mul_lo_u32 v3, s18, v0
	v_mad_u64_u32 v[0:1], s[10:11], s18, v1, 0
	v_add3_u32 v1, v1, v3, v2
	s_load_dwordx2 s[16:17], s[16:17], 0x0
	v_lshlrev_b64 v[0:1], 3, v[0:1]
	s_lshl_b64 s[10:11], s[20:21], 3
	v_mov_b32_e32 v2, s11
	v_add_co_u32_e32 v0, vcc, s10, v0
	v_addc_co_u32_e32 v1, vcc, v1, v2, vcc
	v_lshlrev_b32_e32 v2, 3, v6
	v_add_co_u32_e32 v0, vcc, v0, v2
	v_addc_co_u32_e32 v1, vcc, 0, v1, vcc
	s_waitcnt lgkmcnt(0)
	v_mov_b32_e32 v2, s17
	v_add_co_u32_e32 v10, vcc, s16, v0
	v_lshlrev_b32_e32 v18, 3, v14
	v_addc_co_u32_e32 v11, vcc, v2, v1, vcc
	v_pk_mov_b32 v[0:1], 0, 0
	v_pk_mov_b32 v[12:13], s[12:13], s[12:13] op_sel:[0,1]
	v_pk_mov_b32 v[2:3], 0, 0
	v_pk_mov_b32 v[4:5], 0, 0
	;; [unrolled: 1-line block ×3, first 2 shown]
.LBB215_2:                              ; =>This Inner Loop Header: Depth=1
	global_load_dwordx2 v[20:21], v[10:11], off
	global_load_dwordx2 v[22:23], v[8:9], off
	v_add_co_u32_e32 v8, vcc, 64, v8
	v_addc_co_u32_e32 v9, vcc, 0, v9, vcc
	s_add_u32 s8, s8, 8
	v_add_co_u32_e32 v10, vcc, 64, v10
	v_addc_co_u32_e32 v11, vcc, 0, v11, vcc
	s_addc_u32 s9, s9, 0
	v_cmp_lt_i64_e32 vcc, s[8:9], v[12:13]
	s_and_b64 vcc, exec, vcc
	s_waitcnt vmcnt(1)
	ds_write_b64 v16, v[20:21]
	s_waitcnt vmcnt(0)
	ds_write_b64 v17, v[22:23]
	s_waitcnt lgkmcnt(0)
	s_barrier
	ds_read_b128 v[20:23], v19
	ds_read_b128 v[24:27], v19 offset:16
	ds_read_b128 v[28:31], v19 offset:32
	;; [unrolled: 1-line block ×3, first 2 shown]
	ds_read2_b64 v[36:39], v18 offset1:16
	ds_read2_b64 v[40:43], v18 offset0:32 offset1:48
	ds_read2_b64 v[44:47], v18 offset0:64 offset1:80
	ds_read_b128 v[48:51], v19 offset:1024
	ds_read_b128 v[52:55], v19 offset:1040
	ds_read2_b64 v[56:59], v18 offset0:96 offset1:112
	s_waitcnt lgkmcnt(5)
	v_fmac_f64_e32 v[6:7], v[36:37], v[20:21]
	v_fmac_f64_e32 v[4:5], v[38:39], v[20:21]
	s_waitcnt lgkmcnt(2)
	v_fmac_f64_e32 v[2:3], v[36:37], v[48:49]
	v_fmac_f64_e32 v[0:1], v[38:39], v[48:49]
	ds_read2_b64 v[36:39], v18 offset0:128 offset1:144
	v_fmac_f64_e32 v[6:7], v[40:41], v[22:23]
	v_fmac_f64_e32 v[4:5], v[42:43], v[22:23]
	ds_read2_b64 v[20:23], v18 offset0:160 offset1:176
	;; [unrolled: 3-line block ×3, first 2 shown]
	ds_read_b128 v[48:51], v19 offset:1056
	v_fmac_f64_e32 v[6:7], v[44:45], v[24:25]
	v_fmac_f64_e32 v[4:5], v[46:47], v[24:25]
	s_waitcnt lgkmcnt(5)
	v_fmac_f64_e32 v[2:3], v[44:45], v[52:53]
	v_fmac_f64_e32 v[0:1], v[46:47], v[52:53]
	ds_read_b128 v[44:47], v19 offset:1072
	s_waitcnt lgkmcnt(5)
	v_fmac_f64_e32 v[6:7], v[56:57], v[26:27]
	v_fmac_f64_e32 v[4:5], v[58:59], v[26:27]
	ds_read2_b64 v[24:27], v18 offset0:224 offset1:240
	v_fmac_f64_e32 v[2:3], v[56:57], v[54:55]
	v_fmac_f64_e32 v[0:1], v[58:59], v[54:55]
	s_waitcnt lgkmcnt(5)
	v_fmac_f64_e32 v[6:7], v[36:37], v[28:29]
	v_fmac_f64_e32 v[4:5], v[38:39], v[28:29]
	s_waitcnt lgkmcnt(2)
	v_fmac_f64_e32 v[2:3], v[36:37], v[48:49]
	v_fmac_f64_e32 v[0:1], v[38:39], v[48:49]
	v_fmac_f64_e32 v[6:7], v[20:21], v[30:31]
	v_fmac_f64_e32 v[4:5], v[22:23], v[30:31]
	v_fmac_f64_e32 v[2:3], v[20:21], v[50:51]
	v_fmac_f64_e32 v[0:1], v[22:23], v[50:51]
	v_fmac_f64_e32 v[6:7], v[40:41], v[32:33]
	v_fmac_f64_e32 v[4:5], v[42:43], v[32:33]
	s_waitcnt lgkmcnt(1)
	v_fmac_f64_e32 v[2:3], v[40:41], v[44:45]
	v_fmac_f64_e32 v[0:1], v[42:43], v[44:45]
	s_waitcnt lgkmcnt(0)
	v_fmac_f64_e32 v[6:7], v[24:25], v[34:35]
	v_fmac_f64_e32 v[4:5], v[26:27], v[34:35]
	;; [unrolled: 1-line block ×4, first 2 shown]
	s_barrier
	s_cbranch_vccnz .LBB215_2
	s_branch .LBB215_4
.LBB215_3:
	v_pk_mov_b32 v[6:7], 0, 0
	v_pk_mov_b32 v[4:5], 0, 0
	;; [unrolled: 1-line block ×4, first 2 shown]
.LBB215_4:
	v_mov_b32_e32 v8, s7
	v_add_co_u32_e32 v10, vcc, s6, v15
	v_addc_co_u32_e32 v13, vcc, 0, v8, vcc
	s_lshl_b64 s[8:9], s[48:49], 3
	v_mov_b32_e32 v9, s3
	v_add_co_u32_e32 v8, vcc, s2, v14
	s_waitcnt lgkmcnt(0)
	s_add_u32 s8, s4, s8
	v_cmp_neq_f64_e64 s[6:7], s[36:37], 0
	v_addc_co_u32_e32 v9, vcc, 0, v9, vcc
	s_addc_u32 s9, s5, s9
	s_mov_b64 s[4:5], 0
	s_and_b64 vcc, exec, s[6:7]
	v_mul_lo_u32 v11, v13, s46
	v_mul_lo_u32 v12, v10, s47
	v_lshlrev_b64 v[8:9], 3, v[8:9]
	s_cbranch_vccnz .LBB215_8
; %bb.5:
	v_mad_u64_u32 v[14:15], s[2:3], v10, s46, 0
	v_add3_u32 v15, v15, v12, v11
	v_lshlrev_b64 v[14:15], 3, v[14:15]
	v_mov_b32_e32 v16, s9
	v_add_co_u32_e32 v17, vcc, s8, v14
	v_addc_co_u32_e32 v18, vcc, v16, v15, vcc
	v_add_co_u32_e32 v16, vcc, v17, v8
	v_mul_f64 v[14:15], v[6:7], s[14:15]
	v_addc_co_u32_e32 v17, vcc, v18, v9, vcc
	global_store_dwordx2 v[16:17], v[14:15], off
	v_mul_f64 v[14:15], v[4:5], s[14:15]
	s_lshl_b64 s[2:3], s[46:47], 7
	global_store_dwordx2 v[16:17], v[14:15], off offset:128
	v_mov_b32_e32 v18, s3
	v_add_co_u32_e32 v16, vcc, s2, v16
	v_mul_f64 v[14:15], v[2:3], s[14:15]
	v_addc_co_u32_e32 v17, vcc, v17, v18, vcc
	global_store_dwordx2 v[16:17], v[14:15], off
	v_mul_f64 v[14:15], v[0:1], s[14:15]
	global_store_dwordx2 v[16:17], v[14:15], off offset:128
	s_andn2_b64 vcc, exec, s[4:5]
	s_cbranch_vccnz .LBB215_7
.LBB215_6:
	s_lshl_b64 s[2:3], s[42:43], 3
	s_add_u32 s2, s0, s2
	s_addc_u32 s3, s1, s3
	v_mul_lo_u32 v13, v13, s40
	v_mul_lo_u32 v16, v10, s41
	v_mad_u64_u32 v[14:15], s[0:1], v10, s40, 0
	v_add3_u32 v15, v15, v16, v13
	v_lshlrev_b64 v[14:15], 3, v[14:15]
	v_mov_b32_e32 v13, s3
	v_add_co_u32_e32 v14, vcc, s2, v14
	v_addc_co_u32_e32 v13, vcc, v13, v15, vcc
	v_add_co_u32_e32 v14, vcc, v14, v8
	v_addc_co_u32_e32 v15, vcc, v13, v9, vcc
	global_load_dwordx2 v[16:17], v[14:15], off
	v_mad_u64_u32 v[18:19], s[0:1], v10, s46, 0
	v_add3_u32 v19, v19, v12, v11
	v_lshlrev_b64 v[10:11], 3, v[18:19]
	v_mov_b32_e32 v13, s9
	v_add_co_u32_e32 v10, vcc, s8, v10
	v_addc_co_u32_e32 v11, vcc, v13, v11, vcc
	v_add_co_u32_e32 v8, vcc, v10, v8
	v_addc_co_u32_e32 v9, vcc, v11, v9, vcc
	s_lshl_b64 s[0:1], s[40:41], 7
	s_waitcnt vmcnt(0)
	v_mul_f64 v[10:11], v[16:17], s[36:37]
	v_fmac_f64_e32 v[10:11], s[14:15], v[6:7]
	global_store_dwordx2 v[8:9], v[10:11], off
	global_load_dwordx2 v[6:7], v[14:15], off offset:128
	v_mov_b32_e32 v11, s1
	v_add_co_u32_e32 v10, vcc, s0, v14
	v_addc_co_u32_e32 v11, vcc, v15, v11, vcc
	s_lshl_b64 s[0:1], s[46:47], 7
	s_waitcnt vmcnt(0)
	v_mul_f64 v[6:7], v[6:7], s[36:37]
	v_fmac_f64_e32 v[6:7], s[14:15], v[4:5]
	global_store_dwordx2 v[8:9], v[6:7], off offset:128
	global_load_dwordx2 v[4:5], v[10:11], off
	v_mov_b32_e32 v6, s1
	s_waitcnt vmcnt(0)
	v_mul_f64 v[4:5], v[4:5], s[36:37]
	v_fmac_f64_e32 v[4:5], s[14:15], v[2:3]
	v_add_co_u32_e32 v2, vcc, s0, v8
	v_addc_co_u32_e32 v3, vcc, v9, v6, vcc
	global_store_dwordx2 v[2:3], v[4:5], off
	global_load_dwordx2 v[4:5], v[10:11], off offset:128
	s_waitcnt vmcnt(0)
	v_mul_f64 v[4:5], v[4:5], s[36:37]
	v_fmac_f64_e32 v[4:5], s[14:15], v[0:1]
	global_store_dwordx2 v[2:3], v[4:5], off offset:128
.LBB215_7:
	s_endpgm
.LBB215_8:
	s_branch .LBB215_6
	.section	.rodata,"a",@progbits
	.p2align	6, 0x0
	.amdhsa_kernel _ZN12_GLOBAL__N_127rocblas_gemm_batched_kernelIdLi16ELi16ELi32ELi32ELi8ELi32ELi8ELi8ELi32ELc84ELc78EKPKdS3_KPdEEvlllT_PT11_llS8_llS6_PT12_llPT13_lli
		.amdhsa_group_segment_fixed_size 4096
		.amdhsa_private_segment_fixed_size 0
		.amdhsa_kernarg_size 140
		.amdhsa_user_sgpr_count 6
		.amdhsa_user_sgpr_private_segment_buffer 1
		.amdhsa_user_sgpr_dispatch_ptr 0
		.amdhsa_user_sgpr_queue_ptr 0
		.amdhsa_user_sgpr_kernarg_segment_ptr 1
		.amdhsa_user_sgpr_dispatch_id 0
		.amdhsa_user_sgpr_flat_scratch_init 0
		.amdhsa_user_sgpr_kernarg_preload_length 0
		.amdhsa_user_sgpr_kernarg_preload_offset 0
		.amdhsa_user_sgpr_private_segment_size 0
		.amdhsa_uses_dynamic_stack 0
		.amdhsa_system_sgpr_private_segment_wavefront_offset 0
		.amdhsa_system_sgpr_workgroup_id_x 1
		.amdhsa_system_sgpr_workgroup_id_y 1
		.amdhsa_system_sgpr_workgroup_id_z 1
		.amdhsa_system_sgpr_workgroup_info 0
		.amdhsa_system_vgpr_workitem_id 1
		.amdhsa_next_free_vgpr 60
		.amdhsa_next_free_sgpr 52
		.amdhsa_accum_offset 60
		.amdhsa_reserve_vcc 1
		.amdhsa_reserve_flat_scratch 0
		.amdhsa_float_round_mode_32 0
		.amdhsa_float_round_mode_16_64 0
		.amdhsa_float_denorm_mode_32 3
		.amdhsa_float_denorm_mode_16_64 3
		.amdhsa_dx10_clamp 1
		.amdhsa_ieee_mode 1
		.amdhsa_fp16_overflow 0
		.amdhsa_tg_split 0
		.amdhsa_exception_fp_ieee_invalid_op 0
		.amdhsa_exception_fp_denorm_src 0
		.amdhsa_exception_fp_ieee_div_zero 0
		.amdhsa_exception_fp_ieee_overflow 0
		.amdhsa_exception_fp_ieee_underflow 0
		.amdhsa_exception_fp_ieee_inexact 0
		.amdhsa_exception_int_div_zero 0
	.end_amdhsa_kernel
	.section	.text._ZN12_GLOBAL__N_127rocblas_gemm_batched_kernelIdLi16ELi16ELi32ELi32ELi8ELi32ELi8ELi8ELi32ELc84ELc78EKPKdS3_KPdEEvlllT_PT11_llS8_llS6_PT12_llPT13_lli,"axG",@progbits,_ZN12_GLOBAL__N_127rocblas_gemm_batched_kernelIdLi16ELi16ELi32ELi32ELi8ELi32ELi8ELi8ELi32ELc84ELc78EKPKdS3_KPdEEvlllT_PT11_llS8_llS6_PT12_llPT13_lli,comdat
.Lfunc_end215:
	.size	_ZN12_GLOBAL__N_127rocblas_gemm_batched_kernelIdLi16ELi16ELi32ELi32ELi8ELi32ELi8ELi8ELi32ELc84ELc78EKPKdS3_KPdEEvlllT_PT11_llS8_llS6_PT12_llPT13_lli, .Lfunc_end215-_ZN12_GLOBAL__N_127rocblas_gemm_batched_kernelIdLi16ELi16ELi32ELi32ELi8ELi32ELi8ELi8ELi32ELc84ELc78EKPKdS3_KPdEEvlllT_PT11_llS8_llS6_PT12_llPT13_lli
                                        ; -- End function
	.section	.AMDGPU.csdata,"",@progbits
; Kernel info:
; codeLenInByte = 1372
; NumSgprs: 56
; NumVgprs: 60
; NumAgprs: 0
; TotalNumVgprs: 60
; ScratchSize: 0
; MemoryBound: 0
; FloatMode: 240
; IeeeMode: 1
; LDSByteSize: 4096 bytes/workgroup (compile time only)
; SGPRBlocks: 6
; VGPRBlocks: 7
; NumSGPRsForWavesPerEU: 56
; NumVGPRsForWavesPerEU: 60
; AccumOffset: 60
; Occupancy: 8
; WaveLimiterHint : 1
; COMPUTE_PGM_RSRC2:SCRATCH_EN: 0
; COMPUTE_PGM_RSRC2:USER_SGPR: 6
; COMPUTE_PGM_RSRC2:TRAP_HANDLER: 0
; COMPUTE_PGM_RSRC2:TGID_X_EN: 1
; COMPUTE_PGM_RSRC2:TGID_Y_EN: 1
; COMPUTE_PGM_RSRC2:TGID_Z_EN: 1
; COMPUTE_PGM_RSRC2:TIDIG_COMP_CNT: 1
; COMPUTE_PGM_RSRC3_GFX90A:ACCUM_OFFSET: 14
; COMPUTE_PGM_RSRC3_GFX90A:TG_SPLIT: 0
	.section	.text._ZN12_GLOBAL__N_127rocblas_gemm_batched_kernelIdLi16ELi16ELi32ELi32ELi8ELi32ELi8ELi8ELi32ELc78ELc84EKPKdS3_KPdEEvlllT_PT11_llS8_llS6_PT12_llPT13_lli,"axG",@progbits,_ZN12_GLOBAL__N_127rocblas_gemm_batched_kernelIdLi16ELi16ELi32ELi32ELi8ELi32ELi8ELi8ELi32ELc78ELc84EKPKdS3_KPdEEvlllT_PT11_llS8_llS6_PT12_llPT13_lli,comdat
	.globl	_ZN12_GLOBAL__N_127rocblas_gemm_batched_kernelIdLi16ELi16ELi32ELi32ELi8ELi32ELi8ELi8ELi32ELc78ELc84EKPKdS3_KPdEEvlllT_PT11_llS8_llS6_PT12_llPT13_lli ; -- Begin function _ZN12_GLOBAL__N_127rocblas_gemm_batched_kernelIdLi16ELi16ELi32ELi32ELi8ELi32ELi8ELi8ELi32ELc78ELc84EKPKdS3_KPdEEvlllT_PT11_llS8_llS6_PT12_llPT13_lli
	.p2align	8
	.type	_ZN12_GLOBAL__N_127rocblas_gemm_batched_kernelIdLi16ELi16ELi32ELi32ELi8ELi32ELi8ELi8ELi32ELc78ELc84EKPKdS3_KPdEEvlllT_PT11_llS8_llS6_PT12_llPT13_lli,@function
_ZN12_GLOBAL__N_127rocblas_gemm_batched_kernelIdLi16ELi16ELi32ELi32ELi8ELi32ELi8ELi8ELi32ELc78ELc84EKPKdS3_KPdEEvlllT_PT11_llS8_llS6_PT12_llPT13_lli: ; @_ZN12_GLOBAL__N_127rocblas_gemm_batched_kernelIdLi16ELi16ELi32ELi32ELi8ELi32ELi8ELi8ELi32ELc78ELc84EKPKdS3_KPdEEvlllT_PT11_llS8_llS6_PT12_llPT13_lli
; %bb.0:
	s_load_dwordx16 s[12:27], s[4:5], 0x10
	s_load_dwordx8 s[44:51], s[4:5], 0x70
	s_load_dwordx8 s[36:43], s[4:5], 0x50
	s_mov_b32 s9, 0
	s_lshl_b64 s[10:11], s[8:9], 3
	s_mov_b32 s28, s7
	v_bfe_u32 v15, v0, 10, 10
	s_waitcnt lgkmcnt(0)
	s_add_u32 s0, s38, s10
	s_addc_u32 s1, s39, s11
	s_add_u32 s2, s44, s10
	s_addc_u32 s3, s45, s11
	s_load_dwordx2 s[0:1], s[0:1], 0x0
	s_ashr_i32 s7, s6, 31
	s_load_dwordx2 s[4:5], s[2:3], 0x0
	s_ashr_i32 s29, s28, 31
	s_lshl_b64 s[2:3], s[6:7], 5
	s_lshl_b64 s[6:7], s[28:29], 5
	v_cmp_lt_i64_e64 s[28:29], s[12:13], 1
	v_and_b32_e32 v14, 0x3ff, v0
	s_mov_b64 s[8:9], 0
	s_and_b64 vcc, exec, s[28:29]
	s_cbranch_vccnz .LBB216_3
; %bb.1:
	s_add_u32 s16, s16, s10
	v_lshl_add_u32 v2, v15, 4, v14
	s_addc_u32 s17, s17, s11
	v_and_b32_e32 v4, 31, v2
	s_add_u32 s10, s22, s10
	v_lshrrev_b32_e32 v0, 3, v2
	v_and_b32_e32 v3, 7, v14
	v_lshrrev_b32_e32 v5, 5, v2
	v_lshlrev_b32_e32 v2, 3, v4
	s_addc_u32 s11, s23, s11
	v_lshl_or_b32 v16, v5, 8, v2
	v_lshlrev_b32_e32 v2, 3, v3
	s_load_dwordx2 s[10:11], s[10:11], 0x0
	v_mov_b32_e32 v1, 0
	v_lshl_or_b32 v2, v0, 6, v2
	v_add_u32_e32 v17, 0x800, v2
	v_mov_b32_e32 v2, 0x800
	s_lshl_b64 s[22:23], s[26:27], 3
	v_mad_u64_u32 v[0:1], s[26:27], v3, s24, v[0:1]
	v_lshl_add_u32 v19, v15, 6, v2
	v_mov_b32_e32 v2, v1
	v_mad_u64_u32 v[2:3], s[26:27], v3, s25, v[2:3]
	v_mov_b32_e32 v1, v2
	v_mov_b32_e32 v2, s7
	v_add_co_u32_e32 v0, vcc, s6, v0
	v_addc_co_u32_e32 v1, vcc, v1, v2, vcc
	s_waitcnt lgkmcnt(0)
	s_add_u32 s10, s10, s22
	v_lshlrev_b64 v[0:1], 3, v[0:1]
	s_addc_u32 s11, s11, s23
	v_mov_b32_e32 v2, s11
	v_add_co_u32_e32 v8, vcc, s10, v0
	s_load_dwordx2 s[16:17], s[16:17], 0x0
	v_addc_co_u32_e32 v9, vcc, v2, v1, vcc
	v_pk_mov_b32 v[0:1], s[2:3], s[2:3] op_sel:[0,1]
	v_mad_u64_u32 v[0:1], s[22:23], v5, s18, v[0:1]
	v_mov_b32_e32 v2, v1
	v_mad_u64_u32 v[2:3], s[22:23], v5, s19, v[2:3]
	s_lshl_b64 s[10:11], s[24:25], 6
	s_lshl_b64 s[20:21], s[20:21], 3
	v_mov_b32_e32 v1, v2
	v_add_co_u32_e32 v0, vcc, v0, v4
	v_addc_co_u32_e32 v1, vcc, 0, v1, vcc
	s_waitcnt lgkmcnt(0)
	s_add_u32 s16, s16, s20
	v_lshlrev_b64 v[0:1], 3, v[0:1]
	s_addc_u32 s17, s17, s21
	v_mov_b32_e32 v2, s17
	v_add_co_u32_e32 v10, vcc, s16, v0
	s_lshl_b64 s[16:17], s[18:19], 6
	v_lshlrev_b32_e32 v18, 3, v14
	v_addc_co_u32_e32 v11, vcc, v2, v1, vcc
	v_pk_mov_b32 v[0:1], 0, 0
	v_mov_b32_e32 v20, s11
	v_mov_b32_e32 v21, s17
	v_pk_mov_b32 v[12:13], s[12:13], s[12:13] op_sel:[0,1]
	v_pk_mov_b32 v[2:3], 0, 0
	v_pk_mov_b32 v[4:5], 0, 0
	;; [unrolled: 1-line block ×3, first 2 shown]
.LBB216_2:                              ; =>This Inner Loop Header: Depth=1
	global_load_dwordx2 v[22:23], v[10:11], off
	global_load_dwordx2 v[24:25], v[8:9], off
	v_add_co_u32_e32 v8, vcc, s10, v8
	v_addc_co_u32_e32 v9, vcc, v9, v20, vcc
	s_add_u32 s8, s8, 8
	v_add_co_u32_e32 v10, vcc, s16, v10
	v_addc_co_u32_e32 v11, vcc, v11, v21, vcc
	s_addc_u32 s9, s9, 0
	v_cmp_lt_i64_e32 vcc, s[8:9], v[12:13]
	s_and_b64 vcc, exec, vcc
	s_waitcnt vmcnt(1)
	ds_write_b64 v16, v[22:23]
	s_waitcnt vmcnt(0)
	ds_write_b64 v17, v[24:25]
	s_waitcnt lgkmcnt(0)
	s_barrier
	ds_read_b128 v[22:25], v19
	ds_read_b128 v[26:29], v19 offset:16
	ds_read_b128 v[30:33], v19 offset:32
	;; [unrolled: 1-line block ×3, first 2 shown]
	ds_read2_b64 v[38:41], v18 offset1:16
	ds_read2_b64 v[42:45], v18 offset0:32 offset1:48
	ds_read2_b64 v[46:49], v18 offset0:64 offset1:80
	ds_read_b128 v[50:53], v19 offset:1024
	ds_read_b128 v[54:57], v19 offset:1040
	ds_read2_b64 v[58:61], v18 offset0:96 offset1:112
	s_waitcnt lgkmcnt(5)
	v_fmac_f64_e32 v[6:7], v[38:39], v[22:23]
	v_fmac_f64_e32 v[4:5], v[40:41], v[22:23]
	s_waitcnt lgkmcnt(2)
	v_fmac_f64_e32 v[2:3], v[38:39], v[50:51]
	v_fmac_f64_e32 v[0:1], v[40:41], v[50:51]
	ds_read2_b64 v[38:41], v18 offset0:128 offset1:144
	v_fmac_f64_e32 v[6:7], v[42:43], v[24:25]
	v_fmac_f64_e32 v[4:5], v[44:45], v[24:25]
	ds_read2_b64 v[22:25], v18 offset0:160 offset1:176
	;; [unrolled: 3-line block ×3, first 2 shown]
	ds_read_b128 v[50:53], v19 offset:1056
	v_fmac_f64_e32 v[6:7], v[46:47], v[26:27]
	v_fmac_f64_e32 v[4:5], v[48:49], v[26:27]
	s_waitcnt lgkmcnt(5)
	v_fmac_f64_e32 v[2:3], v[46:47], v[54:55]
	v_fmac_f64_e32 v[0:1], v[48:49], v[54:55]
	ds_read_b128 v[46:49], v19 offset:1072
	s_waitcnt lgkmcnt(5)
	v_fmac_f64_e32 v[6:7], v[58:59], v[28:29]
	v_fmac_f64_e32 v[4:5], v[60:61], v[28:29]
	ds_read2_b64 v[26:29], v18 offset0:224 offset1:240
	v_fmac_f64_e32 v[2:3], v[58:59], v[56:57]
	v_fmac_f64_e32 v[0:1], v[60:61], v[56:57]
	s_waitcnt lgkmcnt(5)
	v_fmac_f64_e32 v[6:7], v[38:39], v[30:31]
	v_fmac_f64_e32 v[4:5], v[40:41], v[30:31]
	s_waitcnt lgkmcnt(2)
	v_fmac_f64_e32 v[2:3], v[38:39], v[50:51]
	v_fmac_f64_e32 v[0:1], v[40:41], v[50:51]
	;; [unrolled: 1-line block ×8, first 2 shown]
	s_waitcnt lgkmcnt(1)
	v_fmac_f64_e32 v[2:3], v[42:43], v[46:47]
	v_fmac_f64_e32 v[0:1], v[44:45], v[46:47]
	s_waitcnt lgkmcnt(0)
	v_fmac_f64_e32 v[6:7], v[26:27], v[36:37]
	v_fmac_f64_e32 v[4:5], v[28:29], v[36:37]
	v_fmac_f64_e32 v[2:3], v[26:27], v[48:49]
	v_fmac_f64_e32 v[0:1], v[28:29], v[48:49]
	s_barrier
	s_cbranch_vccnz .LBB216_2
	s_branch .LBB216_4
.LBB216_3:
	v_pk_mov_b32 v[6:7], 0, 0
	v_pk_mov_b32 v[4:5], 0, 0
	;; [unrolled: 1-line block ×4, first 2 shown]
.LBB216_4:
	v_mov_b32_e32 v8, s7
	v_add_co_u32_e32 v10, vcc, s6, v15
	v_addc_co_u32_e32 v13, vcc, 0, v8, vcc
	s_lshl_b64 s[8:9], s[48:49], 3
	v_mov_b32_e32 v9, s3
	v_add_co_u32_e32 v8, vcc, s2, v14
	s_waitcnt lgkmcnt(0)
	s_add_u32 s8, s4, s8
	v_cmp_neq_f64_e64 s[6:7], s[36:37], 0
	v_addc_co_u32_e32 v9, vcc, 0, v9, vcc
	s_addc_u32 s9, s5, s9
	s_mov_b64 s[4:5], 0
	s_and_b64 vcc, exec, s[6:7]
	v_mul_lo_u32 v11, v13, s46
	v_mul_lo_u32 v12, v10, s47
	v_lshlrev_b64 v[8:9], 3, v[8:9]
	s_cbranch_vccnz .LBB216_8
; %bb.5:
	v_mad_u64_u32 v[14:15], s[2:3], v10, s46, 0
	v_add3_u32 v15, v15, v12, v11
	v_lshlrev_b64 v[14:15], 3, v[14:15]
	v_mov_b32_e32 v16, s9
	v_add_co_u32_e32 v17, vcc, s8, v14
	v_addc_co_u32_e32 v18, vcc, v16, v15, vcc
	v_add_co_u32_e32 v16, vcc, v17, v8
	v_mul_f64 v[14:15], v[6:7], s[14:15]
	v_addc_co_u32_e32 v17, vcc, v18, v9, vcc
	global_store_dwordx2 v[16:17], v[14:15], off
	v_mul_f64 v[14:15], v[4:5], s[14:15]
	s_lshl_b64 s[2:3], s[46:47], 7
	global_store_dwordx2 v[16:17], v[14:15], off offset:128
	v_mov_b32_e32 v18, s3
	v_add_co_u32_e32 v16, vcc, s2, v16
	v_mul_f64 v[14:15], v[2:3], s[14:15]
	v_addc_co_u32_e32 v17, vcc, v17, v18, vcc
	global_store_dwordx2 v[16:17], v[14:15], off
	v_mul_f64 v[14:15], v[0:1], s[14:15]
	global_store_dwordx2 v[16:17], v[14:15], off offset:128
	s_andn2_b64 vcc, exec, s[4:5]
	s_cbranch_vccnz .LBB216_7
.LBB216_6:
	s_lshl_b64 s[2:3], s[42:43], 3
	s_add_u32 s2, s0, s2
	s_addc_u32 s3, s1, s3
	v_mul_lo_u32 v13, v13, s40
	v_mul_lo_u32 v16, v10, s41
	v_mad_u64_u32 v[14:15], s[0:1], v10, s40, 0
	v_add3_u32 v15, v15, v16, v13
	v_lshlrev_b64 v[14:15], 3, v[14:15]
	v_mov_b32_e32 v13, s3
	v_add_co_u32_e32 v14, vcc, s2, v14
	v_addc_co_u32_e32 v13, vcc, v13, v15, vcc
	v_add_co_u32_e32 v14, vcc, v14, v8
	v_addc_co_u32_e32 v15, vcc, v13, v9, vcc
	global_load_dwordx2 v[16:17], v[14:15], off
	v_mad_u64_u32 v[18:19], s[0:1], v10, s46, 0
	v_add3_u32 v19, v19, v12, v11
	v_lshlrev_b64 v[10:11], 3, v[18:19]
	v_mov_b32_e32 v13, s9
	v_add_co_u32_e32 v10, vcc, s8, v10
	v_addc_co_u32_e32 v11, vcc, v13, v11, vcc
	v_add_co_u32_e32 v8, vcc, v10, v8
	v_addc_co_u32_e32 v9, vcc, v11, v9, vcc
	s_lshl_b64 s[0:1], s[40:41], 7
	s_waitcnt vmcnt(0)
	v_mul_f64 v[10:11], v[16:17], s[36:37]
	v_fmac_f64_e32 v[10:11], s[14:15], v[6:7]
	global_store_dwordx2 v[8:9], v[10:11], off
	global_load_dwordx2 v[6:7], v[14:15], off offset:128
	v_mov_b32_e32 v11, s1
	v_add_co_u32_e32 v10, vcc, s0, v14
	v_addc_co_u32_e32 v11, vcc, v15, v11, vcc
	s_lshl_b64 s[0:1], s[46:47], 7
	s_waitcnt vmcnt(0)
	v_mul_f64 v[6:7], v[6:7], s[36:37]
	v_fmac_f64_e32 v[6:7], s[14:15], v[4:5]
	global_store_dwordx2 v[8:9], v[6:7], off offset:128
	global_load_dwordx2 v[4:5], v[10:11], off
	v_mov_b32_e32 v6, s1
	s_waitcnt vmcnt(0)
	v_mul_f64 v[4:5], v[4:5], s[36:37]
	v_fmac_f64_e32 v[4:5], s[14:15], v[2:3]
	v_add_co_u32_e32 v2, vcc, s0, v8
	v_addc_co_u32_e32 v3, vcc, v9, v6, vcc
	global_store_dwordx2 v[2:3], v[4:5], off
	global_load_dwordx2 v[4:5], v[10:11], off offset:128
	s_waitcnt vmcnt(0)
	v_mul_f64 v[4:5], v[4:5], s[36:37]
	v_fmac_f64_e32 v[4:5], s[14:15], v[0:1]
	global_store_dwordx2 v[2:3], v[4:5], off offset:128
.LBB216_7:
	s_endpgm
.LBB216_8:
	s_branch .LBB216_6
	.section	.rodata,"a",@progbits
	.p2align	6, 0x0
	.amdhsa_kernel _ZN12_GLOBAL__N_127rocblas_gemm_batched_kernelIdLi16ELi16ELi32ELi32ELi8ELi32ELi8ELi8ELi32ELc78ELc84EKPKdS3_KPdEEvlllT_PT11_llS8_llS6_PT12_llPT13_lli
		.amdhsa_group_segment_fixed_size 4096
		.amdhsa_private_segment_fixed_size 0
		.amdhsa_kernarg_size 140
		.amdhsa_user_sgpr_count 6
		.amdhsa_user_sgpr_private_segment_buffer 1
		.amdhsa_user_sgpr_dispatch_ptr 0
		.amdhsa_user_sgpr_queue_ptr 0
		.amdhsa_user_sgpr_kernarg_segment_ptr 1
		.amdhsa_user_sgpr_dispatch_id 0
		.amdhsa_user_sgpr_flat_scratch_init 0
		.amdhsa_user_sgpr_kernarg_preload_length 0
		.amdhsa_user_sgpr_kernarg_preload_offset 0
		.amdhsa_user_sgpr_private_segment_size 0
		.amdhsa_uses_dynamic_stack 0
		.amdhsa_system_sgpr_private_segment_wavefront_offset 0
		.amdhsa_system_sgpr_workgroup_id_x 1
		.amdhsa_system_sgpr_workgroup_id_y 1
		.amdhsa_system_sgpr_workgroup_id_z 1
		.amdhsa_system_sgpr_workgroup_info 0
		.amdhsa_system_vgpr_workitem_id 1
		.amdhsa_next_free_vgpr 62
		.amdhsa_next_free_sgpr 52
		.amdhsa_accum_offset 64
		.amdhsa_reserve_vcc 1
		.amdhsa_reserve_flat_scratch 0
		.amdhsa_float_round_mode_32 0
		.amdhsa_float_round_mode_16_64 0
		.amdhsa_float_denorm_mode_32 3
		.amdhsa_float_denorm_mode_16_64 3
		.amdhsa_dx10_clamp 1
		.amdhsa_ieee_mode 1
		.amdhsa_fp16_overflow 0
		.amdhsa_tg_split 0
		.amdhsa_exception_fp_ieee_invalid_op 0
		.amdhsa_exception_fp_denorm_src 0
		.amdhsa_exception_fp_ieee_div_zero 0
		.amdhsa_exception_fp_ieee_overflow 0
		.amdhsa_exception_fp_ieee_underflow 0
		.amdhsa_exception_fp_ieee_inexact 0
		.amdhsa_exception_int_div_zero 0
	.end_amdhsa_kernel
	.section	.text._ZN12_GLOBAL__N_127rocblas_gemm_batched_kernelIdLi16ELi16ELi32ELi32ELi8ELi32ELi8ELi8ELi32ELc78ELc84EKPKdS3_KPdEEvlllT_PT11_llS8_llS6_PT12_llPT13_lli,"axG",@progbits,_ZN12_GLOBAL__N_127rocblas_gemm_batched_kernelIdLi16ELi16ELi32ELi32ELi8ELi32ELi8ELi8ELi32ELc78ELc84EKPKdS3_KPdEEvlllT_PT11_llS8_llS6_PT12_llPT13_lli,comdat
.Lfunc_end216:
	.size	_ZN12_GLOBAL__N_127rocblas_gemm_batched_kernelIdLi16ELi16ELi32ELi32ELi8ELi32ELi8ELi8ELi32ELc78ELc84EKPKdS3_KPdEEvlllT_PT11_llS8_llS6_PT12_llPT13_lli, .Lfunc_end216-_ZN12_GLOBAL__N_127rocblas_gemm_batched_kernelIdLi16ELi16ELi32ELi32ELi8ELi32ELi8ELi8ELi32ELc78ELc84EKPKdS3_KPdEEvlllT_PT11_llS8_llS6_PT12_llPT13_lli
                                        ; -- End function
	.section	.AMDGPU.csdata,"",@progbits
; Kernel info:
; codeLenInByte = 1352
; NumSgprs: 56
; NumVgprs: 62
; NumAgprs: 0
; TotalNumVgprs: 62
; ScratchSize: 0
; MemoryBound: 0
; FloatMode: 240
; IeeeMode: 1
; LDSByteSize: 4096 bytes/workgroup (compile time only)
; SGPRBlocks: 6
; VGPRBlocks: 7
; NumSGPRsForWavesPerEU: 56
; NumVGPRsForWavesPerEU: 62
; AccumOffset: 64
; Occupancy: 8
; WaveLimiterHint : 1
; COMPUTE_PGM_RSRC2:SCRATCH_EN: 0
; COMPUTE_PGM_RSRC2:USER_SGPR: 6
; COMPUTE_PGM_RSRC2:TRAP_HANDLER: 0
; COMPUTE_PGM_RSRC2:TGID_X_EN: 1
; COMPUTE_PGM_RSRC2:TGID_Y_EN: 1
; COMPUTE_PGM_RSRC2:TGID_Z_EN: 1
; COMPUTE_PGM_RSRC2:TIDIG_COMP_CNT: 1
; COMPUTE_PGM_RSRC3_GFX90A:ACCUM_OFFSET: 15
; COMPUTE_PGM_RSRC3_GFX90A:TG_SPLIT: 0
	.section	.text._ZN12_GLOBAL__N_127rocblas_gemm_batched_kernelIdLi16ELi16ELi32ELi32ELi8ELi32ELi8ELi8ELi32ELc84ELc84EKPKdS3_KPdEEvlllT_PT11_llS8_llS6_PT12_llPT13_lli,"axG",@progbits,_ZN12_GLOBAL__N_127rocblas_gemm_batched_kernelIdLi16ELi16ELi32ELi32ELi8ELi32ELi8ELi8ELi32ELc84ELc84EKPKdS3_KPdEEvlllT_PT11_llS8_llS6_PT12_llPT13_lli,comdat
	.globl	_ZN12_GLOBAL__N_127rocblas_gemm_batched_kernelIdLi16ELi16ELi32ELi32ELi8ELi32ELi8ELi8ELi32ELc84ELc84EKPKdS3_KPdEEvlllT_PT11_llS8_llS6_PT12_llPT13_lli ; -- Begin function _ZN12_GLOBAL__N_127rocblas_gemm_batched_kernelIdLi16ELi16ELi32ELi32ELi8ELi32ELi8ELi8ELi32ELc84ELc84EKPKdS3_KPdEEvlllT_PT11_llS8_llS6_PT12_llPT13_lli
	.p2align	8
	.type	_ZN12_GLOBAL__N_127rocblas_gemm_batched_kernelIdLi16ELi16ELi32ELi32ELi8ELi32ELi8ELi8ELi32ELc84ELc84EKPKdS3_KPdEEvlllT_PT11_llS8_llS6_PT12_llPT13_lli,@function
_ZN12_GLOBAL__N_127rocblas_gemm_batched_kernelIdLi16ELi16ELi32ELi32ELi8ELi32ELi8ELi8ELi32ELc84ELc84EKPKdS3_KPdEEvlllT_PT11_llS8_llS6_PT12_llPT13_lli: ; @_ZN12_GLOBAL__N_127rocblas_gemm_batched_kernelIdLi16ELi16ELi32ELi32ELi8ELi32ELi8ELi8ELi32ELc84ELc84EKPKdS3_KPdEEvlllT_PT11_llS8_llS6_PT12_llPT13_lli
; %bb.0:
	s_load_dwordx16 s[12:27], s[4:5], 0x10
	s_load_dwordx8 s[44:51], s[4:5], 0x70
	s_load_dwordx8 s[36:43], s[4:5], 0x50
	s_mov_b32 s9, 0
	s_lshl_b64 s[10:11], s[8:9], 3
	s_mov_b32 s28, s7
	v_bfe_u32 v15, v0, 10, 10
	s_waitcnt lgkmcnt(0)
	s_add_u32 s0, s38, s10
	s_addc_u32 s1, s39, s11
	s_add_u32 s2, s44, s10
	s_addc_u32 s3, s45, s11
	s_load_dwordx2 s[0:1], s[0:1], 0x0
	s_ashr_i32 s7, s6, 31
	s_load_dwordx2 s[4:5], s[2:3], 0x0
	s_ashr_i32 s29, s28, 31
	s_lshl_b64 s[2:3], s[6:7], 5
	s_lshl_b64 s[6:7], s[28:29], 5
	v_cmp_lt_i64_e64 s[28:29], s[12:13], 1
	v_and_b32_e32 v14, 0x3ff, v0
	s_mov_b64 s[8:9], 0
	s_and_b64 vcc, exec, s[28:29]
	s_cbranch_vccnz .LBB217_3
; %bb.1:
	s_add_u32 s16, s16, s10
	v_lshl_add_u32 v2, v15, 4, v14
	s_addc_u32 s17, s17, s11
	v_and_b32_e32 v4, 31, v2
	s_add_u32 s10, s22, s10
	v_lshrrev_b32_e32 v0, 3, v2
	v_and_b32_e32 v3, 7, v14
	v_lshrrev_b32_e32 v5, 5, v2
	v_lshlrev_b32_e32 v2, 3, v4
	s_addc_u32 s11, s23, s11
	v_lshl_or_b32 v16, v5, 8, v2
	v_lshlrev_b32_e32 v2, 3, v3
	s_load_dwordx2 s[10:11], s[10:11], 0x0
	v_mov_b32_e32 v1, 0
	v_lshl_or_b32 v2, v0, 6, v2
	v_add_u32_e32 v17, 0x800, v2
	v_mov_b32_e32 v2, 0x800
	s_lshl_b64 s[22:23], s[26:27], 3
	v_mad_u64_u32 v[0:1], s[26:27], v3, s24, v[0:1]
	v_lshl_add_u32 v19, v15, 6, v2
	v_mov_b32_e32 v2, v1
	v_mad_u64_u32 v[2:3], s[26:27], v3, s25, v[2:3]
	v_mov_b32_e32 v1, v2
	v_mov_b32_e32 v2, s7
	v_add_co_u32_e32 v0, vcc, s6, v0
	v_addc_co_u32_e32 v1, vcc, v1, v2, vcc
	s_waitcnt lgkmcnt(0)
	s_add_u32 s10, s10, s22
	v_lshlrev_b64 v[0:1], 3, v[0:1]
	s_addc_u32 s11, s11, s23
	v_mov_b32_e32 v2, s11
	v_add_co_u32_e32 v8, vcc, s10, v0
	v_addc_co_u32_e32 v9, vcc, v2, v1, vcc
	v_mov_b32_e32 v0, s3
	v_add_co_u32_e32 v1, vcc, s2, v4
	v_addc_co_u32_e32 v0, vcc, 0, v0, vcc
	v_mul_lo_u32 v2, s19, v1
	v_mul_lo_u32 v3, s18, v0
	v_mad_u64_u32 v[0:1], s[18:19], s18, v1, 0
	v_add3_u32 v1, v1, v3, v2
	s_load_dwordx2 s[16:17], s[16:17], 0x0
	v_lshlrev_b64 v[0:1], 3, v[0:1]
	s_lshl_b64 s[18:19], s[20:21], 3
	v_mov_b32_e32 v2, s19
	v_add_co_u32_e32 v0, vcc, s18, v0
	v_addc_co_u32_e32 v1, vcc, v1, v2, vcc
	v_lshlrev_b32_e32 v2, 3, v5
	v_add_co_u32_e32 v0, vcc, v0, v2
	v_addc_co_u32_e32 v1, vcc, 0, v1, vcc
	s_lshl_b64 s[10:11], s[24:25], 6
	s_waitcnt lgkmcnt(0)
	v_mov_b32_e32 v2, s17
	v_add_co_u32_e32 v10, vcc, s16, v0
	v_lshlrev_b32_e32 v18, 3, v14
	v_addc_co_u32_e32 v11, vcc, v2, v1, vcc
	v_pk_mov_b32 v[0:1], 0, 0
	v_mov_b32_e32 v20, s11
	v_pk_mov_b32 v[12:13], s[12:13], s[12:13] op_sel:[0,1]
	v_pk_mov_b32 v[2:3], 0, 0
	v_pk_mov_b32 v[4:5], 0, 0
	;; [unrolled: 1-line block ×3, first 2 shown]
.LBB217_2:                              ; =>This Inner Loop Header: Depth=1
	global_load_dwordx2 v[22:23], v[10:11], off
	global_load_dwordx2 v[24:25], v[8:9], off
	v_add_co_u32_e32 v8, vcc, s10, v8
	v_addc_co_u32_e32 v9, vcc, v9, v20, vcc
	s_add_u32 s8, s8, 8
	v_add_co_u32_e32 v10, vcc, 64, v10
	v_addc_co_u32_e32 v11, vcc, 0, v11, vcc
	s_addc_u32 s9, s9, 0
	v_cmp_lt_i64_e32 vcc, s[8:9], v[12:13]
	s_and_b64 vcc, exec, vcc
	s_waitcnt vmcnt(1)
	ds_write_b64 v16, v[22:23]
	s_waitcnt vmcnt(0)
	ds_write_b64 v17, v[24:25]
	s_waitcnt lgkmcnt(0)
	s_barrier
	ds_read_b128 v[22:25], v19
	ds_read_b128 v[26:29], v19 offset:16
	ds_read_b128 v[30:33], v19 offset:32
	;; [unrolled: 1-line block ×3, first 2 shown]
	ds_read2_b64 v[38:41], v18 offset1:16
	ds_read2_b64 v[42:45], v18 offset0:32 offset1:48
	ds_read2_b64 v[46:49], v18 offset0:64 offset1:80
	ds_read_b128 v[50:53], v19 offset:1024
	ds_read_b128 v[54:57], v19 offset:1040
	ds_read2_b64 v[58:61], v18 offset0:96 offset1:112
	s_waitcnt lgkmcnt(5)
	v_fmac_f64_e32 v[6:7], v[38:39], v[22:23]
	v_fmac_f64_e32 v[4:5], v[40:41], v[22:23]
	s_waitcnt lgkmcnt(2)
	v_fmac_f64_e32 v[2:3], v[38:39], v[50:51]
	v_fmac_f64_e32 v[0:1], v[40:41], v[50:51]
	ds_read2_b64 v[38:41], v18 offset0:128 offset1:144
	v_fmac_f64_e32 v[6:7], v[42:43], v[24:25]
	v_fmac_f64_e32 v[4:5], v[44:45], v[24:25]
	ds_read2_b64 v[22:25], v18 offset0:160 offset1:176
	;; [unrolled: 3-line block ×3, first 2 shown]
	ds_read_b128 v[50:53], v19 offset:1056
	v_fmac_f64_e32 v[6:7], v[46:47], v[26:27]
	v_fmac_f64_e32 v[4:5], v[48:49], v[26:27]
	s_waitcnt lgkmcnt(5)
	v_fmac_f64_e32 v[2:3], v[46:47], v[54:55]
	v_fmac_f64_e32 v[0:1], v[48:49], v[54:55]
	ds_read_b128 v[46:49], v19 offset:1072
	s_waitcnt lgkmcnt(5)
	v_fmac_f64_e32 v[6:7], v[58:59], v[28:29]
	v_fmac_f64_e32 v[4:5], v[60:61], v[28:29]
	ds_read2_b64 v[26:29], v18 offset0:224 offset1:240
	v_fmac_f64_e32 v[2:3], v[58:59], v[56:57]
	v_fmac_f64_e32 v[0:1], v[60:61], v[56:57]
	s_waitcnt lgkmcnt(5)
	v_fmac_f64_e32 v[6:7], v[38:39], v[30:31]
	v_fmac_f64_e32 v[4:5], v[40:41], v[30:31]
	s_waitcnt lgkmcnt(2)
	v_fmac_f64_e32 v[2:3], v[38:39], v[50:51]
	v_fmac_f64_e32 v[0:1], v[40:41], v[50:51]
	;; [unrolled: 1-line block ×8, first 2 shown]
	s_waitcnt lgkmcnt(1)
	v_fmac_f64_e32 v[2:3], v[42:43], v[46:47]
	v_fmac_f64_e32 v[0:1], v[44:45], v[46:47]
	s_waitcnt lgkmcnt(0)
	v_fmac_f64_e32 v[6:7], v[26:27], v[36:37]
	v_fmac_f64_e32 v[4:5], v[28:29], v[36:37]
	;; [unrolled: 1-line block ×4, first 2 shown]
	s_barrier
	s_cbranch_vccnz .LBB217_2
	s_branch .LBB217_4
.LBB217_3:
	v_pk_mov_b32 v[6:7], 0, 0
	v_pk_mov_b32 v[4:5], 0, 0
	;; [unrolled: 1-line block ×4, first 2 shown]
.LBB217_4:
	v_mov_b32_e32 v8, s7
	v_add_co_u32_e32 v10, vcc, s6, v15
	v_addc_co_u32_e32 v13, vcc, 0, v8, vcc
	s_lshl_b64 s[8:9], s[48:49], 3
	v_mov_b32_e32 v9, s3
	v_add_co_u32_e32 v8, vcc, s2, v14
	s_waitcnt lgkmcnt(0)
	s_add_u32 s8, s4, s8
	v_cmp_neq_f64_e64 s[6:7], s[36:37], 0
	v_addc_co_u32_e32 v9, vcc, 0, v9, vcc
	s_addc_u32 s9, s5, s9
	s_mov_b64 s[4:5], 0
	s_and_b64 vcc, exec, s[6:7]
	v_mul_lo_u32 v11, v13, s46
	v_mul_lo_u32 v12, v10, s47
	v_lshlrev_b64 v[8:9], 3, v[8:9]
	s_cbranch_vccnz .LBB217_8
; %bb.5:
	v_mad_u64_u32 v[14:15], s[2:3], v10, s46, 0
	v_add3_u32 v15, v15, v12, v11
	v_lshlrev_b64 v[14:15], 3, v[14:15]
	v_mov_b32_e32 v16, s9
	v_add_co_u32_e32 v17, vcc, s8, v14
	v_addc_co_u32_e32 v18, vcc, v16, v15, vcc
	v_add_co_u32_e32 v16, vcc, v17, v8
	v_mul_f64 v[14:15], v[6:7], s[14:15]
	v_addc_co_u32_e32 v17, vcc, v18, v9, vcc
	global_store_dwordx2 v[16:17], v[14:15], off
	v_mul_f64 v[14:15], v[4:5], s[14:15]
	s_lshl_b64 s[2:3], s[46:47], 7
	global_store_dwordx2 v[16:17], v[14:15], off offset:128
	v_mov_b32_e32 v18, s3
	v_add_co_u32_e32 v16, vcc, s2, v16
	v_mul_f64 v[14:15], v[2:3], s[14:15]
	v_addc_co_u32_e32 v17, vcc, v17, v18, vcc
	global_store_dwordx2 v[16:17], v[14:15], off
	v_mul_f64 v[14:15], v[0:1], s[14:15]
	global_store_dwordx2 v[16:17], v[14:15], off offset:128
	s_andn2_b64 vcc, exec, s[4:5]
	s_cbranch_vccnz .LBB217_7
.LBB217_6:
	s_lshl_b64 s[2:3], s[42:43], 3
	s_add_u32 s2, s0, s2
	s_addc_u32 s3, s1, s3
	v_mul_lo_u32 v13, v13, s40
	v_mul_lo_u32 v16, v10, s41
	v_mad_u64_u32 v[14:15], s[0:1], v10, s40, 0
	v_add3_u32 v15, v15, v16, v13
	v_lshlrev_b64 v[14:15], 3, v[14:15]
	v_mov_b32_e32 v13, s3
	v_add_co_u32_e32 v14, vcc, s2, v14
	v_addc_co_u32_e32 v13, vcc, v13, v15, vcc
	v_add_co_u32_e32 v14, vcc, v14, v8
	v_addc_co_u32_e32 v15, vcc, v13, v9, vcc
	global_load_dwordx2 v[16:17], v[14:15], off
	v_mad_u64_u32 v[18:19], s[0:1], v10, s46, 0
	v_add3_u32 v19, v19, v12, v11
	v_lshlrev_b64 v[10:11], 3, v[18:19]
	v_mov_b32_e32 v13, s9
	v_add_co_u32_e32 v10, vcc, s8, v10
	v_addc_co_u32_e32 v11, vcc, v13, v11, vcc
	v_add_co_u32_e32 v8, vcc, v10, v8
	v_addc_co_u32_e32 v9, vcc, v11, v9, vcc
	s_lshl_b64 s[0:1], s[40:41], 7
	s_waitcnt vmcnt(0)
	v_mul_f64 v[10:11], v[16:17], s[36:37]
	v_fmac_f64_e32 v[10:11], s[14:15], v[6:7]
	global_store_dwordx2 v[8:9], v[10:11], off
	global_load_dwordx2 v[6:7], v[14:15], off offset:128
	v_mov_b32_e32 v11, s1
	v_add_co_u32_e32 v10, vcc, s0, v14
	v_addc_co_u32_e32 v11, vcc, v15, v11, vcc
	s_lshl_b64 s[0:1], s[46:47], 7
	s_waitcnt vmcnt(0)
	v_mul_f64 v[6:7], v[6:7], s[36:37]
	v_fmac_f64_e32 v[6:7], s[14:15], v[4:5]
	global_store_dwordx2 v[8:9], v[6:7], off offset:128
	global_load_dwordx2 v[4:5], v[10:11], off
	v_mov_b32_e32 v6, s1
	s_waitcnt vmcnt(0)
	v_mul_f64 v[4:5], v[4:5], s[36:37]
	v_fmac_f64_e32 v[4:5], s[14:15], v[2:3]
	v_add_co_u32_e32 v2, vcc, s0, v8
	v_addc_co_u32_e32 v3, vcc, v9, v6, vcc
	global_store_dwordx2 v[2:3], v[4:5], off
	global_load_dwordx2 v[4:5], v[10:11], off offset:128
	s_waitcnt vmcnt(0)
	v_mul_f64 v[4:5], v[4:5], s[36:37]
	v_fmac_f64_e32 v[4:5], s[14:15], v[0:1]
	global_store_dwordx2 v[2:3], v[4:5], off offset:128
.LBB217_7:
	s_endpgm
.LBB217_8:
	s_branch .LBB217_6
	.section	.rodata,"a",@progbits
	.p2align	6, 0x0
	.amdhsa_kernel _ZN12_GLOBAL__N_127rocblas_gemm_batched_kernelIdLi16ELi16ELi32ELi32ELi8ELi32ELi8ELi8ELi32ELc84ELc84EKPKdS3_KPdEEvlllT_PT11_llS8_llS6_PT12_llPT13_lli
		.amdhsa_group_segment_fixed_size 4096
		.amdhsa_private_segment_fixed_size 0
		.amdhsa_kernarg_size 140
		.amdhsa_user_sgpr_count 6
		.amdhsa_user_sgpr_private_segment_buffer 1
		.amdhsa_user_sgpr_dispatch_ptr 0
		.amdhsa_user_sgpr_queue_ptr 0
		.amdhsa_user_sgpr_kernarg_segment_ptr 1
		.amdhsa_user_sgpr_dispatch_id 0
		.amdhsa_user_sgpr_flat_scratch_init 0
		.amdhsa_user_sgpr_kernarg_preload_length 0
		.amdhsa_user_sgpr_kernarg_preload_offset 0
		.amdhsa_user_sgpr_private_segment_size 0
		.amdhsa_uses_dynamic_stack 0
		.amdhsa_system_sgpr_private_segment_wavefront_offset 0
		.amdhsa_system_sgpr_workgroup_id_x 1
		.amdhsa_system_sgpr_workgroup_id_y 1
		.amdhsa_system_sgpr_workgroup_id_z 1
		.amdhsa_system_sgpr_workgroup_info 0
		.amdhsa_system_vgpr_workitem_id 1
		.amdhsa_next_free_vgpr 62
		.amdhsa_next_free_sgpr 52
		.amdhsa_accum_offset 64
		.amdhsa_reserve_vcc 1
		.amdhsa_reserve_flat_scratch 0
		.amdhsa_float_round_mode_32 0
		.amdhsa_float_round_mode_16_64 0
		.amdhsa_float_denorm_mode_32 3
		.amdhsa_float_denorm_mode_16_64 3
		.amdhsa_dx10_clamp 1
		.amdhsa_ieee_mode 1
		.amdhsa_fp16_overflow 0
		.amdhsa_tg_split 0
		.amdhsa_exception_fp_ieee_invalid_op 0
		.amdhsa_exception_fp_denorm_src 0
		.amdhsa_exception_fp_ieee_div_zero 0
		.amdhsa_exception_fp_ieee_overflow 0
		.amdhsa_exception_fp_ieee_underflow 0
		.amdhsa_exception_fp_ieee_inexact 0
		.amdhsa_exception_int_div_zero 0
	.end_amdhsa_kernel
	.section	.text._ZN12_GLOBAL__N_127rocblas_gemm_batched_kernelIdLi16ELi16ELi32ELi32ELi8ELi32ELi8ELi8ELi32ELc84ELc84EKPKdS3_KPdEEvlllT_PT11_llS8_llS6_PT12_llPT13_lli,"axG",@progbits,_ZN12_GLOBAL__N_127rocblas_gemm_batched_kernelIdLi16ELi16ELi32ELi32ELi8ELi32ELi8ELi8ELi32ELc84ELc84EKPKdS3_KPdEEvlllT_PT11_llS8_llS6_PT12_llPT13_lli,comdat
.Lfunc_end217:
	.size	_ZN12_GLOBAL__N_127rocblas_gemm_batched_kernelIdLi16ELi16ELi32ELi32ELi8ELi32ELi8ELi8ELi32ELc84ELc84EKPKdS3_KPdEEvlllT_PT11_llS8_llS6_PT12_llPT13_lli, .Lfunc_end217-_ZN12_GLOBAL__N_127rocblas_gemm_batched_kernelIdLi16ELi16ELi32ELi32ELi8ELi32ELi8ELi8ELi32ELc84ELc84EKPKdS3_KPdEEvlllT_PT11_llS8_llS6_PT12_llPT13_lli
                                        ; -- End function
	.section	.AMDGPU.csdata,"",@progbits
; Kernel info:
; codeLenInByte = 1364
; NumSgprs: 56
; NumVgprs: 62
; NumAgprs: 0
; TotalNumVgprs: 62
; ScratchSize: 0
; MemoryBound: 0
; FloatMode: 240
; IeeeMode: 1
; LDSByteSize: 4096 bytes/workgroup (compile time only)
; SGPRBlocks: 6
; VGPRBlocks: 7
; NumSGPRsForWavesPerEU: 56
; NumVGPRsForWavesPerEU: 62
; AccumOffset: 64
; Occupancy: 8
; WaveLimiterHint : 1
; COMPUTE_PGM_RSRC2:SCRATCH_EN: 0
; COMPUTE_PGM_RSRC2:USER_SGPR: 6
; COMPUTE_PGM_RSRC2:TRAP_HANDLER: 0
; COMPUTE_PGM_RSRC2:TGID_X_EN: 1
; COMPUTE_PGM_RSRC2:TGID_Y_EN: 1
; COMPUTE_PGM_RSRC2:TGID_Z_EN: 1
; COMPUTE_PGM_RSRC2:TIDIG_COMP_CNT: 1
; COMPUTE_PGM_RSRC3_GFX90A:ACCUM_OFFSET: 15
; COMPUTE_PGM_RSRC3_GFX90A:TG_SPLIT: 0
	.section	.text._ZN12_GLOBAL__N_127rocblas_gemm_batched_kernelIdLi16ELi16ELi32ELi32ELi8ELi32ELi8ELi8ELi32ELc67ELc67EKPKdS3_KPdEEvlllT_PT11_llS8_llS6_PT12_llPT13_lli,"axG",@progbits,_ZN12_GLOBAL__N_127rocblas_gemm_batched_kernelIdLi16ELi16ELi32ELi32ELi8ELi32ELi8ELi8ELi32ELc67ELc67EKPKdS3_KPdEEvlllT_PT11_llS8_llS6_PT12_llPT13_lli,comdat
	.globl	_ZN12_GLOBAL__N_127rocblas_gemm_batched_kernelIdLi16ELi16ELi32ELi32ELi8ELi32ELi8ELi8ELi32ELc67ELc67EKPKdS3_KPdEEvlllT_PT11_llS8_llS6_PT12_llPT13_lli ; -- Begin function _ZN12_GLOBAL__N_127rocblas_gemm_batched_kernelIdLi16ELi16ELi32ELi32ELi8ELi32ELi8ELi8ELi32ELc67ELc67EKPKdS3_KPdEEvlllT_PT11_llS8_llS6_PT12_llPT13_lli
	.p2align	8
	.type	_ZN12_GLOBAL__N_127rocblas_gemm_batched_kernelIdLi16ELi16ELi32ELi32ELi8ELi32ELi8ELi8ELi32ELc67ELc67EKPKdS3_KPdEEvlllT_PT11_llS8_llS6_PT12_llPT13_lli,@function
_ZN12_GLOBAL__N_127rocblas_gemm_batched_kernelIdLi16ELi16ELi32ELi32ELi8ELi32ELi8ELi8ELi32ELc67ELc67EKPKdS3_KPdEEvlllT_PT11_llS8_llS6_PT12_llPT13_lli: ; @_ZN12_GLOBAL__N_127rocblas_gemm_batched_kernelIdLi16ELi16ELi32ELi32ELi8ELi32ELi8ELi8ELi32ELc67ELc67EKPKdS3_KPdEEvlllT_PT11_llS8_llS6_PT12_llPT13_lli
; %bb.0:
	s_load_dwordx16 s[12:27], s[4:5], 0x10
	s_load_dwordx8 s[44:51], s[4:5], 0x70
	s_load_dwordx8 s[36:43], s[4:5], 0x50
	s_mov_b32 s9, 0
	s_lshl_b64 s[10:11], s[8:9], 3
	s_mov_b32 s28, s7
	v_bfe_u32 v15, v0, 10, 10
	s_waitcnt lgkmcnt(0)
	s_add_u32 s0, s38, s10
	s_addc_u32 s1, s39, s11
	s_add_u32 s2, s44, s10
	s_addc_u32 s3, s45, s11
	s_load_dwordx2 s[0:1], s[0:1], 0x0
	s_ashr_i32 s7, s6, 31
	s_load_dwordx2 s[4:5], s[2:3], 0x0
	s_ashr_i32 s29, s28, 31
	s_lshl_b64 s[2:3], s[6:7], 5
	s_lshl_b64 s[6:7], s[28:29], 5
	v_cmp_lt_i64_e64 s[28:29], s[12:13], 1
	v_and_b32_e32 v14, 0x3ff, v0
	s_mov_b64 s[8:9], 0
	s_and_b64 vcc, exec, s[28:29]
	s_cbranch_vccnz .LBB218_3
; %bb.1:
	s_add_u32 s16, s16, s10
	v_lshl_add_u32 v2, v15, 4, v14
	s_addc_u32 s17, s17, s11
	v_and_b32_e32 v4, 31, v2
	s_add_u32 s10, s22, s10
	v_lshrrev_b32_e32 v0, 3, v2
	v_and_b32_e32 v3, 7, v14
	v_lshrrev_b32_e32 v5, 5, v2
	v_lshlrev_b32_e32 v2, 3, v4
	s_addc_u32 s11, s23, s11
	v_lshl_or_b32 v16, v5, 8, v2
	v_lshlrev_b32_e32 v2, 3, v3
	s_load_dwordx2 s[10:11], s[10:11], 0x0
	v_mov_b32_e32 v1, 0
	v_lshl_or_b32 v2, v0, 6, v2
	v_add_u32_e32 v17, 0x800, v2
	v_mov_b32_e32 v2, 0x800
	s_lshl_b64 s[22:23], s[26:27], 3
	v_mad_u64_u32 v[0:1], s[26:27], v3, s24, v[0:1]
	v_lshl_add_u32 v19, v15, 6, v2
	v_mov_b32_e32 v2, v1
	v_mad_u64_u32 v[2:3], s[26:27], v3, s25, v[2:3]
	v_mov_b32_e32 v1, v2
	v_mov_b32_e32 v2, s7
	v_add_co_u32_e32 v0, vcc, s6, v0
	v_addc_co_u32_e32 v1, vcc, v1, v2, vcc
	s_waitcnt lgkmcnt(0)
	s_add_u32 s10, s10, s22
	v_lshlrev_b64 v[0:1], 3, v[0:1]
	s_addc_u32 s11, s11, s23
	v_mov_b32_e32 v2, s11
	v_add_co_u32_e32 v8, vcc, s10, v0
	v_addc_co_u32_e32 v9, vcc, v2, v1, vcc
	v_mov_b32_e32 v0, s3
	v_add_co_u32_e32 v1, vcc, s2, v4
	v_addc_co_u32_e32 v0, vcc, 0, v0, vcc
	v_mul_lo_u32 v2, s19, v1
	v_mul_lo_u32 v3, s18, v0
	v_mad_u64_u32 v[0:1], s[18:19], s18, v1, 0
	v_add3_u32 v1, v1, v3, v2
	s_load_dwordx2 s[16:17], s[16:17], 0x0
	v_lshlrev_b64 v[0:1], 3, v[0:1]
	s_lshl_b64 s[18:19], s[20:21], 3
	v_mov_b32_e32 v2, s19
	v_add_co_u32_e32 v0, vcc, s18, v0
	v_addc_co_u32_e32 v1, vcc, v1, v2, vcc
	v_lshlrev_b32_e32 v2, 3, v5
	v_add_co_u32_e32 v0, vcc, v0, v2
	v_addc_co_u32_e32 v1, vcc, 0, v1, vcc
	s_lshl_b64 s[10:11], s[24:25], 6
	s_waitcnt lgkmcnt(0)
	v_mov_b32_e32 v2, s17
	v_add_co_u32_e32 v10, vcc, s16, v0
	v_lshlrev_b32_e32 v18, 3, v14
	v_addc_co_u32_e32 v11, vcc, v2, v1, vcc
	v_pk_mov_b32 v[0:1], 0, 0
	v_mov_b32_e32 v20, s11
	v_pk_mov_b32 v[12:13], s[12:13], s[12:13] op_sel:[0,1]
	v_pk_mov_b32 v[2:3], 0, 0
	v_pk_mov_b32 v[4:5], 0, 0
	;; [unrolled: 1-line block ×3, first 2 shown]
.LBB218_2:                              ; =>This Inner Loop Header: Depth=1
	global_load_dwordx2 v[22:23], v[10:11], off
	global_load_dwordx2 v[24:25], v[8:9], off
	v_add_co_u32_e32 v8, vcc, s10, v8
	v_addc_co_u32_e32 v9, vcc, v9, v20, vcc
	s_add_u32 s8, s8, 8
	v_add_co_u32_e32 v10, vcc, 64, v10
	v_addc_co_u32_e32 v11, vcc, 0, v11, vcc
	s_addc_u32 s9, s9, 0
	v_cmp_lt_i64_e32 vcc, s[8:9], v[12:13]
	s_and_b64 vcc, exec, vcc
	s_waitcnt vmcnt(1)
	ds_write_b64 v16, v[22:23]
	s_waitcnt vmcnt(0)
	ds_write_b64 v17, v[24:25]
	s_waitcnt lgkmcnt(0)
	s_barrier
	ds_read_b128 v[22:25], v19
	ds_read_b128 v[26:29], v19 offset:16
	ds_read_b128 v[30:33], v19 offset:32
	ds_read_b128 v[34:37], v19 offset:48
	ds_read2_b64 v[38:41], v18 offset1:16
	ds_read2_b64 v[42:45], v18 offset0:32 offset1:48
	ds_read2_b64 v[46:49], v18 offset0:64 offset1:80
	ds_read_b128 v[50:53], v19 offset:1024
	ds_read_b128 v[54:57], v19 offset:1040
	ds_read2_b64 v[58:61], v18 offset0:96 offset1:112
	s_waitcnt lgkmcnt(5)
	v_fmac_f64_e32 v[6:7], v[38:39], v[22:23]
	v_fmac_f64_e32 v[4:5], v[40:41], v[22:23]
	s_waitcnt lgkmcnt(2)
	v_fmac_f64_e32 v[2:3], v[38:39], v[50:51]
	v_fmac_f64_e32 v[0:1], v[40:41], v[50:51]
	ds_read2_b64 v[38:41], v18 offset0:128 offset1:144
	v_fmac_f64_e32 v[6:7], v[42:43], v[24:25]
	v_fmac_f64_e32 v[4:5], v[44:45], v[24:25]
	ds_read2_b64 v[22:25], v18 offset0:160 offset1:176
	;; [unrolled: 3-line block ×3, first 2 shown]
	ds_read_b128 v[50:53], v19 offset:1056
	v_fmac_f64_e32 v[6:7], v[46:47], v[26:27]
	v_fmac_f64_e32 v[4:5], v[48:49], v[26:27]
	s_waitcnt lgkmcnt(5)
	v_fmac_f64_e32 v[2:3], v[46:47], v[54:55]
	v_fmac_f64_e32 v[0:1], v[48:49], v[54:55]
	ds_read_b128 v[46:49], v19 offset:1072
	s_waitcnt lgkmcnt(5)
	v_fmac_f64_e32 v[6:7], v[58:59], v[28:29]
	v_fmac_f64_e32 v[4:5], v[60:61], v[28:29]
	ds_read2_b64 v[26:29], v18 offset0:224 offset1:240
	v_fmac_f64_e32 v[2:3], v[58:59], v[56:57]
	v_fmac_f64_e32 v[0:1], v[60:61], v[56:57]
	s_waitcnt lgkmcnt(5)
	v_fmac_f64_e32 v[6:7], v[38:39], v[30:31]
	v_fmac_f64_e32 v[4:5], v[40:41], v[30:31]
	s_waitcnt lgkmcnt(2)
	v_fmac_f64_e32 v[2:3], v[38:39], v[50:51]
	v_fmac_f64_e32 v[0:1], v[40:41], v[50:51]
	;; [unrolled: 1-line block ×8, first 2 shown]
	s_waitcnt lgkmcnt(1)
	v_fmac_f64_e32 v[2:3], v[42:43], v[46:47]
	v_fmac_f64_e32 v[0:1], v[44:45], v[46:47]
	s_waitcnt lgkmcnt(0)
	v_fmac_f64_e32 v[6:7], v[26:27], v[36:37]
	v_fmac_f64_e32 v[4:5], v[28:29], v[36:37]
	v_fmac_f64_e32 v[2:3], v[26:27], v[48:49]
	v_fmac_f64_e32 v[0:1], v[28:29], v[48:49]
	s_barrier
	s_cbranch_vccnz .LBB218_2
	s_branch .LBB218_4
.LBB218_3:
	v_pk_mov_b32 v[6:7], 0, 0
	v_pk_mov_b32 v[4:5], 0, 0
	;; [unrolled: 1-line block ×4, first 2 shown]
.LBB218_4:
	v_mov_b32_e32 v8, s7
	v_add_co_u32_e32 v10, vcc, s6, v15
	v_addc_co_u32_e32 v13, vcc, 0, v8, vcc
	s_lshl_b64 s[8:9], s[48:49], 3
	v_mov_b32_e32 v9, s3
	v_add_co_u32_e32 v8, vcc, s2, v14
	s_waitcnt lgkmcnt(0)
	s_add_u32 s8, s4, s8
	v_cmp_neq_f64_e64 s[6:7], s[36:37], 0
	v_addc_co_u32_e32 v9, vcc, 0, v9, vcc
	s_addc_u32 s9, s5, s9
	s_mov_b64 s[4:5], 0
	s_and_b64 vcc, exec, s[6:7]
	v_mul_lo_u32 v11, v13, s46
	v_mul_lo_u32 v12, v10, s47
	v_lshlrev_b64 v[8:9], 3, v[8:9]
	s_cbranch_vccnz .LBB218_8
; %bb.5:
	v_mad_u64_u32 v[14:15], s[2:3], v10, s46, 0
	v_add3_u32 v15, v15, v12, v11
	v_lshlrev_b64 v[14:15], 3, v[14:15]
	v_mov_b32_e32 v16, s9
	v_add_co_u32_e32 v17, vcc, s8, v14
	v_addc_co_u32_e32 v18, vcc, v16, v15, vcc
	v_add_co_u32_e32 v16, vcc, v17, v8
	v_mul_f64 v[14:15], v[6:7], s[14:15]
	v_addc_co_u32_e32 v17, vcc, v18, v9, vcc
	global_store_dwordx2 v[16:17], v[14:15], off
	v_mul_f64 v[14:15], v[4:5], s[14:15]
	s_lshl_b64 s[2:3], s[46:47], 7
	global_store_dwordx2 v[16:17], v[14:15], off offset:128
	v_mov_b32_e32 v18, s3
	v_add_co_u32_e32 v16, vcc, s2, v16
	v_mul_f64 v[14:15], v[2:3], s[14:15]
	v_addc_co_u32_e32 v17, vcc, v17, v18, vcc
	global_store_dwordx2 v[16:17], v[14:15], off
	v_mul_f64 v[14:15], v[0:1], s[14:15]
	global_store_dwordx2 v[16:17], v[14:15], off offset:128
	s_andn2_b64 vcc, exec, s[4:5]
	s_cbranch_vccnz .LBB218_7
.LBB218_6:
	s_lshl_b64 s[2:3], s[42:43], 3
	s_add_u32 s2, s0, s2
	s_addc_u32 s3, s1, s3
	v_mul_lo_u32 v13, v13, s40
	v_mul_lo_u32 v16, v10, s41
	v_mad_u64_u32 v[14:15], s[0:1], v10, s40, 0
	v_add3_u32 v15, v15, v16, v13
	v_lshlrev_b64 v[14:15], 3, v[14:15]
	v_mov_b32_e32 v13, s3
	v_add_co_u32_e32 v14, vcc, s2, v14
	v_addc_co_u32_e32 v13, vcc, v13, v15, vcc
	v_add_co_u32_e32 v14, vcc, v14, v8
	v_addc_co_u32_e32 v15, vcc, v13, v9, vcc
	global_load_dwordx2 v[16:17], v[14:15], off
	v_mad_u64_u32 v[18:19], s[0:1], v10, s46, 0
	v_add3_u32 v19, v19, v12, v11
	v_lshlrev_b64 v[10:11], 3, v[18:19]
	v_mov_b32_e32 v13, s9
	v_add_co_u32_e32 v10, vcc, s8, v10
	v_addc_co_u32_e32 v11, vcc, v13, v11, vcc
	v_add_co_u32_e32 v8, vcc, v10, v8
	v_addc_co_u32_e32 v9, vcc, v11, v9, vcc
	s_lshl_b64 s[0:1], s[40:41], 7
	s_waitcnt vmcnt(0)
	v_mul_f64 v[10:11], v[16:17], s[36:37]
	v_fmac_f64_e32 v[10:11], s[14:15], v[6:7]
	global_store_dwordx2 v[8:9], v[10:11], off
	global_load_dwordx2 v[6:7], v[14:15], off offset:128
	v_mov_b32_e32 v11, s1
	v_add_co_u32_e32 v10, vcc, s0, v14
	v_addc_co_u32_e32 v11, vcc, v15, v11, vcc
	s_lshl_b64 s[0:1], s[46:47], 7
	s_waitcnt vmcnt(0)
	v_mul_f64 v[6:7], v[6:7], s[36:37]
	v_fmac_f64_e32 v[6:7], s[14:15], v[4:5]
	global_store_dwordx2 v[8:9], v[6:7], off offset:128
	global_load_dwordx2 v[4:5], v[10:11], off
	v_mov_b32_e32 v6, s1
	s_waitcnt vmcnt(0)
	v_mul_f64 v[4:5], v[4:5], s[36:37]
	v_fmac_f64_e32 v[4:5], s[14:15], v[2:3]
	v_add_co_u32_e32 v2, vcc, s0, v8
	v_addc_co_u32_e32 v3, vcc, v9, v6, vcc
	global_store_dwordx2 v[2:3], v[4:5], off
	global_load_dwordx2 v[4:5], v[10:11], off offset:128
	s_waitcnt vmcnt(0)
	v_mul_f64 v[4:5], v[4:5], s[36:37]
	v_fmac_f64_e32 v[4:5], s[14:15], v[0:1]
	global_store_dwordx2 v[2:3], v[4:5], off offset:128
.LBB218_7:
	s_endpgm
.LBB218_8:
	s_branch .LBB218_6
	.section	.rodata,"a",@progbits
	.p2align	6, 0x0
	.amdhsa_kernel _ZN12_GLOBAL__N_127rocblas_gemm_batched_kernelIdLi16ELi16ELi32ELi32ELi8ELi32ELi8ELi8ELi32ELc67ELc67EKPKdS3_KPdEEvlllT_PT11_llS8_llS6_PT12_llPT13_lli
		.amdhsa_group_segment_fixed_size 4096
		.amdhsa_private_segment_fixed_size 0
		.amdhsa_kernarg_size 140
		.amdhsa_user_sgpr_count 6
		.amdhsa_user_sgpr_private_segment_buffer 1
		.amdhsa_user_sgpr_dispatch_ptr 0
		.amdhsa_user_sgpr_queue_ptr 0
		.amdhsa_user_sgpr_kernarg_segment_ptr 1
		.amdhsa_user_sgpr_dispatch_id 0
		.amdhsa_user_sgpr_flat_scratch_init 0
		.amdhsa_user_sgpr_kernarg_preload_length 0
		.amdhsa_user_sgpr_kernarg_preload_offset 0
		.amdhsa_user_sgpr_private_segment_size 0
		.amdhsa_uses_dynamic_stack 0
		.amdhsa_system_sgpr_private_segment_wavefront_offset 0
		.amdhsa_system_sgpr_workgroup_id_x 1
		.amdhsa_system_sgpr_workgroup_id_y 1
		.amdhsa_system_sgpr_workgroup_id_z 1
		.amdhsa_system_sgpr_workgroup_info 0
		.amdhsa_system_vgpr_workitem_id 1
		.amdhsa_next_free_vgpr 62
		.amdhsa_next_free_sgpr 52
		.amdhsa_accum_offset 64
		.amdhsa_reserve_vcc 1
		.amdhsa_reserve_flat_scratch 0
		.amdhsa_float_round_mode_32 0
		.amdhsa_float_round_mode_16_64 0
		.amdhsa_float_denorm_mode_32 3
		.amdhsa_float_denorm_mode_16_64 3
		.amdhsa_dx10_clamp 1
		.amdhsa_ieee_mode 1
		.amdhsa_fp16_overflow 0
		.amdhsa_tg_split 0
		.amdhsa_exception_fp_ieee_invalid_op 0
		.amdhsa_exception_fp_denorm_src 0
		.amdhsa_exception_fp_ieee_div_zero 0
		.amdhsa_exception_fp_ieee_overflow 0
		.amdhsa_exception_fp_ieee_underflow 0
		.amdhsa_exception_fp_ieee_inexact 0
		.amdhsa_exception_int_div_zero 0
	.end_amdhsa_kernel
	.section	.text._ZN12_GLOBAL__N_127rocblas_gemm_batched_kernelIdLi16ELi16ELi32ELi32ELi8ELi32ELi8ELi8ELi32ELc67ELc67EKPKdS3_KPdEEvlllT_PT11_llS8_llS6_PT12_llPT13_lli,"axG",@progbits,_ZN12_GLOBAL__N_127rocblas_gemm_batched_kernelIdLi16ELi16ELi32ELi32ELi8ELi32ELi8ELi8ELi32ELc67ELc67EKPKdS3_KPdEEvlllT_PT11_llS8_llS6_PT12_llPT13_lli,comdat
.Lfunc_end218:
	.size	_ZN12_GLOBAL__N_127rocblas_gemm_batched_kernelIdLi16ELi16ELi32ELi32ELi8ELi32ELi8ELi8ELi32ELc67ELc67EKPKdS3_KPdEEvlllT_PT11_llS8_llS6_PT12_llPT13_lli, .Lfunc_end218-_ZN12_GLOBAL__N_127rocblas_gemm_batched_kernelIdLi16ELi16ELi32ELi32ELi8ELi32ELi8ELi8ELi32ELc67ELc67EKPKdS3_KPdEEvlllT_PT11_llS8_llS6_PT12_llPT13_lli
                                        ; -- End function
	.section	.AMDGPU.csdata,"",@progbits
; Kernel info:
; codeLenInByte = 1364
; NumSgprs: 56
; NumVgprs: 62
; NumAgprs: 0
; TotalNumVgprs: 62
; ScratchSize: 0
; MemoryBound: 0
; FloatMode: 240
; IeeeMode: 1
; LDSByteSize: 4096 bytes/workgroup (compile time only)
; SGPRBlocks: 6
; VGPRBlocks: 7
; NumSGPRsForWavesPerEU: 56
; NumVGPRsForWavesPerEU: 62
; AccumOffset: 64
; Occupancy: 8
; WaveLimiterHint : 1
; COMPUTE_PGM_RSRC2:SCRATCH_EN: 0
; COMPUTE_PGM_RSRC2:USER_SGPR: 6
; COMPUTE_PGM_RSRC2:TRAP_HANDLER: 0
; COMPUTE_PGM_RSRC2:TGID_X_EN: 1
; COMPUTE_PGM_RSRC2:TGID_Y_EN: 1
; COMPUTE_PGM_RSRC2:TGID_Z_EN: 1
; COMPUTE_PGM_RSRC2:TIDIG_COMP_CNT: 1
; COMPUTE_PGM_RSRC3_GFX90A:ACCUM_OFFSET: 15
; COMPUTE_PGM_RSRC3_GFX90A:TG_SPLIT: 0
	.section	.text._ZN12_GLOBAL__N_127rocblas_gemm_batched_kernelIdLi16ELi16ELi32ELi32ELi8ELi32ELi8ELi8ELi32ELc67ELc78EKPKdS3_KPdEEvlllT_PT11_llS8_llS6_PT12_llPT13_lli,"axG",@progbits,_ZN12_GLOBAL__N_127rocblas_gemm_batched_kernelIdLi16ELi16ELi32ELi32ELi8ELi32ELi8ELi8ELi32ELc67ELc78EKPKdS3_KPdEEvlllT_PT11_llS8_llS6_PT12_llPT13_lli,comdat
	.globl	_ZN12_GLOBAL__N_127rocblas_gemm_batched_kernelIdLi16ELi16ELi32ELi32ELi8ELi32ELi8ELi8ELi32ELc67ELc78EKPKdS3_KPdEEvlllT_PT11_llS8_llS6_PT12_llPT13_lli ; -- Begin function _ZN12_GLOBAL__N_127rocblas_gemm_batched_kernelIdLi16ELi16ELi32ELi32ELi8ELi32ELi8ELi8ELi32ELc67ELc78EKPKdS3_KPdEEvlllT_PT11_llS8_llS6_PT12_llPT13_lli
	.p2align	8
	.type	_ZN12_GLOBAL__N_127rocblas_gemm_batched_kernelIdLi16ELi16ELi32ELi32ELi8ELi32ELi8ELi8ELi32ELc67ELc78EKPKdS3_KPdEEvlllT_PT11_llS8_llS6_PT12_llPT13_lli,@function
_ZN12_GLOBAL__N_127rocblas_gemm_batched_kernelIdLi16ELi16ELi32ELi32ELi8ELi32ELi8ELi8ELi32ELc67ELc78EKPKdS3_KPdEEvlllT_PT11_llS8_llS6_PT12_llPT13_lli: ; @_ZN12_GLOBAL__N_127rocblas_gemm_batched_kernelIdLi16ELi16ELi32ELi32ELi8ELi32ELi8ELi8ELi32ELc67ELc78EKPKdS3_KPdEEvlllT_PT11_llS8_llS6_PT12_llPT13_lli
; %bb.0:
	s_load_dwordx16 s[12:27], s[4:5], 0x10
	s_load_dwordx8 s[44:51], s[4:5], 0x70
	s_load_dwordx8 s[36:43], s[4:5], 0x50
	s_mov_b32 s9, 0
	s_lshl_b64 s[10:11], s[8:9], 3
	s_mov_b32 s28, s7
	v_bfe_u32 v15, v0, 10, 10
	s_waitcnt lgkmcnt(0)
	s_add_u32 s0, s38, s10
	s_addc_u32 s1, s39, s11
	s_add_u32 s2, s44, s10
	s_addc_u32 s3, s45, s11
	s_load_dwordx2 s[0:1], s[0:1], 0x0
	s_ashr_i32 s7, s6, 31
	s_load_dwordx2 s[4:5], s[2:3], 0x0
	s_ashr_i32 s29, s28, 31
	s_lshl_b64 s[2:3], s[6:7], 5
	s_lshl_b64 s[6:7], s[28:29], 5
	v_cmp_lt_i64_e64 s[28:29], s[12:13], 1
	v_and_b32_e32 v14, 0x3ff, v0
	s_mov_b64 s[8:9], 0
	s_and_b64 vcc, exec, s[28:29]
	s_cbranch_vccnz .LBB219_3
; %bb.1:
	v_lshl_add_u32 v0, v15, 4, v14
	v_and_b32_e32 v4, 7, v14
	v_and_b32_e32 v5, 31, v0
	s_add_u32 s16, s16, s10
	v_lshrrev_b32_e32 v1, 3, v0
	v_lshrrev_b32_e32 v6, 5, v0
	v_lshlrev_b32_e32 v0, 3, v5
	v_lshlrev_b32_e32 v4, 3, v4
	s_addc_u32 s17, s17, s11
	v_mov_b32_e32 v2, s7
	v_add_co_u32_e32 v3, vcc, s6, v1
	v_lshl_or_b32 v16, v6, 8, v0
	v_lshl_or_b32 v0, v1, 6, v4
	s_add_u32 s10, s22, s10
	v_addc_co_u32_e32 v2, vcc, 0, v2, vcc
	v_add_u32_e32 v17, 0x800, v0
	v_mov_b32_e32 v0, 0x800
	s_addc_u32 s11, s23, s11
	v_lshl_add_u32 v19, v15, 6, v0
	v_mul_lo_u32 v7, s25, v3
	v_mul_lo_u32 v2, s24, v2
	v_mad_u64_u32 v[0:1], s[22:23], s24, v3, 0
	v_add3_u32 v1, v1, v2, v7
	s_load_dwordx2 s[10:11], s[10:11], 0x0
	v_lshlrev_b64 v[0:1], 3, v[0:1]
	s_lshl_b64 s[22:23], s[26:27], 3
	v_mov_b32_e32 v2, s23
	v_add_co_u32_e32 v0, vcc, s22, v0
	v_addc_co_u32_e32 v1, vcc, v1, v2, vcc
	v_add_co_u32_e32 v0, vcc, v0, v4
	v_addc_co_u32_e32 v1, vcc, 0, v1, vcc
	s_waitcnt lgkmcnt(0)
	v_mov_b32_e32 v2, s11
	v_add_co_u32_e32 v8, vcc, s10, v0
	v_addc_co_u32_e32 v9, vcc, v2, v1, vcc
	v_mov_b32_e32 v0, s3
	v_add_co_u32_e32 v1, vcc, s2, v5
	v_addc_co_u32_e32 v0, vcc, 0, v0, vcc
	v_mul_lo_u32 v2, s19, v1
	v_mul_lo_u32 v3, s18, v0
	v_mad_u64_u32 v[0:1], s[10:11], s18, v1, 0
	v_add3_u32 v1, v1, v3, v2
	s_load_dwordx2 s[16:17], s[16:17], 0x0
	v_lshlrev_b64 v[0:1], 3, v[0:1]
	s_lshl_b64 s[10:11], s[20:21], 3
	v_mov_b32_e32 v2, s11
	v_add_co_u32_e32 v0, vcc, s10, v0
	v_addc_co_u32_e32 v1, vcc, v1, v2, vcc
	v_lshlrev_b32_e32 v2, 3, v6
	v_add_co_u32_e32 v0, vcc, v0, v2
	v_addc_co_u32_e32 v1, vcc, 0, v1, vcc
	s_waitcnt lgkmcnt(0)
	v_mov_b32_e32 v2, s17
	v_add_co_u32_e32 v10, vcc, s16, v0
	v_lshlrev_b32_e32 v18, 3, v14
	v_addc_co_u32_e32 v11, vcc, v2, v1, vcc
	v_pk_mov_b32 v[0:1], 0, 0
	v_pk_mov_b32 v[12:13], s[12:13], s[12:13] op_sel:[0,1]
	v_pk_mov_b32 v[2:3], 0, 0
	v_pk_mov_b32 v[4:5], 0, 0
	;; [unrolled: 1-line block ×3, first 2 shown]
.LBB219_2:                              ; =>This Inner Loop Header: Depth=1
	global_load_dwordx2 v[20:21], v[10:11], off
	global_load_dwordx2 v[22:23], v[8:9], off
	v_add_co_u32_e32 v8, vcc, 64, v8
	v_addc_co_u32_e32 v9, vcc, 0, v9, vcc
	s_add_u32 s8, s8, 8
	v_add_co_u32_e32 v10, vcc, 64, v10
	v_addc_co_u32_e32 v11, vcc, 0, v11, vcc
	s_addc_u32 s9, s9, 0
	v_cmp_lt_i64_e32 vcc, s[8:9], v[12:13]
	s_and_b64 vcc, exec, vcc
	s_waitcnt vmcnt(1)
	ds_write_b64 v16, v[20:21]
	s_waitcnt vmcnt(0)
	ds_write_b64 v17, v[22:23]
	s_waitcnt lgkmcnt(0)
	s_barrier
	ds_read_b128 v[20:23], v19
	ds_read_b128 v[24:27], v19 offset:16
	ds_read_b128 v[28:31], v19 offset:32
	;; [unrolled: 1-line block ×3, first 2 shown]
	ds_read2_b64 v[36:39], v18 offset1:16
	ds_read2_b64 v[40:43], v18 offset0:32 offset1:48
	ds_read2_b64 v[44:47], v18 offset0:64 offset1:80
	ds_read_b128 v[48:51], v19 offset:1024
	ds_read_b128 v[52:55], v19 offset:1040
	ds_read2_b64 v[56:59], v18 offset0:96 offset1:112
	s_waitcnt lgkmcnt(5)
	v_fmac_f64_e32 v[6:7], v[36:37], v[20:21]
	v_fmac_f64_e32 v[4:5], v[38:39], v[20:21]
	s_waitcnt lgkmcnt(2)
	v_fmac_f64_e32 v[2:3], v[36:37], v[48:49]
	v_fmac_f64_e32 v[0:1], v[38:39], v[48:49]
	ds_read2_b64 v[36:39], v18 offset0:128 offset1:144
	v_fmac_f64_e32 v[6:7], v[40:41], v[22:23]
	v_fmac_f64_e32 v[4:5], v[42:43], v[22:23]
	ds_read2_b64 v[20:23], v18 offset0:160 offset1:176
	;; [unrolled: 3-line block ×3, first 2 shown]
	ds_read_b128 v[48:51], v19 offset:1056
	v_fmac_f64_e32 v[6:7], v[44:45], v[24:25]
	v_fmac_f64_e32 v[4:5], v[46:47], v[24:25]
	s_waitcnt lgkmcnt(5)
	v_fmac_f64_e32 v[2:3], v[44:45], v[52:53]
	v_fmac_f64_e32 v[0:1], v[46:47], v[52:53]
	ds_read_b128 v[44:47], v19 offset:1072
	s_waitcnt lgkmcnt(5)
	v_fmac_f64_e32 v[6:7], v[56:57], v[26:27]
	v_fmac_f64_e32 v[4:5], v[58:59], v[26:27]
	ds_read2_b64 v[24:27], v18 offset0:224 offset1:240
	v_fmac_f64_e32 v[2:3], v[56:57], v[54:55]
	v_fmac_f64_e32 v[0:1], v[58:59], v[54:55]
	s_waitcnt lgkmcnt(5)
	v_fmac_f64_e32 v[6:7], v[36:37], v[28:29]
	v_fmac_f64_e32 v[4:5], v[38:39], v[28:29]
	s_waitcnt lgkmcnt(2)
	v_fmac_f64_e32 v[2:3], v[36:37], v[48:49]
	v_fmac_f64_e32 v[0:1], v[38:39], v[48:49]
	;; [unrolled: 1-line block ×8, first 2 shown]
	s_waitcnt lgkmcnt(1)
	v_fmac_f64_e32 v[2:3], v[40:41], v[44:45]
	v_fmac_f64_e32 v[0:1], v[42:43], v[44:45]
	s_waitcnt lgkmcnt(0)
	v_fmac_f64_e32 v[6:7], v[24:25], v[34:35]
	v_fmac_f64_e32 v[4:5], v[26:27], v[34:35]
	;; [unrolled: 1-line block ×4, first 2 shown]
	s_barrier
	s_cbranch_vccnz .LBB219_2
	s_branch .LBB219_4
.LBB219_3:
	v_pk_mov_b32 v[6:7], 0, 0
	v_pk_mov_b32 v[4:5], 0, 0
	;; [unrolled: 1-line block ×4, first 2 shown]
.LBB219_4:
	v_mov_b32_e32 v8, s7
	v_add_co_u32_e32 v10, vcc, s6, v15
	v_addc_co_u32_e32 v13, vcc, 0, v8, vcc
	s_lshl_b64 s[8:9], s[48:49], 3
	v_mov_b32_e32 v9, s3
	v_add_co_u32_e32 v8, vcc, s2, v14
	s_waitcnt lgkmcnt(0)
	s_add_u32 s8, s4, s8
	v_cmp_neq_f64_e64 s[6:7], s[36:37], 0
	v_addc_co_u32_e32 v9, vcc, 0, v9, vcc
	s_addc_u32 s9, s5, s9
	s_mov_b64 s[4:5], 0
	s_and_b64 vcc, exec, s[6:7]
	v_mul_lo_u32 v11, v13, s46
	v_mul_lo_u32 v12, v10, s47
	v_lshlrev_b64 v[8:9], 3, v[8:9]
	s_cbranch_vccnz .LBB219_8
; %bb.5:
	v_mad_u64_u32 v[14:15], s[2:3], v10, s46, 0
	v_add3_u32 v15, v15, v12, v11
	v_lshlrev_b64 v[14:15], 3, v[14:15]
	v_mov_b32_e32 v16, s9
	v_add_co_u32_e32 v17, vcc, s8, v14
	v_addc_co_u32_e32 v18, vcc, v16, v15, vcc
	v_add_co_u32_e32 v16, vcc, v17, v8
	v_mul_f64 v[14:15], v[6:7], s[14:15]
	v_addc_co_u32_e32 v17, vcc, v18, v9, vcc
	global_store_dwordx2 v[16:17], v[14:15], off
	v_mul_f64 v[14:15], v[4:5], s[14:15]
	s_lshl_b64 s[2:3], s[46:47], 7
	global_store_dwordx2 v[16:17], v[14:15], off offset:128
	v_mov_b32_e32 v18, s3
	v_add_co_u32_e32 v16, vcc, s2, v16
	v_mul_f64 v[14:15], v[2:3], s[14:15]
	v_addc_co_u32_e32 v17, vcc, v17, v18, vcc
	global_store_dwordx2 v[16:17], v[14:15], off
	v_mul_f64 v[14:15], v[0:1], s[14:15]
	global_store_dwordx2 v[16:17], v[14:15], off offset:128
	s_andn2_b64 vcc, exec, s[4:5]
	s_cbranch_vccnz .LBB219_7
.LBB219_6:
	s_lshl_b64 s[2:3], s[42:43], 3
	s_add_u32 s2, s0, s2
	s_addc_u32 s3, s1, s3
	v_mul_lo_u32 v13, v13, s40
	v_mul_lo_u32 v16, v10, s41
	v_mad_u64_u32 v[14:15], s[0:1], v10, s40, 0
	v_add3_u32 v15, v15, v16, v13
	v_lshlrev_b64 v[14:15], 3, v[14:15]
	v_mov_b32_e32 v13, s3
	v_add_co_u32_e32 v14, vcc, s2, v14
	v_addc_co_u32_e32 v13, vcc, v13, v15, vcc
	v_add_co_u32_e32 v14, vcc, v14, v8
	v_addc_co_u32_e32 v15, vcc, v13, v9, vcc
	global_load_dwordx2 v[16:17], v[14:15], off
	v_mad_u64_u32 v[18:19], s[0:1], v10, s46, 0
	v_add3_u32 v19, v19, v12, v11
	v_lshlrev_b64 v[10:11], 3, v[18:19]
	v_mov_b32_e32 v13, s9
	v_add_co_u32_e32 v10, vcc, s8, v10
	v_addc_co_u32_e32 v11, vcc, v13, v11, vcc
	v_add_co_u32_e32 v8, vcc, v10, v8
	v_addc_co_u32_e32 v9, vcc, v11, v9, vcc
	s_lshl_b64 s[0:1], s[40:41], 7
	s_waitcnt vmcnt(0)
	v_mul_f64 v[10:11], v[16:17], s[36:37]
	v_fmac_f64_e32 v[10:11], s[14:15], v[6:7]
	global_store_dwordx2 v[8:9], v[10:11], off
	global_load_dwordx2 v[6:7], v[14:15], off offset:128
	v_mov_b32_e32 v11, s1
	v_add_co_u32_e32 v10, vcc, s0, v14
	v_addc_co_u32_e32 v11, vcc, v15, v11, vcc
	s_lshl_b64 s[0:1], s[46:47], 7
	s_waitcnt vmcnt(0)
	v_mul_f64 v[6:7], v[6:7], s[36:37]
	v_fmac_f64_e32 v[6:7], s[14:15], v[4:5]
	global_store_dwordx2 v[8:9], v[6:7], off offset:128
	global_load_dwordx2 v[4:5], v[10:11], off
	v_mov_b32_e32 v6, s1
	s_waitcnt vmcnt(0)
	v_mul_f64 v[4:5], v[4:5], s[36:37]
	v_fmac_f64_e32 v[4:5], s[14:15], v[2:3]
	v_add_co_u32_e32 v2, vcc, s0, v8
	v_addc_co_u32_e32 v3, vcc, v9, v6, vcc
	global_store_dwordx2 v[2:3], v[4:5], off
	global_load_dwordx2 v[4:5], v[10:11], off offset:128
	s_waitcnt vmcnt(0)
	v_mul_f64 v[4:5], v[4:5], s[36:37]
	v_fmac_f64_e32 v[4:5], s[14:15], v[0:1]
	global_store_dwordx2 v[2:3], v[4:5], off offset:128
.LBB219_7:
	s_endpgm
.LBB219_8:
	s_branch .LBB219_6
	.section	.rodata,"a",@progbits
	.p2align	6, 0x0
	.amdhsa_kernel _ZN12_GLOBAL__N_127rocblas_gemm_batched_kernelIdLi16ELi16ELi32ELi32ELi8ELi32ELi8ELi8ELi32ELc67ELc78EKPKdS3_KPdEEvlllT_PT11_llS8_llS6_PT12_llPT13_lli
		.amdhsa_group_segment_fixed_size 4096
		.amdhsa_private_segment_fixed_size 0
		.amdhsa_kernarg_size 140
		.amdhsa_user_sgpr_count 6
		.amdhsa_user_sgpr_private_segment_buffer 1
		.amdhsa_user_sgpr_dispatch_ptr 0
		.amdhsa_user_sgpr_queue_ptr 0
		.amdhsa_user_sgpr_kernarg_segment_ptr 1
		.amdhsa_user_sgpr_dispatch_id 0
		.amdhsa_user_sgpr_flat_scratch_init 0
		.amdhsa_user_sgpr_kernarg_preload_length 0
		.amdhsa_user_sgpr_kernarg_preload_offset 0
		.amdhsa_user_sgpr_private_segment_size 0
		.amdhsa_uses_dynamic_stack 0
		.amdhsa_system_sgpr_private_segment_wavefront_offset 0
		.amdhsa_system_sgpr_workgroup_id_x 1
		.amdhsa_system_sgpr_workgroup_id_y 1
		.amdhsa_system_sgpr_workgroup_id_z 1
		.amdhsa_system_sgpr_workgroup_info 0
		.amdhsa_system_vgpr_workitem_id 1
		.amdhsa_next_free_vgpr 60
		.amdhsa_next_free_sgpr 52
		.amdhsa_accum_offset 60
		.amdhsa_reserve_vcc 1
		.amdhsa_reserve_flat_scratch 0
		.amdhsa_float_round_mode_32 0
		.amdhsa_float_round_mode_16_64 0
		.amdhsa_float_denorm_mode_32 3
		.amdhsa_float_denorm_mode_16_64 3
		.amdhsa_dx10_clamp 1
		.amdhsa_ieee_mode 1
		.amdhsa_fp16_overflow 0
		.amdhsa_tg_split 0
		.amdhsa_exception_fp_ieee_invalid_op 0
		.amdhsa_exception_fp_denorm_src 0
		.amdhsa_exception_fp_ieee_div_zero 0
		.amdhsa_exception_fp_ieee_overflow 0
		.amdhsa_exception_fp_ieee_underflow 0
		.amdhsa_exception_fp_ieee_inexact 0
		.amdhsa_exception_int_div_zero 0
	.end_amdhsa_kernel
	.section	.text._ZN12_GLOBAL__N_127rocblas_gemm_batched_kernelIdLi16ELi16ELi32ELi32ELi8ELi32ELi8ELi8ELi32ELc67ELc78EKPKdS3_KPdEEvlllT_PT11_llS8_llS6_PT12_llPT13_lli,"axG",@progbits,_ZN12_GLOBAL__N_127rocblas_gemm_batched_kernelIdLi16ELi16ELi32ELi32ELi8ELi32ELi8ELi8ELi32ELc67ELc78EKPKdS3_KPdEEvlllT_PT11_llS8_llS6_PT12_llPT13_lli,comdat
.Lfunc_end219:
	.size	_ZN12_GLOBAL__N_127rocblas_gemm_batched_kernelIdLi16ELi16ELi32ELi32ELi8ELi32ELi8ELi8ELi32ELc67ELc78EKPKdS3_KPdEEvlllT_PT11_llS8_llS6_PT12_llPT13_lli, .Lfunc_end219-_ZN12_GLOBAL__N_127rocblas_gemm_batched_kernelIdLi16ELi16ELi32ELi32ELi8ELi32ELi8ELi8ELi32ELc67ELc78EKPKdS3_KPdEEvlllT_PT11_llS8_llS6_PT12_llPT13_lli
                                        ; -- End function
	.section	.AMDGPU.csdata,"",@progbits
; Kernel info:
; codeLenInByte = 1372
; NumSgprs: 56
; NumVgprs: 60
; NumAgprs: 0
; TotalNumVgprs: 60
; ScratchSize: 0
; MemoryBound: 0
; FloatMode: 240
; IeeeMode: 1
; LDSByteSize: 4096 bytes/workgroup (compile time only)
; SGPRBlocks: 6
; VGPRBlocks: 7
; NumSGPRsForWavesPerEU: 56
; NumVGPRsForWavesPerEU: 60
; AccumOffset: 60
; Occupancy: 8
; WaveLimiterHint : 1
; COMPUTE_PGM_RSRC2:SCRATCH_EN: 0
; COMPUTE_PGM_RSRC2:USER_SGPR: 6
; COMPUTE_PGM_RSRC2:TRAP_HANDLER: 0
; COMPUTE_PGM_RSRC2:TGID_X_EN: 1
; COMPUTE_PGM_RSRC2:TGID_Y_EN: 1
; COMPUTE_PGM_RSRC2:TGID_Z_EN: 1
; COMPUTE_PGM_RSRC2:TIDIG_COMP_CNT: 1
; COMPUTE_PGM_RSRC3_GFX90A:ACCUM_OFFSET: 14
; COMPUTE_PGM_RSRC3_GFX90A:TG_SPLIT: 0
	.section	.text._ZN12_GLOBAL__N_127rocblas_gemm_batched_kernelIdLi16ELi16ELi32ELi32ELi8ELi32ELi8ELi8ELi32ELc67ELc84EKPKdS3_KPdEEvlllT_PT11_llS8_llS6_PT12_llPT13_lli,"axG",@progbits,_ZN12_GLOBAL__N_127rocblas_gemm_batched_kernelIdLi16ELi16ELi32ELi32ELi8ELi32ELi8ELi8ELi32ELc67ELc84EKPKdS3_KPdEEvlllT_PT11_llS8_llS6_PT12_llPT13_lli,comdat
	.globl	_ZN12_GLOBAL__N_127rocblas_gemm_batched_kernelIdLi16ELi16ELi32ELi32ELi8ELi32ELi8ELi8ELi32ELc67ELc84EKPKdS3_KPdEEvlllT_PT11_llS8_llS6_PT12_llPT13_lli ; -- Begin function _ZN12_GLOBAL__N_127rocblas_gemm_batched_kernelIdLi16ELi16ELi32ELi32ELi8ELi32ELi8ELi8ELi32ELc67ELc84EKPKdS3_KPdEEvlllT_PT11_llS8_llS6_PT12_llPT13_lli
	.p2align	8
	.type	_ZN12_GLOBAL__N_127rocblas_gemm_batched_kernelIdLi16ELi16ELi32ELi32ELi8ELi32ELi8ELi8ELi32ELc67ELc84EKPKdS3_KPdEEvlllT_PT11_llS8_llS6_PT12_llPT13_lli,@function
_ZN12_GLOBAL__N_127rocblas_gemm_batched_kernelIdLi16ELi16ELi32ELi32ELi8ELi32ELi8ELi8ELi32ELc67ELc84EKPKdS3_KPdEEvlllT_PT11_llS8_llS6_PT12_llPT13_lli: ; @_ZN12_GLOBAL__N_127rocblas_gemm_batched_kernelIdLi16ELi16ELi32ELi32ELi8ELi32ELi8ELi8ELi32ELc67ELc84EKPKdS3_KPdEEvlllT_PT11_llS8_llS6_PT12_llPT13_lli
; %bb.0:
	s_load_dwordx16 s[12:27], s[4:5], 0x10
	s_load_dwordx8 s[44:51], s[4:5], 0x70
	s_load_dwordx8 s[36:43], s[4:5], 0x50
	s_mov_b32 s9, 0
	s_lshl_b64 s[10:11], s[8:9], 3
	s_mov_b32 s28, s7
	v_bfe_u32 v15, v0, 10, 10
	s_waitcnt lgkmcnt(0)
	s_add_u32 s0, s38, s10
	s_addc_u32 s1, s39, s11
	s_add_u32 s2, s44, s10
	s_addc_u32 s3, s45, s11
	s_load_dwordx2 s[0:1], s[0:1], 0x0
	s_ashr_i32 s7, s6, 31
	s_load_dwordx2 s[4:5], s[2:3], 0x0
	s_ashr_i32 s29, s28, 31
	s_lshl_b64 s[2:3], s[6:7], 5
	s_lshl_b64 s[6:7], s[28:29], 5
	v_cmp_lt_i64_e64 s[28:29], s[12:13], 1
	v_and_b32_e32 v14, 0x3ff, v0
	s_mov_b64 s[8:9], 0
	s_and_b64 vcc, exec, s[28:29]
	s_cbranch_vccnz .LBB220_3
; %bb.1:
	s_add_u32 s16, s16, s10
	v_lshl_add_u32 v2, v15, 4, v14
	s_addc_u32 s17, s17, s11
	v_and_b32_e32 v4, 31, v2
	s_add_u32 s10, s22, s10
	v_lshrrev_b32_e32 v0, 3, v2
	v_and_b32_e32 v3, 7, v14
	v_lshrrev_b32_e32 v5, 5, v2
	v_lshlrev_b32_e32 v2, 3, v4
	s_addc_u32 s11, s23, s11
	v_lshl_or_b32 v16, v5, 8, v2
	v_lshlrev_b32_e32 v2, 3, v3
	s_load_dwordx2 s[10:11], s[10:11], 0x0
	v_mov_b32_e32 v1, 0
	v_lshl_or_b32 v2, v0, 6, v2
	v_add_u32_e32 v17, 0x800, v2
	v_mov_b32_e32 v2, 0x800
	s_lshl_b64 s[22:23], s[26:27], 3
	v_mad_u64_u32 v[0:1], s[26:27], v3, s24, v[0:1]
	v_lshl_add_u32 v19, v15, 6, v2
	v_mov_b32_e32 v2, v1
	v_mad_u64_u32 v[2:3], s[26:27], v3, s25, v[2:3]
	v_mov_b32_e32 v1, v2
	v_mov_b32_e32 v2, s7
	v_add_co_u32_e32 v0, vcc, s6, v0
	v_addc_co_u32_e32 v1, vcc, v1, v2, vcc
	s_waitcnt lgkmcnt(0)
	s_add_u32 s10, s10, s22
	v_lshlrev_b64 v[0:1], 3, v[0:1]
	s_addc_u32 s11, s11, s23
	v_mov_b32_e32 v2, s11
	v_add_co_u32_e32 v8, vcc, s10, v0
	v_addc_co_u32_e32 v9, vcc, v2, v1, vcc
	v_mov_b32_e32 v0, s3
	v_add_co_u32_e32 v1, vcc, s2, v4
	v_addc_co_u32_e32 v0, vcc, 0, v0, vcc
	v_mul_lo_u32 v2, s19, v1
	v_mul_lo_u32 v3, s18, v0
	v_mad_u64_u32 v[0:1], s[18:19], s18, v1, 0
	v_add3_u32 v1, v1, v3, v2
	s_load_dwordx2 s[16:17], s[16:17], 0x0
	v_lshlrev_b64 v[0:1], 3, v[0:1]
	s_lshl_b64 s[18:19], s[20:21], 3
	v_mov_b32_e32 v2, s19
	v_add_co_u32_e32 v0, vcc, s18, v0
	v_addc_co_u32_e32 v1, vcc, v1, v2, vcc
	v_lshlrev_b32_e32 v2, 3, v5
	v_add_co_u32_e32 v0, vcc, v0, v2
	v_addc_co_u32_e32 v1, vcc, 0, v1, vcc
	s_lshl_b64 s[10:11], s[24:25], 6
	s_waitcnt lgkmcnt(0)
	v_mov_b32_e32 v2, s17
	v_add_co_u32_e32 v10, vcc, s16, v0
	v_lshlrev_b32_e32 v18, 3, v14
	v_addc_co_u32_e32 v11, vcc, v2, v1, vcc
	v_pk_mov_b32 v[0:1], 0, 0
	v_mov_b32_e32 v20, s11
	v_pk_mov_b32 v[12:13], s[12:13], s[12:13] op_sel:[0,1]
	v_pk_mov_b32 v[2:3], 0, 0
	v_pk_mov_b32 v[4:5], 0, 0
	v_pk_mov_b32 v[6:7], 0, 0
.LBB220_2:                              ; =>This Inner Loop Header: Depth=1
	global_load_dwordx2 v[22:23], v[10:11], off
	global_load_dwordx2 v[24:25], v[8:9], off
	v_add_co_u32_e32 v8, vcc, s10, v8
	v_addc_co_u32_e32 v9, vcc, v9, v20, vcc
	s_add_u32 s8, s8, 8
	v_add_co_u32_e32 v10, vcc, 64, v10
	v_addc_co_u32_e32 v11, vcc, 0, v11, vcc
	s_addc_u32 s9, s9, 0
	v_cmp_lt_i64_e32 vcc, s[8:9], v[12:13]
	s_and_b64 vcc, exec, vcc
	s_waitcnt vmcnt(1)
	ds_write_b64 v16, v[22:23]
	s_waitcnt vmcnt(0)
	ds_write_b64 v17, v[24:25]
	s_waitcnt lgkmcnt(0)
	s_barrier
	ds_read_b128 v[22:25], v19
	ds_read_b128 v[26:29], v19 offset:16
	ds_read_b128 v[30:33], v19 offset:32
	;; [unrolled: 1-line block ×3, first 2 shown]
	ds_read2_b64 v[38:41], v18 offset1:16
	ds_read2_b64 v[42:45], v18 offset0:32 offset1:48
	ds_read2_b64 v[46:49], v18 offset0:64 offset1:80
	ds_read_b128 v[50:53], v19 offset:1024
	ds_read_b128 v[54:57], v19 offset:1040
	ds_read2_b64 v[58:61], v18 offset0:96 offset1:112
	s_waitcnt lgkmcnt(5)
	v_fmac_f64_e32 v[6:7], v[38:39], v[22:23]
	v_fmac_f64_e32 v[4:5], v[40:41], v[22:23]
	s_waitcnt lgkmcnt(2)
	v_fmac_f64_e32 v[2:3], v[38:39], v[50:51]
	v_fmac_f64_e32 v[0:1], v[40:41], v[50:51]
	ds_read2_b64 v[38:41], v18 offset0:128 offset1:144
	v_fmac_f64_e32 v[6:7], v[42:43], v[24:25]
	v_fmac_f64_e32 v[4:5], v[44:45], v[24:25]
	ds_read2_b64 v[22:25], v18 offset0:160 offset1:176
	;; [unrolled: 3-line block ×3, first 2 shown]
	ds_read_b128 v[50:53], v19 offset:1056
	v_fmac_f64_e32 v[6:7], v[46:47], v[26:27]
	v_fmac_f64_e32 v[4:5], v[48:49], v[26:27]
	s_waitcnt lgkmcnt(5)
	v_fmac_f64_e32 v[2:3], v[46:47], v[54:55]
	v_fmac_f64_e32 v[0:1], v[48:49], v[54:55]
	ds_read_b128 v[46:49], v19 offset:1072
	s_waitcnt lgkmcnt(5)
	v_fmac_f64_e32 v[6:7], v[58:59], v[28:29]
	v_fmac_f64_e32 v[4:5], v[60:61], v[28:29]
	ds_read2_b64 v[26:29], v18 offset0:224 offset1:240
	v_fmac_f64_e32 v[2:3], v[58:59], v[56:57]
	v_fmac_f64_e32 v[0:1], v[60:61], v[56:57]
	s_waitcnt lgkmcnt(5)
	v_fmac_f64_e32 v[6:7], v[38:39], v[30:31]
	v_fmac_f64_e32 v[4:5], v[40:41], v[30:31]
	s_waitcnt lgkmcnt(2)
	v_fmac_f64_e32 v[2:3], v[38:39], v[50:51]
	v_fmac_f64_e32 v[0:1], v[40:41], v[50:51]
	;; [unrolled: 1-line block ×8, first 2 shown]
	s_waitcnt lgkmcnt(1)
	v_fmac_f64_e32 v[2:3], v[42:43], v[46:47]
	v_fmac_f64_e32 v[0:1], v[44:45], v[46:47]
	s_waitcnt lgkmcnt(0)
	v_fmac_f64_e32 v[6:7], v[26:27], v[36:37]
	v_fmac_f64_e32 v[4:5], v[28:29], v[36:37]
	;; [unrolled: 1-line block ×4, first 2 shown]
	s_barrier
	s_cbranch_vccnz .LBB220_2
	s_branch .LBB220_4
.LBB220_3:
	v_pk_mov_b32 v[6:7], 0, 0
	v_pk_mov_b32 v[4:5], 0, 0
	;; [unrolled: 1-line block ×4, first 2 shown]
.LBB220_4:
	v_mov_b32_e32 v8, s7
	v_add_co_u32_e32 v10, vcc, s6, v15
	v_addc_co_u32_e32 v13, vcc, 0, v8, vcc
	s_lshl_b64 s[8:9], s[48:49], 3
	v_mov_b32_e32 v9, s3
	v_add_co_u32_e32 v8, vcc, s2, v14
	s_waitcnt lgkmcnt(0)
	s_add_u32 s8, s4, s8
	v_cmp_neq_f64_e64 s[6:7], s[36:37], 0
	v_addc_co_u32_e32 v9, vcc, 0, v9, vcc
	s_addc_u32 s9, s5, s9
	s_mov_b64 s[4:5], 0
	s_and_b64 vcc, exec, s[6:7]
	v_mul_lo_u32 v11, v13, s46
	v_mul_lo_u32 v12, v10, s47
	v_lshlrev_b64 v[8:9], 3, v[8:9]
	s_cbranch_vccnz .LBB220_8
; %bb.5:
	v_mad_u64_u32 v[14:15], s[2:3], v10, s46, 0
	v_add3_u32 v15, v15, v12, v11
	v_lshlrev_b64 v[14:15], 3, v[14:15]
	v_mov_b32_e32 v16, s9
	v_add_co_u32_e32 v17, vcc, s8, v14
	v_addc_co_u32_e32 v18, vcc, v16, v15, vcc
	v_add_co_u32_e32 v16, vcc, v17, v8
	v_mul_f64 v[14:15], v[6:7], s[14:15]
	v_addc_co_u32_e32 v17, vcc, v18, v9, vcc
	global_store_dwordx2 v[16:17], v[14:15], off
	v_mul_f64 v[14:15], v[4:5], s[14:15]
	s_lshl_b64 s[2:3], s[46:47], 7
	global_store_dwordx2 v[16:17], v[14:15], off offset:128
	v_mov_b32_e32 v18, s3
	v_add_co_u32_e32 v16, vcc, s2, v16
	v_mul_f64 v[14:15], v[2:3], s[14:15]
	v_addc_co_u32_e32 v17, vcc, v17, v18, vcc
	global_store_dwordx2 v[16:17], v[14:15], off
	v_mul_f64 v[14:15], v[0:1], s[14:15]
	global_store_dwordx2 v[16:17], v[14:15], off offset:128
	s_andn2_b64 vcc, exec, s[4:5]
	s_cbranch_vccnz .LBB220_7
.LBB220_6:
	s_lshl_b64 s[2:3], s[42:43], 3
	s_add_u32 s2, s0, s2
	s_addc_u32 s3, s1, s3
	v_mul_lo_u32 v13, v13, s40
	v_mul_lo_u32 v16, v10, s41
	v_mad_u64_u32 v[14:15], s[0:1], v10, s40, 0
	v_add3_u32 v15, v15, v16, v13
	v_lshlrev_b64 v[14:15], 3, v[14:15]
	v_mov_b32_e32 v13, s3
	v_add_co_u32_e32 v14, vcc, s2, v14
	v_addc_co_u32_e32 v13, vcc, v13, v15, vcc
	v_add_co_u32_e32 v14, vcc, v14, v8
	v_addc_co_u32_e32 v15, vcc, v13, v9, vcc
	global_load_dwordx2 v[16:17], v[14:15], off
	v_mad_u64_u32 v[18:19], s[0:1], v10, s46, 0
	v_add3_u32 v19, v19, v12, v11
	v_lshlrev_b64 v[10:11], 3, v[18:19]
	v_mov_b32_e32 v13, s9
	v_add_co_u32_e32 v10, vcc, s8, v10
	v_addc_co_u32_e32 v11, vcc, v13, v11, vcc
	v_add_co_u32_e32 v8, vcc, v10, v8
	v_addc_co_u32_e32 v9, vcc, v11, v9, vcc
	s_lshl_b64 s[0:1], s[40:41], 7
	s_waitcnt vmcnt(0)
	v_mul_f64 v[10:11], v[16:17], s[36:37]
	v_fmac_f64_e32 v[10:11], s[14:15], v[6:7]
	global_store_dwordx2 v[8:9], v[10:11], off
	global_load_dwordx2 v[6:7], v[14:15], off offset:128
	v_mov_b32_e32 v11, s1
	v_add_co_u32_e32 v10, vcc, s0, v14
	v_addc_co_u32_e32 v11, vcc, v15, v11, vcc
	s_lshl_b64 s[0:1], s[46:47], 7
	s_waitcnt vmcnt(0)
	v_mul_f64 v[6:7], v[6:7], s[36:37]
	v_fmac_f64_e32 v[6:7], s[14:15], v[4:5]
	global_store_dwordx2 v[8:9], v[6:7], off offset:128
	global_load_dwordx2 v[4:5], v[10:11], off
	v_mov_b32_e32 v6, s1
	s_waitcnt vmcnt(0)
	v_mul_f64 v[4:5], v[4:5], s[36:37]
	v_fmac_f64_e32 v[4:5], s[14:15], v[2:3]
	v_add_co_u32_e32 v2, vcc, s0, v8
	v_addc_co_u32_e32 v3, vcc, v9, v6, vcc
	global_store_dwordx2 v[2:3], v[4:5], off
	global_load_dwordx2 v[4:5], v[10:11], off offset:128
	s_waitcnt vmcnt(0)
	v_mul_f64 v[4:5], v[4:5], s[36:37]
	v_fmac_f64_e32 v[4:5], s[14:15], v[0:1]
	global_store_dwordx2 v[2:3], v[4:5], off offset:128
.LBB220_7:
	s_endpgm
.LBB220_8:
	s_branch .LBB220_6
	.section	.rodata,"a",@progbits
	.p2align	6, 0x0
	.amdhsa_kernel _ZN12_GLOBAL__N_127rocblas_gemm_batched_kernelIdLi16ELi16ELi32ELi32ELi8ELi32ELi8ELi8ELi32ELc67ELc84EKPKdS3_KPdEEvlllT_PT11_llS8_llS6_PT12_llPT13_lli
		.amdhsa_group_segment_fixed_size 4096
		.amdhsa_private_segment_fixed_size 0
		.amdhsa_kernarg_size 140
		.amdhsa_user_sgpr_count 6
		.amdhsa_user_sgpr_private_segment_buffer 1
		.amdhsa_user_sgpr_dispatch_ptr 0
		.amdhsa_user_sgpr_queue_ptr 0
		.amdhsa_user_sgpr_kernarg_segment_ptr 1
		.amdhsa_user_sgpr_dispatch_id 0
		.amdhsa_user_sgpr_flat_scratch_init 0
		.amdhsa_user_sgpr_kernarg_preload_length 0
		.amdhsa_user_sgpr_kernarg_preload_offset 0
		.amdhsa_user_sgpr_private_segment_size 0
		.amdhsa_uses_dynamic_stack 0
		.amdhsa_system_sgpr_private_segment_wavefront_offset 0
		.amdhsa_system_sgpr_workgroup_id_x 1
		.amdhsa_system_sgpr_workgroup_id_y 1
		.amdhsa_system_sgpr_workgroup_id_z 1
		.amdhsa_system_sgpr_workgroup_info 0
		.amdhsa_system_vgpr_workitem_id 1
		.amdhsa_next_free_vgpr 62
		.amdhsa_next_free_sgpr 52
		.amdhsa_accum_offset 64
		.amdhsa_reserve_vcc 1
		.amdhsa_reserve_flat_scratch 0
		.amdhsa_float_round_mode_32 0
		.amdhsa_float_round_mode_16_64 0
		.amdhsa_float_denorm_mode_32 3
		.amdhsa_float_denorm_mode_16_64 3
		.amdhsa_dx10_clamp 1
		.amdhsa_ieee_mode 1
		.amdhsa_fp16_overflow 0
		.amdhsa_tg_split 0
		.amdhsa_exception_fp_ieee_invalid_op 0
		.amdhsa_exception_fp_denorm_src 0
		.amdhsa_exception_fp_ieee_div_zero 0
		.amdhsa_exception_fp_ieee_overflow 0
		.amdhsa_exception_fp_ieee_underflow 0
		.amdhsa_exception_fp_ieee_inexact 0
		.amdhsa_exception_int_div_zero 0
	.end_amdhsa_kernel
	.section	.text._ZN12_GLOBAL__N_127rocblas_gemm_batched_kernelIdLi16ELi16ELi32ELi32ELi8ELi32ELi8ELi8ELi32ELc67ELc84EKPKdS3_KPdEEvlllT_PT11_llS8_llS6_PT12_llPT13_lli,"axG",@progbits,_ZN12_GLOBAL__N_127rocblas_gemm_batched_kernelIdLi16ELi16ELi32ELi32ELi8ELi32ELi8ELi8ELi32ELc67ELc84EKPKdS3_KPdEEvlllT_PT11_llS8_llS6_PT12_llPT13_lli,comdat
.Lfunc_end220:
	.size	_ZN12_GLOBAL__N_127rocblas_gemm_batched_kernelIdLi16ELi16ELi32ELi32ELi8ELi32ELi8ELi8ELi32ELc67ELc84EKPKdS3_KPdEEvlllT_PT11_llS8_llS6_PT12_llPT13_lli, .Lfunc_end220-_ZN12_GLOBAL__N_127rocblas_gemm_batched_kernelIdLi16ELi16ELi32ELi32ELi8ELi32ELi8ELi8ELi32ELc67ELc84EKPKdS3_KPdEEvlllT_PT11_llS8_llS6_PT12_llPT13_lli
                                        ; -- End function
	.section	.AMDGPU.csdata,"",@progbits
; Kernel info:
; codeLenInByte = 1364
; NumSgprs: 56
; NumVgprs: 62
; NumAgprs: 0
; TotalNumVgprs: 62
; ScratchSize: 0
; MemoryBound: 0
; FloatMode: 240
; IeeeMode: 1
; LDSByteSize: 4096 bytes/workgroup (compile time only)
; SGPRBlocks: 6
; VGPRBlocks: 7
; NumSGPRsForWavesPerEU: 56
; NumVGPRsForWavesPerEU: 62
; AccumOffset: 64
; Occupancy: 8
; WaveLimiterHint : 1
; COMPUTE_PGM_RSRC2:SCRATCH_EN: 0
; COMPUTE_PGM_RSRC2:USER_SGPR: 6
; COMPUTE_PGM_RSRC2:TRAP_HANDLER: 0
; COMPUTE_PGM_RSRC2:TGID_X_EN: 1
; COMPUTE_PGM_RSRC2:TGID_Y_EN: 1
; COMPUTE_PGM_RSRC2:TGID_Z_EN: 1
; COMPUTE_PGM_RSRC2:TIDIG_COMP_CNT: 1
; COMPUTE_PGM_RSRC3_GFX90A:ACCUM_OFFSET: 15
; COMPUTE_PGM_RSRC3_GFX90A:TG_SPLIT: 0
	.section	.text._ZN12_GLOBAL__N_127rocblas_gemm_batched_kernelIdLi16ELi16ELi32ELi32ELi8ELi32ELi8ELi8ELi32ELc78ELc67EKPKdS3_KPdEEvlllT_PT11_llS8_llS6_PT12_llPT13_lli,"axG",@progbits,_ZN12_GLOBAL__N_127rocblas_gemm_batched_kernelIdLi16ELi16ELi32ELi32ELi8ELi32ELi8ELi8ELi32ELc78ELc67EKPKdS3_KPdEEvlllT_PT11_llS8_llS6_PT12_llPT13_lli,comdat
	.globl	_ZN12_GLOBAL__N_127rocblas_gemm_batched_kernelIdLi16ELi16ELi32ELi32ELi8ELi32ELi8ELi8ELi32ELc78ELc67EKPKdS3_KPdEEvlllT_PT11_llS8_llS6_PT12_llPT13_lli ; -- Begin function _ZN12_GLOBAL__N_127rocblas_gemm_batched_kernelIdLi16ELi16ELi32ELi32ELi8ELi32ELi8ELi8ELi32ELc78ELc67EKPKdS3_KPdEEvlllT_PT11_llS8_llS6_PT12_llPT13_lli
	.p2align	8
	.type	_ZN12_GLOBAL__N_127rocblas_gemm_batched_kernelIdLi16ELi16ELi32ELi32ELi8ELi32ELi8ELi8ELi32ELc78ELc67EKPKdS3_KPdEEvlllT_PT11_llS8_llS6_PT12_llPT13_lli,@function
_ZN12_GLOBAL__N_127rocblas_gemm_batched_kernelIdLi16ELi16ELi32ELi32ELi8ELi32ELi8ELi8ELi32ELc78ELc67EKPKdS3_KPdEEvlllT_PT11_llS8_llS6_PT12_llPT13_lli: ; @_ZN12_GLOBAL__N_127rocblas_gemm_batched_kernelIdLi16ELi16ELi32ELi32ELi8ELi32ELi8ELi8ELi32ELc78ELc67EKPKdS3_KPdEEvlllT_PT11_llS8_llS6_PT12_llPT13_lli
; %bb.0:
	s_load_dwordx16 s[12:27], s[4:5], 0x10
	s_load_dwordx8 s[44:51], s[4:5], 0x70
	s_load_dwordx8 s[36:43], s[4:5], 0x50
	s_mov_b32 s9, 0
	s_lshl_b64 s[10:11], s[8:9], 3
	s_mov_b32 s28, s7
	v_bfe_u32 v15, v0, 10, 10
	s_waitcnt lgkmcnt(0)
	s_add_u32 s0, s38, s10
	s_addc_u32 s1, s39, s11
	s_add_u32 s2, s44, s10
	s_addc_u32 s3, s45, s11
	s_load_dwordx2 s[0:1], s[0:1], 0x0
	s_ashr_i32 s7, s6, 31
	s_load_dwordx2 s[4:5], s[2:3], 0x0
	s_ashr_i32 s29, s28, 31
	s_lshl_b64 s[2:3], s[6:7], 5
	s_lshl_b64 s[6:7], s[28:29], 5
	v_cmp_lt_i64_e64 s[28:29], s[12:13], 1
	v_and_b32_e32 v14, 0x3ff, v0
	s_mov_b64 s[8:9], 0
	s_and_b64 vcc, exec, s[28:29]
	s_cbranch_vccnz .LBB221_3
; %bb.1:
	s_add_u32 s16, s16, s10
	v_lshl_add_u32 v2, v15, 4, v14
	s_addc_u32 s17, s17, s11
	v_and_b32_e32 v4, 31, v2
	s_add_u32 s10, s22, s10
	v_lshrrev_b32_e32 v0, 3, v2
	v_and_b32_e32 v3, 7, v14
	v_lshrrev_b32_e32 v5, 5, v2
	v_lshlrev_b32_e32 v2, 3, v4
	s_addc_u32 s11, s23, s11
	v_lshl_or_b32 v16, v5, 8, v2
	v_lshlrev_b32_e32 v2, 3, v3
	s_load_dwordx2 s[10:11], s[10:11], 0x0
	v_mov_b32_e32 v1, 0
	v_lshl_or_b32 v2, v0, 6, v2
	v_add_u32_e32 v17, 0x800, v2
	v_mov_b32_e32 v2, 0x800
	s_lshl_b64 s[22:23], s[26:27], 3
	v_mad_u64_u32 v[0:1], s[26:27], v3, s24, v[0:1]
	v_lshl_add_u32 v19, v15, 6, v2
	v_mov_b32_e32 v2, v1
	v_mad_u64_u32 v[2:3], s[26:27], v3, s25, v[2:3]
	v_mov_b32_e32 v1, v2
	v_mov_b32_e32 v2, s7
	v_add_co_u32_e32 v0, vcc, s6, v0
	v_addc_co_u32_e32 v1, vcc, v1, v2, vcc
	s_waitcnt lgkmcnt(0)
	s_add_u32 s10, s10, s22
	v_lshlrev_b64 v[0:1], 3, v[0:1]
	s_addc_u32 s11, s11, s23
	v_mov_b32_e32 v2, s11
	v_add_co_u32_e32 v8, vcc, s10, v0
	s_load_dwordx2 s[16:17], s[16:17], 0x0
	v_addc_co_u32_e32 v9, vcc, v2, v1, vcc
	v_pk_mov_b32 v[0:1], s[2:3], s[2:3] op_sel:[0,1]
	v_mad_u64_u32 v[0:1], s[22:23], v5, s18, v[0:1]
	v_mov_b32_e32 v2, v1
	v_mad_u64_u32 v[2:3], s[22:23], v5, s19, v[2:3]
	s_lshl_b64 s[10:11], s[24:25], 6
	s_lshl_b64 s[20:21], s[20:21], 3
	v_mov_b32_e32 v1, v2
	v_add_co_u32_e32 v0, vcc, v0, v4
	v_addc_co_u32_e32 v1, vcc, 0, v1, vcc
	s_waitcnt lgkmcnt(0)
	s_add_u32 s16, s16, s20
	v_lshlrev_b64 v[0:1], 3, v[0:1]
	s_addc_u32 s17, s17, s21
	v_mov_b32_e32 v2, s17
	v_add_co_u32_e32 v10, vcc, s16, v0
	s_lshl_b64 s[16:17], s[18:19], 6
	v_lshlrev_b32_e32 v18, 3, v14
	v_addc_co_u32_e32 v11, vcc, v2, v1, vcc
	v_pk_mov_b32 v[0:1], 0, 0
	v_mov_b32_e32 v20, s11
	v_mov_b32_e32 v21, s17
	v_pk_mov_b32 v[12:13], s[12:13], s[12:13] op_sel:[0,1]
	v_pk_mov_b32 v[2:3], 0, 0
	v_pk_mov_b32 v[4:5], 0, 0
	;; [unrolled: 1-line block ×3, first 2 shown]
.LBB221_2:                              ; =>This Inner Loop Header: Depth=1
	global_load_dwordx2 v[22:23], v[10:11], off
	global_load_dwordx2 v[24:25], v[8:9], off
	v_add_co_u32_e32 v8, vcc, s10, v8
	v_addc_co_u32_e32 v9, vcc, v9, v20, vcc
	s_add_u32 s8, s8, 8
	v_add_co_u32_e32 v10, vcc, s16, v10
	v_addc_co_u32_e32 v11, vcc, v11, v21, vcc
	s_addc_u32 s9, s9, 0
	v_cmp_lt_i64_e32 vcc, s[8:9], v[12:13]
	s_and_b64 vcc, exec, vcc
	s_waitcnt vmcnt(1)
	ds_write_b64 v16, v[22:23]
	s_waitcnt vmcnt(0)
	ds_write_b64 v17, v[24:25]
	s_waitcnt lgkmcnt(0)
	s_barrier
	ds_read_b128 v[22:25], v19
	ds_read_b128 v[26:29], v19 offset:16
	ds_read_b128 v[30:33], v19 offset:32
	;; [unrolled: 1-line block ×3, first 2 shown]
	ds_read2_b64 v[38:41], v18 offset1:16
	ds_read2_b64 v[42:45], v18 offset0:32 offset1:48
	ds_read2_b64 v[46:49], v18 offset0:64 offset1:80
	ds_read_b128 v[50:53], v19 offset:1024
	ds_read_b128 v[54:57], v19 offset:1040
	ds_read2_b64 v[58:61], v18 offset0:96 offset1:112
	s_waitcnt lgkmcnt(5)
	v_fmac_f64_e32 v[6:7], v[38:39], v[22:23]
	v_fmac_f64_e32 v[4:5], v[40:41], v[22:23]
	s_waitcnt lgkmcnt(2)
	v_fmac_f64_e32 v[2:3], v[38:39], v[50:51]
	v_fmac_f64_e32 v[0:1], v[40:41], v[50:51]
	ds_read2_b64 v[38:41], v18 offset0:128 offset1:144
	v_fmac_f64_e32 v[6:7], v[42:43], v[24:25]
	v_fmac_f64_e32 v[4:5], v[44:45], v[24:25]
	ds_read2_b64 v[22:25], v18 offset0:160 offset1:176
	;; [unrolled: 3-line block ×3, first 2 shown]
	ds_read_b128 v[50:53], v19 offset:1056
	v_fmac_f64_e32 v[6:7], v[46:47], v[26:27]
	v_fmac_f64_e32 v[4:5], v[48:49], v[26:27]
	s_waitcnt lgkmcnt(5)
	v_fmac_f64_e32 v[2:3], v[46:47], v[54:55]
	v_fmac_f64_e32 v[0:1], v[48:49], v[54:55]
	ds_read_b128 v[46:49], v19 offset:1072
	s_waitcnt lgkmcnt(5)
	v_fmac_f64_e32 v[6:7], v[58:59], v[28:29]
	v_fmac_f64_e32 v[4:5], v[60:61], v[28:29]
	ds_read2_b64 v[26:29], v18 offset0:224 offset1:240
	v_fmac_f64_e32 v[2:3], v[58:59], v[56:57]
	v_fmac_f64_e32 v[0:1], v[60:61], v[56:57]
	s_waitcnt lgkmcnt(5)
	v_fmac_f64_e32 v[6:7], v[38:39], v[30:31]
	v_fmac_f64_e32 v[4:5], v[40:41], v[30:31]
	s_waitcnt lgkmcnt(2)
	v_fmac_f64_e32 v[2:3], v[38:39], v[50:51]
	v_fmac_f64_e32 v[0:1], v[40:41], v[50:51]
	;; [unrolled: 1-line block ×8, first 2 shown]
	s_waitcnt lgkmcnt(1)
	v_fmac_f64_e32 v[2:3], v[42:43], v[46:47]
	v_fmac_f64_e32 v[0:1], v[44:45], v[46:47]
	s_waitcnt lgkmcnt(0)
	v_fmac_f64_e32 v[6:7], v[26:27], v[36:37]
	v_fmac_f64_e32 v[4:5], v[28:29], v[36:37]
	;; [unrolled: 1-line block ×4, first 2 shown]
	s_barrier
	s_cbranch_vccnz .LBB221_2
	s_branch .LBB221_4
.LBB221_3:
	v_pk_mov_b32 v[6:7], 0, 0
	v_pk_mov_b32 v[4:5], 0, 0
	;; [unrolled: 1-line block ×4, first 2 shown]
.LBB221_4:
	v_mov_b32_e32 v8, s7
	v_add_co_u32_e32 v10, vcc, s6, v15
	v_addc_co_u32_e32 v13, vcc, 0, v8, vcc
	s_lshl_b64 s[8:9], s[48:49], 3
	v_mov_b32_e32 v9, s3
	v_add_co_u32_e32 v8, vcc, s2, v14
	s_waitcnt lgkmcnt(0)
	s_add_u32 s8, s4, s8
	v_cmp_neq_f64_e64 s[6:7], s[36:37], 0
	v_addc_co_u32_e32 v9, vcc, 0, v9, vcc
	s_addc_u32 s9, s5, s9
	s_mov_b64 s[4:5], 0
	s_and_b64 vcc, exec, s[6:7]
	v_mul_lo_u32 v11, v13, s46
	v_mul_lo_u32 v12, v10, s47
	v_lshlrev_b64 v[8:9], 3, v[8:9]
	s_cbranch_vccnz .LBB221_8
; %bb.5:
	v_mad_u64_u32 v[14:15], s[2:3], v10, s46, 0
	v_add3_u32 v15, v15, v12, v11
	v_lshlrev_b64 v[14:15], 3, v[14:15]
	v_mov_b32_e32 v16, s9
	v_add_co_u32_e32 v17, vcc, s8, v14
	v_addc_co_u32_e32 v18, vcc, v16, v15, vcc
	v_add_co_u32_e32 v16, vcc, v17, v8
	v_mul_f64 v[14:15], v[6:7], s[14:15]
	v_addc_co_u32_e32 v17, vcc, v18, v9, vcc
	global_store_dwordx2 v[16:17], v[14:15], off
	v_mul_f64 v[14:15], v[4:5], s[14:15]
	s_lshl_b64 s[2:3], s[46:47], 7
	global_store_dwordx2 v[16:17], v[14:15], off offset:128
	v_mov_b32_e32 v18, s3
	v_add_co_u32_e32 v16, vcc, s2, v16
	v_mul_f64 v[14:15], v[2:3], s[14:15]
	v_addc_co_u32_e32 v17, vcc, v17, v18, vcc
	global_store_dwordx2 v[16:17], v[14:15], off
	v_mul_f64 v[14:15], v[0:1], s[14:15]
	global_store_dwordx2 v[16:17], v[14:15], off offset:128
	s_andn2_b64 vcc, exec, s[4:5]
	s_cbranch_vccnz .LBB221_7
.LBB221_6:
	s_lshl_b64 s[2:3], s[42:43], 3
	s_add_u32 s2, s0, s2
	s_addc_u32 s3, s1, s3
	v_mul_lo_u32 v13, v13, s40
	v_mul_lo_u32 v16, v10, s41
	v_mad_u64_u32 v[14:15], s[0:1], v10, s40, 0
	v_add3_u32 v15, v15, v16, v13
	v_lshlrev_b64 v[14:15], 3, v[14:15]
	v_mov_b32_e32 v13, s3
	v_add_co_u32_e32 v14, vcc, s2, v14
	v_addc_co_u32_e32 v13, vcc, v13, v15, vcc
	v_add_co_u32_e32 v14, vcc, v14, v8
	v_addc_co_u32_e32 v15, vcc, v13, v9, vcc
	global_load_dwordx2 v[16:17], v[14:15], off
	v_mad_u64_u32 v[18:19], s[0:1], v10, s46, 0
	v_add3_u32 v19, v19, v12, v11
	v_lshlrev_b64 v[10:11], 3, v[18:19]
	v_mov_b32_e32 v13, s9
	v_add_co_u32_e32 v10, vcc, s8, v10
	v_addc_co_u32_e32 v11, vcc, v13, v11, vcc
	v_add_co_u32_e32 v8, vcc, v10, v8
	v_addc_co_u32_e32 v9, vcc, v11, v9, vcc
	s_lshl_b64 s[0:1], s[40:41], 7
	s_waitcnt vmcnt(0)
	v_mul_f64 v[10:11], v[16:17], s[36:37]
	v_fmac_f64_e32 v[10:11], s[14:15], v[6:7]
	global_store_dwordx2 v[8:9], v[10:11], off
	global_load_dwordx2 v[6:7], v[14:15], off offset:128
	v_mov_b32_e32 v11, s1
	v_add_co_u32_e32 v10, vcc, s0, v14
	v_addc_co_u32_e32 v11, vcc, v15, v11, vcc
	s_lshl_b64 s[0:1], s[46:47], 7
	s_waitcnt vmcnt(0)
	v_mul_f64 v[6:7], v[6:7], s[36:37]
	v_fmac_f64_e32 v[6:7], s[14:15], v[4:5]
	global_store_dwordx2 v[8:9], v[6:7], off offset:128
	global_load_dwordx2 v[4:5], v[10:11], off
	v_mov_b32_e32 v6, s1
	s_waitcnt vmcnt(0)
	v_mul_f64 v[4:5], v[4:5], s[36:37]
	v_fmac_f64_e32 v[4:5], s[14:15], v[2:3]
	v_add_co_u32_e32 v2, vcc, s0, v8
	v_addc_co_u32_e32 v3, vcc, v9, v6, vcc
	global_store_dwordx2 v[2:3], v[4:5], off
	global_load_dwordx2 v[4:5], v[10:11], off offset:128
	s_waitcnt vmcnt(0)
	v_mul_f64 v[4:5], v[4:5], s[36:37]
	v_fmac_f64_e32 v[4:5], s[14:15], v[0:1]
	global_store_dwordx2 v[2:3], v[4:5], off offset:128
.LBB221_7:
	s_endpgm
.LBB221_8:
	s_branch .LBB221_6
	.section	.rodata,"a",@progbits
	.p2align	6, 0x0
	.amdhsa_kernel _ZN12_GLOBAL__N_127rocblas_gemm_batched_kernelIdLi16ELi16ELi32ELi32ELi8ELi32ELi8ELi8ELi32ELc78ELc67EKPKdS3_KPdEEvlllT_PT11_llS8_llS6_PT12_llPT13_lli
		.amdhsa_group_segment_fixed_size 4096
		.amdhsa_private_segment_fixed_size 0
		.amdhsa_kernarg_size 140
		.amdhsa_user_sgpr_count 6
		.amdhsa_user_sgpr_private_segment_buffer 1
		.amdhsa_user_sgpr_dispatch_ptr 0
		.amdhsa_user_sgpr_queue_ptr 0
		.amdhsa_user_sgpr_kernarg_segment_ptr 1
		.amdhsa_user_sgpr_dispatch_id 0
		.amdhsa_user_sgpr_flat_scratch_init 0
		.amdhsa_user_sgpr_kernarg_preload_length 0
		.amdhsa_user_sgpr_kernarg_preload_offset 0
		.amdhsa_user_sgpr_private_segment_size 0
		.amdhsa_uses_dynamic_stack 0
		.amdhsa_system_sgpr_private_segment_wavefront_offset 0
		.amdhsa_system_sgpr_workgroup_id_x 1
		.amdhsa_system_sgpr_workgroup_id_y 1
		.amdhsa_system_sgpr_workgroup_id_z 1
		.amdhsa_system_sgpr_workgroup_info 0
		.amdhsa_system_vgpr_workitem_id 1
		.amdhsa_next_free_vgpr 62
		.amdhsa_next_free_sgpr 52
		.amdhsa_accum_offset 64
		.amdhsa_reserve_vcc 1
		.amdhsa_reserve_flat_scratch 0
		.amdhsa_float_round_mode_32 0
		.amdhsa_float_round_mode_16_64 0
		.amdhsa_float_denorm_mode_32 3
		.amdhsa_float_denorm_mode_16_64 3
		.amdhsa_dx10_clamp 1
		.amdhsa_ieee_mode 1
		.amdhsa_fp16_overflow 0
		.amdhsa_tg_split 0
		.amdhsa_exception_fp_ieee_invalid_op 0
		.amdhsa_exception_fp_denorm_src 0
		.amdhsa_exception_fp_ieee_div_zero 0
		.amdhsa_exception_fp_ieee_overflow 0
		.amdhsa_exception_fp_ieee_underflow 0
		.amdhsa_exception_fp_ieee_inexact 0
		.amdhsa_exception_int_div_zero 0
	.end_amdhsa_kernel
	.section	.text._ZN12_GLOBAL__N_127rocblas_gemm_batched_kernelIdLi16ELi16ELi32ELi32ELi8ELi32ELi8ELi8ELi32ELc78ELc67EKPKdS3_KPdEEvlllT_PT11_llS8_llS6_PT12_llPT13_lli,"axG",@progbits,_ZN12_GLOBAL__N_127rocblas_gemm_batched_kernelIdLi16ELi16ELi32ELi32ELi8ELi32ELi8ELi8ELi32ELc78ELc67EKPKdS3_KPdEEvlllT_PT11_llS8_llS6_PT12_llPT13_lli,comdat
.Lfunc_end221:
	.size	_ZN12_GLOBAL__N_127rocblas_gemm_batched_kernelIdLi16ELi16ELi32ELi32ELi8ELi32ELi8ELi8ELi32ELc78ELc67EKPKdS3_KPdEEvlllT_PT11_llS8_llS6_PT12_llPT13_lli, .Lfunc_end221-_ZN12_GLOBAL__N_127rocblas_gemm_batched_kernelIdLi16ELi16ELi32ELi32ELi8ELi32ELi8ELi8ELi32ELc78ELc67EKPKdS3_KPdEEvlllT_PT11_llS8_llS6_PT12_llPT13_lli
                                        ; -- End function
	.section	.AMDGPU.csdata,"",@progbits
; Kernel info:
; codeLenInByte = 1352
; NumSgprs: 56
; NumVgprs: 62
; NumAgprs: 0
; TotalNumVgprs: 62
; ScratchSize: 0
; MemoryBound: 0
; FloatMode: 240
; IeeeMode: 1
; LDSByteSize: 4096 bytes/workgroup (compile time only)
; SGPRBlocks: 6
; VGPRBlocks: 7
; NumSGPRsForWavesPerEU: 56
; NumVGPRsForWavesPerEU: 62
; AccumOffset: 64
; Occupancy: 8
; WaveLimiterHint : 1
; COMPUTE_PGM_RSRC2:SCRATCH_EN: 0
; COMPUTE_PGM_RSRC2:USER_SGPR: 6
; COMPUTE_PGM_RSRC2:TRAP_HANDLER: 0
; COMPUTE_PGM_RSRC2:TGID_X_EN: 1
; COMPUTE_PGM_RSRC2:TGID_Y_EN: 1
; COMPUTE_PGM_RSRC2:TGID_Z_EN: 1
; COMPUTE_PGM_RSRC2:TIDIG_COMP_CNT: 1
; COMPUTE_PGM_RSRC3_GFX90A:ACCUM_OFFSET: 15
; COMPUTE_PGM_RSRC3_GFX90A:TG_SPLIT: 0
	.section	.text._ZN12_GLOBAL__N_127rocblas_gemm_batched_kernelIdLi16ELi16ELi32ELi32ELi8ELi32ELi8ELi8ELi32ELc84ELc67EKPKdS3_KPdEEvlllT_PT11_llS8_llS6_PT12_llPT13_lli,"axG",@progbits,_ZN12_GLOBAL__N_127rocblas_gemm_batched_kernelIdLi16ELi16ELi32ELi32ELi8ELi32ELi8ELi8ELi32ELc84ELc67EKPKdS3_KPdEEvlllT_PT11_llS8_llS6_PT12_llPT13_lli,comdat
	.globl	_ZN12_GLOBAL__N_127rocblas_gemm_batched_kernelIdLi16ELi16ELi32ELi32ELi8ELi32ELi8ELi8ELi32ELc84ELc67EKPKdS3_KPdEEvlllT_PT11_llS8_llS6_PT12_llPT13_lli ; -- Begin function _ZN12_GLOBAL__N_127rocblas_gemm_batched_kernelIdLi16ELi16ELi32ELi32ELi8ELi32ELi8ELi8ELi32ELc84ELc67EKPKdS3_KPdEEvlllT_PT11_llS8_llS6_PT12_llPT13_lli
	.p2align	8
	.type	_ZN12_GLOBAL__N_127rocblas_gemm_batched_kernelIdLi16ELi16ELi32ELi32ELi8ELi32ELi8ELi8ELi32ELc84ELc67EKPKdS3_KPdEEvlllT_PT11_llS8_llS6_PT12_llPT13_lli,@function
_ZN12_GLOBAL__N_127rocblas_gemm_batched_kernelIdLi16ELi16ELi32ELi32ELi8ELi32ELi8ELi8ELi32ELc84ELc67EKPKdS3_KPdEEvlllT_PT11_llS8_llS6_PT12_llPT13_lli: ; @_ZN12_GLOBAL__N_127rocblas_gemm_batched_kernelIdLi16ELi16ELi32ELi32ELi8ELi32ELi8ELi8ELi32ELc84ELc67EKPKdS3_KPdEEvlllT_PT11_llS8_llS6_PT12_llPT13_lli
; %bb.0:
	s_load_dwordx16 s[12:27], s[4:5], 0x10
	s_load_dwordx8 s[44:51], s[4:5], 0x70
	s_load_dwordx8 s[36:43], s[4:5], 0x50
	s_mov_b32 s9, 0
	s_lshl_b64 s[10:11], s[8:9], 3
	s_mov_b32 s28, s7
	v_bfe_u32 v15, v0, 10, 10
	s_waitcnt lgkmcnt(0)
	s_add_u32 s0, s38, s10
	s_addc_u32 s1, s39, s11
	s_add_u32 s2, s44, s10
	s_addc_u32 s3, s45, s11
	s_load_dwordx2 s[0:1], s[0:1], 0x0
	s_ashr_i32 s7, s6, 31
	s_load_dwordx2 s[4:5], s[2:3], 0x0
	s_ashr_i32 s29, s28, 31
	s_lshl_b64 s[2:3], s[6:7], 5
	s_lshl_b64 s[6:7], s[28:29], 5
	v_cmp_lt_i64_e64 s[28:29], s[12:13], 1
	v_and_b32_e32 v14, 0x3ff, v0
	s_mov_b64 s[8:9], 0
	s_and_b64 vcc, exec, s[28:29]
	s_cbranch_vccnz .LBB222_3
; %bb.1:
	s_add_u32 s16, s16, s10
	v_lshl_add_u32 v2, v15, 4, v14
	s_addc_u32 s17, s17, s11
	v_and_b32_e32 v4, 31, v2
	s_add_u32 s10, s22, s10
	v_lshrrev_b32_e32 v0, 3, v2
	v_and_b32_e32 v3, 7, v14
	v_lshrrev_b32_e32 v5, 5, v2
	v_lshlrev_b32_e32 v2, 3, v4
	s_addc_u32 s11, s23, s11
	v_lshl_or_b32 v16, v5, 8, v2
	v_lshlrev_b32_e32 v2, 3, v3
	s_load_dwordx2 s[10:11], s[10:11], 0x0
	v_mov_b32_e32 v1, 0
	v_lshl_or_b32 v2, v0, 6, v2
	v_add_u32_e32 v17, 0x800, v2
	v_mov_b32_e32 v2, 0x800
	s_lshl_b64 s[22:23], s[26:27], 3
	v_mad_u64_u32 v[0:1], s[26:27], v3, s24, v[0:1]
	v_lshl_add_u32 v19, v15, 6, v2
	v_mov_b32_e32 v2, v1
	v_mad_u64_u32 v[2:3], s[26:27], v3, s25, v[2:3]
	v_mov_b32_e32 v1, v2
	v_mov_b32_e32 v2, s7
	v_add_co_u32_e32 v0, vcc, s6, v0
	v_addc_co_u32_e32 v1, vcc, v1, v2, vcc
	s_waitcnt lgkmcnt(0)
	s_add_u32 s10, s10, s22
	v_lshlrev_b64 v[0:1], 3, v[0:1]
	s_addc_u32 s11, s11, s23
	v_mov_b32_e32 v2, s11
	v_add_co_u32_e32 v8, vcc, s10, v0
	v_addc_co_u32_e32 v9, vcc, v2, v1, vcc
	v_mov_b32_e32 v0, s3
	v_add_co_u32_e32 v1, vcc, s2, v4
	v_addc_co_u32_e32 v0, vcc, 0, v0, vcc
	v_mul_lo_u32 v2, s19, v1
	v_mul_lo_u32 v3, s18, v0
	v_mad_u64_u32 v[0:1], s[18:19], s18, v1, 0
	v_add3_u32 v1, v1, v3, v2
	s_load_dwordx2 s[16:17], s[16:17], 0x0
	v_lshlrev_b64 v[0:1], 3, v[0:1]
	s_lshl_b64 s[18:19], s[20:21], 3
	v_mov_b32_e32 v2, s19
	v_add_co_u32_e32 v0, vcc, s18, v0
	v_addc_co_u32_e32 v1, vcc, v1, v2, vcc
	v_lshlrev_b32_e32 v2, 3, v5
	v_add_co_u32_e32 v0, vcc, v0, v2
	v_addc_co_u32_e32 v1, vcc, 0, v1, vcc
	s_lshl_b64 s[10:11], s[24:25], 6
	s_waitcnt lgkmcnt(0)
	v_mov_b32_e32 v2, s17
	v_add_co_u32_e32 v10, vcc, s16, v0
	v_lshlrev_b32_e32 v18, 3, v14
	v_addc_co_u32_e32 v11, vcc, v2, v1, vcc
	v_pk_mov_b32 v[0:1], 0, 0
	v_mov_b32_e32 v20, s11
	v_pk_mov_b32 v[12:13], s[12:13], s[12:13] op_sel:[0,1]
	v_pk_mov_b32 v[2:3], 0, 0
	v_pk_mov_b32 v[4:5], 0, 0
	;; [unrolled: 1-line block ×3, first 2 shown]
.LBB222_2:                              ; =>This Inner Loop Header: Depth=1
	global_load_dwordx2 v[22:23], v[10:11], off
	global_load_dwordx2 v[24:25], v[8:9], off
	v_add_co_u32_e32 v8, vcc, s10, v8
	v_addc_co_u32_e32 v9, vcc, v9, v20, vcc
	s_add_u32 s8, s8, 8
	v_add_co_u32_e32 v10, vcc, 64, v10
	v_addc_co_u32_e32 v11, vcc, 0, v11, vcc
	s_addc_u32 s9, s9, 0
	v_cmp_lt_i64_e32 vcc, s[8:9], v[12:13]
	s_and_b64 vcc, exec, vcc
	s_waitcnt vmcnt(1)
	ds_write_b64 v16, v[22:23]
	s_waitcnt vmcnt(0)
	ds_write_b64 v17, v[24:25]
	s_waitcnt lgkmcnt(0)
	s_barrier
	ds_read_b128 v[22:25], v19
	ds_read_b128 v[26:29], v19 offset:16
	ds_read_b128 v[30:33], v19 offset:32
	;; [unrolled: 1-line block ×3, first 2 shown]
	ds_read2_b64 v[38:41], v18 offset1:16
	ds_read2_b64 v[42:45], v18 offset0:32 offset1:48
	ds_read2_b64 v[46:49], v18 offset0:64 offset1:80
	ds_read_b128 v[50:53], v19 offset:1024
	ds_read_b128 v[54:57], v19 offset:1040
	ds_read2_b64 v[58:61], v18 offset0:96 offset1:112
	s_waitcnt lgkmcnt(5)
	v_fmac_f64_e32 v[6:7], v[38:39], v[22:23]
	v_fmac_f64_e32 v[4:5], v[40:41], v[22:23]
	s_waitcnt lgkmcnt(2)
	v_fmac_f64_e32 v[2:3], v[38:39], v[50:51]
	v_fmac_f64_e32 v[0:1], v[40:41], v[50:51]
	ds_read2_b64 v[38:41], v18 offset0:128 offset1:144
	v_fmac_f64_e32 v[6:7], v[42:43], v[24:25]
	v_fmac_f64_e32 v[4:5], v[44:45], v[24:25]
	ds_read2_b64 v[22:25], v18 offset0:160 offset1:176
	v_fmac_f64_e32 v[2:3], v[42:43], v[52:53]
	v_fmac_f64_e32 v[0:1], v[44:45], v[52:53]
	ds_read2_b64 v[42:45], v18 offset0:192 offset1:208
	ds_read_b128 v[50:53], v19 offset:1056
	v_fmac_f64_e32 v[6:7], v[46:47], v[26:27]
	v_fmac_f64_e32 v[4:5], v[48:49], v[26:27]
	s_waitcnt lgkmcnt(5)
	v_fmac_f64_e32 v[2:3], v[46:47], v[54:55]
	v_fmac_f64_e32 v[0:1], v[48:49], v[54:55]
	ds_read_b128 v[46:49], v19 offset:1072
	s_waitcnt lgkmcnt(5)
	v_fmac_f64_e32 v[6:7], v[58:59], v[28:29]
	v_fmac_f64_e32 v[4:5], v[60:61], v[28:29]
	ds_read2_b64 v[26:29], v18 offset0:224 offset1:240
	v_fmac_f64_e32 v[2:3], v[58:59], v[56:57]
	v_fmac_f64_e32 v[0:1], v[60:61], v[56:57]
	s_waitcnt lgkmcnt(5)
	v_fmac_f64_e32 v[6:7], v[38:39], v[30:31]
	v_fmac_f64_e32 v[4:5], v[40:41], v[30:31]
	s_waitcnt lgkmcnt(2)
	v_fmac_f64_e32 v[2:3], v[38:39], v[50:51]
	v_fmac_f64_e32 v[0:1], v[40:41], v[50:51]
	;; [unrolled: 1-line block ×8, first 2 shown]
	s_waitcnt lgkmcnt(1)
	v_fmac_f64_e32 v[2:3], v[42:43], v[46:47]
	v_fmac_f64_e32 v[0:1], v[44:45], v[46:47]
	s_waitcnt lgkmcnt(0)
	v_fmac_f64_e32 v[6:7], v[26:27], v[36:37]
	v_fmac_f64_e32 v[4:5], v[28:29], v[36:37]
	;; [unrolled: 1-line block ×4, first 2 shown]
	s_barrier
	s_cbranch_vccnz .LBB222_2
	s_branch .LBB222_4
.LBB222_3:
	v_pk_mov_b32 v[6:7], 0, 0
	v_pk_mov_b32 v[4:5], 0, 0
	;; [unrolled: 1-line block ×4, first 2 shown]
.LBB222_4:
	v_mov_b32_e32 v8, s7
	v_add_co_u32_e32 v10, vcc, s6, v15
	v_addc_co_u32_e32 v13, vcc, 0, v8, vcc
	s_lshl_b64 s[8:9], s[48:49], 3
	v_mov_b32_e32 v9, s3
	v_add_co_u32_e32 v8, vcc, s2, v14
	s_waitcnt lgkmcnt(0)
	s_add_u32 s8, s4, s8
	v_cmp_neq_f64_e64 s[6:7], s[36:37], 0
	v_addc_co_u32_e32 v9, vcc, 0, v9, vcc
	s_addc_u32 s9, s5, s9
	s_mov_b64 s[4:5], 0
	s_and_b64 vcc, exec, s[6:7]
	v_mul_lo_u32 v11, v13, s46
	v_mul_lo_u32 v12, v10, s47
	v_lshlrev_b64 v[8:9], 3, v[8:9]
	s_cbranch_vccnz .LBB222_8
; %bb.5:
	v_mad_u64_u32 v[14:15], s[2:3], v10, s46, 0
	v_add3_u32 v15, v15, v12, v11
	v_lshlrev_b64 v[14:15], 3, v[14:15]
	v_mov_b32_e32 v16, s9
	v_add_co_u32_e32 v17, vcc, s8, v14
	v_addc_co_u32_e32 v18, vcc, v16, v15, vcc
	v_add_co_u32_e32 v16, vcc, v17, v8
	v_mul_f64 v[14:15], v[6:7], s[14:15]
	v_addc_co_u32_e32 v17, vcc, v18, v9, vcc
	global_store_dwordx2 v[16:17], v[14:15], off
	v_mul_f64 v[14:15], v[4:5], s[14:15]
	s_lshl_b64 s[2:3], s[46:47], 7
	global_store_dwordx2 v[16:17], v[14:15], off offset:128
	v_mov_b32_e32 v18, s3
	v_add_co_u32_e32 v16, vcc, s2, v16
	v_mul_f64 v[14:15], v[2:3], s[14:15]
	v_addc_co_u32_e32 v17, vcc, v17, v18, vcc
	global_store_dwordx2 v[16:17], v[14:15], off
	v_mul_f64 v[14:15], v[0:1], s[14:15]
	global_store_dwordx2 v[16:17], v[14:15], off offset:128
	s_andn2_b64 vcc, exec, s[4:5]
	s_cbranch_vccnz .LBB222_7
.LBB222_6:
	s_lshl_b64 s[2:3], s[42:43], 3
	s_add_u32 s2, s0, s2
	s_addc_u32 s3, s1, s3
	v_mul_lo_u32 v13, v13, s40
	v_mul_lo_u32 v16, v10, s41
	v_mad_u64_u32 v[14:15], s[0:1], v10, s40, 0
	v_add3_u32 v15, v15, v16, v13
	v_lshlrev_b64 v[14:15], 3, v[14:15]
	v_mov_b32_e32 v13, s3
	v_add_co_u32_e32 v14, vcc, s2, v14
	v_addc_co_u32_e32 v13, vcc, v13, v15, vcc
	v_add_co_u32_e32 v14, vcc, v14, v8
	v_addc_co_u32_e32 v15, vcc, v13, v9, vcc
	global_load_dwordx2 v[16:17], v[14:15], off
	v_mad_u64_u32 v[18:19], s[0:1], v10, s46, 0
	v_add3_u32 v19, v19, v12, v11
	v_lshlrev_b64 v[10:11], 3, v[18:19]
	v_mov_b32_e32 v13, s9
	v_add_co_u32_e32 v10, vcc, s8, v10
	v_addc_co_u32_e32 v11, vcc, v13, v11, vcc
	v_add_co_u32_e32 v8, vcc, v10, v8
	v_addc_co_u32_e32 v9, vcc, v11, v9, vcc
	s_lshl_b64 s[0:1], s[40:41], 7
	s_waitcnt vmcnt(0)
	v_mul_f64 v[10:11], v[16:17], s[36:37]
	v_fmac_f64_e32 v[10:11], s[14:15], v[6:7]
	global_store_dwordx2 v[8:9], v[10:11], off
	global_load_dwordx2 v[6:7], v[14:15], off offset:128
	v_mov_b32_e32 v11, s1
	v_add_co_u32_e32 v10, vcc, s0, v14
	v_addc_co_u32_e32 v11, vcc, v15, v11, vcc
	s_lshl_b64 s[0:1], s[46:47], 7
	s_waitcnt vmcnt(0)
	v_mul_f64 v[6:7], v[6:7], s[36:37]
	v_fmac_f64_e32 v[6:7], s[14:15], v[4:5]
	global_store_dwordx2 v[8:9], v[6:7], off offset:128
	global_load_dwordx2 v[4:5], v[10:11], off
	v_mov_b32_e32 v6, s1
	s_waitcnt vmcnt(0)
	v_mul_f64 v[4:5], v[4:5], s[36:37]
	v_fmac_f64_e32 v[4:5], s[14:15], v[2:3]
	v_add_co_u32_e32 v2, vcc, s0, v8
	v_addc_co_u32_e32 v3, vcc, v9, v6, vcc
	global_store_dwordx2 v[2:3], v[4:5], off
	global_load_dwordx2 v[4:5], v[10:11], off offset:128
	s_waitcnt vmcnt(0)
	v_mul_f64 v[4:5], v[4:5], s[36:37]
	v_fmac_f64_e32 v[4:5], s[14:15], v[0:1]
	global_store_dwordx2 v[2:3], v[4:5], off offset:128
.LBB222_7:
	s_endpgm
.LBB222_8:
	s_branch .LBB222_6
	.section	.rodata,"a",@progbits
	.p2align	6, 0x0
	.amdhsa_kernel _ZN12_GLOBAL__N_127rocblas_gemm_batched_kernelIdLi16ELi16ELi32ELi32ELi8ELi32ELi8ELi8ELi32ELc84ELc67EKPKdS3_KPdEEvlllT_PT11_llS8_llS6_PT12_llPT13_lli
		.amdhsa_group_segment_fixed_size 4096
		.amdhsa_private_segment_fixed_size 0
		.amdhsa_kernarg_size 140
		.amdhsa_user_sgpr_count 6
		.amdhsa_user_sgpr_private_segment_buffer 1
		.amdhsa_user_sgpr_dispatch_ptr 0
		.amdhsa_user_sgpr_queue_ptr 0
		.amdhsa_user_sgpr_kernarg_segment_ptr 1
		.amdhsa_user_sgpr_dispatch_id 0
		.amdhsa_user_sgpr_flat_scratch_init 0
		.amdhsa_user_sgpr_kernarg_preload_length 0
		.amdhsa_user_sgpr_kernarg_preload_offset 0
		.amdhsa_user_sgpr_private_segment_size 0
		.amdhsa_uses_dynamic_stack 0
		.amdhsa_system_sgpr_private_segment_wavefront_offset 0
		.amdhsa_system_sgpr_workgroup_id_x 1
		.amdhsa_system_sgpr_workgroup_id_y 1
		.amdhsa_system_sgpr_workgroup_id_z 1
		.amdhsa_system_sgpr_workgroup_info 0
		.amdhsa_system_vgpr_workitem_id 1
		.amdhsa_next_free_vgpr 62
		.amdhsa_next_free_sgpr 52
		.amdhsa_accum_offset 64
		.amdhsa_reserve_vcc 1
		.amdhsa_reserve_flat_scratch 0
		.amdhsa_float_round_mode_32 0
		.amdhsa_float_round_mode_16_64 0
		.amdhsa_float_denorm_mode_32 3
		.amdhsa_float_denorm_mode_16_64 3
		.amdhsa_dx10_clamp 1
		.amdhsa_ieee_mode 1
		.amdhsa_fp16_overflow 0
		.amdhsa_tg_split 0
		.amdhsa_exception_fp_ieee_invalid_op 0
		.amdhsa_exception_fp_denorm_src 0
		.amdhsa_exception_fp_ieee_div_zero 0
		.amdhsa_exception_fp_ieee_overflow 0
		.amdhsa_exception_fp_ieee_underflow 0
		.amdhsa_exception_fp_ieee_inexact 0
		.amdhsa_exception_int_div_zero 0
	.end_amdhsa_kernel
	.section	.text._ZN12_GLOBAL__N_127rocblas_gemm_batched_kernelIdLi16ELi16ELi32ELi32ELi8ELi32ELi8ELi8ELi32ELc84ELc67EKPKdS3_KPdEEvlllT_PT11_llS8_llS6_PT12_llPT13_lli,"axG",@progbits,_ZN12_GLOBAL__N_127rocblas_gemm_batched_kernelIdLi16ELi16ELi32ELi32ELi8ELi32ELi8ELi8ELi32ELc84ELc67EKPKdS3_KPdEEvlllT_PT11_llS8_llS6_PT12_llPT13_lli,comdat
.Lfunc_end222:
	.size	_ZN12_GLOBAL__N_127rocblas_gemm_batched_kernelIdLi16ELi16ELi32ELi32ELi8ELi32ELi8ELi8ELi32ELc84ELc67EKPKdS3_KPdEEvlllT_PT11_llS8_llS6_PT12_llPT13_lli, .Lfunc_end222-_ZN12_GLOBAL__N_127rocblas_gemm_batched_kernelIdLi16ELi16ELi32ELi32ELi8ELi32ELi8ELi8ELi32ELc84ELc67EKPKdS3_KPdEEvlllT_PT11_llS8_llS6_PT12_llPT13_lli
                                        ; -- End function
	.section	.AMDGPU.csdata,"",@progbits
; Kernel info:
; codeLenInByte = 1364
; NumSgprs: 56
; NumVgprs: 62
; NumAgprs: 0
; TotalNumVgprs: 62
; ScratchSize: 0
; MemoryBound: 0
; FloatMode: 240
; IeeeMode: 1
; LDSByteSize: 4096 bytes/workgroup (compile time only)
; SGPRBlocks: 6
; VGPRBlocks: 7
; NumSGPRsForWavesPerEU: 56
; NumVGPRsForWavesPerEU: 62
; AccumOffset: 64
; Occupancy: 8
; WaveLimiterHint : 1
; COMPUTE_PGM_RSRC2:SCRATCH_EN: 0
; COMPUTE_PGM_RSRC2:USER_SGPR: 6
; COMPUTE_PGM_RSRC2:TRAP_HANDLER: 0
; COMPUTE_PGM_RSRC2:TGID_X_EN: 1
; COMPUTE_PGM_RSRC2:TGID_Y_EN: 1
; COMPUTE_PGM_RSRC2:TGID_Z_EN: 1
; COMPUTE_PGM_RSRC2:TIDIG_COMP_CNT: 1
; COMPUTE_PGM_RSRC3_GFX90A:ACCUM_OFFSET: 15
; COMPUTE_PGM_RSRC3_GFX90A:TG_SPLIT: 0
	.section	.text._ZN12_GLOBAL__N_135rocblas_gemm_batched_general_kernelIdLi16ELi16ELi32ELi32ELi8ELi32ELi8ELi8ELi32ELc78ELc78EKPKdS3_KPdEEvlllT_PT11_llS8_llS6_PT12_llPT13_lli,"axG",@progbits,_ZN12_GLOBAL__N_135rocblas_gemm_batched_general_kernelIdLi16ELi16ELi32ELi32ELi8ELi32ELi8ELi8ELi32ELc78ELc78EKPKdS3_KPdEEvlllT_PT11_llS8_llS6_PT12_llPT13_lli,comdat
	.globl	_ZN12_GLOBAL__N_135rocblas_gemm_batched_general_kernelIdLi16ELi16ELi32ELi32ELi8ELi32ELi8ELi8ELi32ELc78ELc78EKPKdS3_KPdEEvlllT_PT11_llS8_llS6_PT12_llPT13_lli ; -- Begin function _ZN12_GLOBAL__N_135rocblas_gemm_batched_general_kernelIdLi16ELi16ELi32ELi32ELi8ELi32ELi8ELi8ELi32ELc78ELc78EKPKdS3_KPdEEvlllT_PT11_llS8_llS6_PT12_llPT13_lli
	.p2align	8
	.type	_ZN12_GLOBAL__N_135rocblas_gemm_batched_general_kernelIdLi16ELi16ELi32ELi32ELi8ELi32ELi8ELi8ELi32ELc78ELc78EKPKdS3_KPdEEvlllT_PT11_llS8_llS6_PT12_llPT13_lli,@function
_ZN12_GLOBAL__N_135rocblas_gemm_batched_general_kernelIdLi16ELi16ELi32ELi32ELi8ELi32ELi8ELi8ELi32ELc78ELc78EKPKdS3_KPdEEvlllT_PT11_llS8_llS6_PT12_llPT13_lli: ; @_ZN12_GLOBAL__N_135rocblas_gemm_batched_general_kernelIdLi16ELi16ELi32ELi32ELi8ELi32ELi8ELi8ELi32ELc78ELc78EKPKdS3_KPdEEvlllT_PT11_llS8_llS6_PT12_llPT13_lli
; %bb.0:
	s_load_dwordx16 s[12:27], s[4:5], 0x0
	s_load_dwordx16 s[36:51], s[4:5], 0x40
	s_mov_b32 s9, 0
	s_lshl_b64 s[0:1], s[8:9], 3
	s_mov_b32 s2, s7
	v_pk_mov_b32 v[6:7], 0, 0
	s_waitcnt lgkmcnt(0)
	s_add_u32 s8, s42, s0
	s_addc_u32 s9, s43, s1
	s_add_u32 s10, s48, s0
	s_addc_u32 s11, s49, s1
	s_load_dwordx2 s[8:9], s[8:9], 0x0
	s_ashr_i32 s3, s2, 31
	s_load_dwordx2 s[28:29], s[10:11], 0x0
	s_ashr_i32 s7, s6, 31
	s_lshl_b64 s[30:31], s[2:3], 5
	v_cmp_lt_i64_e64 s[2:3], s[16:17], 1
	v_and_b32_e32 v20, 0x3ff, v0
	v_bfe_u32 v9, v0, 10, 10
	s_lshl_b64 s[10:11], s[6:7], 5
	s_mov_b64 s[34:35], 0
	s_and_b64 vcc, exec, s[2:3]
	v_pk_mov_b32 v[4:5], v[6:7], v[6:7] op_sel:[0,1]
	v_pk_mov_b32 v[2:3], v[6:7], v[6:7] op_sel:[0,1]
	;; [unrolled: 1-line block ×3, first 2 shown]
	s_cbranch_vccnz .LBB223_7
; %bb.1:
	s_add_u32 s2, s26, s0
	v_lshl_add_u32 v2, v9, 4, v20
	s_addc_u32 s3, s27, s1
	s_add_u32 s0, s20, s0
	v_and_b32_e32 v5, 31, v2
	v_lshrrev_b32_e32 v8, 5, v2
	v_and_b32_e32 v10, 7, v20
	s_addc_u32 s1, s21, s1
	v_lshrrev_b32_e32 v4, 3, v2
	v_mov_b32_e32 v3, s11
	v_or_b32_e32 v2, s10, v5
	s_load_dwordx2 s[20:21], s[0:1], 0x0
	v_cmp_gt_i64_e64 s[0:1], s[12:13], v[2:3]
	v_lshlrev_b32_e32 v2, 3, v10
	v_mov_b32_e32 v1, s31
	v_add_co_u32_e32 v0, vcc, s30, v4
	v_lshl_or_b32 v3, v4, 6, v2
	v_addc_co_u32_e32 v1, vcc, 0, v1, vcc
	v_add_u32_e32 v21, 0x800, v3
	v_mov_b32_e32 v3, 0x800
	s_load_dwordx2 s[26:27], s[2:3], 0x0
	v_cmp_gt_i64_e64 s[2:3], s[14:15], v[0:1]
	v_lshl_add_u32 v23, v9, 6, v3
	v_mul_lo_u32 v3, s37, v0
	v_mul_lo_u32 v4, s36, v1
	v_mad_u64_u32 v[0:1], s[36:37], s36, v0, 0
	v_add3_u32 v1, v1, v4, v3
	v_lshlrev_b64 v[0:1], 3, v[0:1]
	s_lshl_b64 s[36:37], s[38:39], 3
	v_mov_b32_e32 v3, s37
	v_add_co_u32_e32 v0, vcc, s36, v0
	v_addc_co_u32_e32 v1, vcc, v1, v3, vcc
	v_add_co_u32_e32 v0, vcc, v0, v2
	v_addc_co_u32_e32 v1, vcc, 0, v1, vcc
	s_waitcnt lgkmcnt(0)
	v_mov_b32_e32 v2, s27
	v_add_co_u32_e32 v12, vcc, s26, v0
	v_addc_co_u32_e32 v13, vcc, v2, v1, vcc
	v_mad_u64_u32 v[0:1], s[26:27], s22, v8, 0
	v_mov_b32_e32 v2, v1
	v_mad_u64_u32 v[2:3], s[26:27], s23, v8, v[2:3]
	s_lshl_b64 s[6:7], s[6:7], 8
	s_lshl_b64 s[24:25], s[24:25], 3
	v_mov_b32_e32 v1, v2
	s_add_u32 s6, s24, s6
	v_lshlrev_b64 v[0:1], 3, v[0:1]
	s_addc_u32 s7, s25, s7
	v_mov_b32_e32 v2, s7
	v_add_co_u32_e32 v0, vcc, s6, v0
	v_lshlrev_b32_e32 v5, 3, v5
	v_addc_co_u32_e32 v1, vcc, v2, v1, vcc
	v_add_co_u32_e32 v0, vcc, v0, v5
	v_addc_co_u32_e32 v1, vcc, 0, v1, vcc
	v_mov_b32_e32 v2, s21
	v_add_co_u32_e32 v14, vcc, s20, v0
	v_pk_mov_b32 v[16:17], 0, 0
	v_lshl_or_b32 v11, v8, 8, v5
	v_lshlrev_b32_e32 v22, 3, v20
	v_addc_co_u32_e32 v15, vcc, v2, v1, vcc
	s_lshl_b64 s[6:7], s[22:23], 6
	v_pk_mov_b32 v[0:1], v[16:17], v[16:17] op_sel:[0,1]
	v_pk_mov_b32 v[2:3], v[16:17], v[16:17] op_sel:[0,1]
	v_pk_mov_b32 v[4:5], v[16:17], v[16:17] op_sel:[0,1]
	v_pk_mov_b32 v[6:7], v[16:17], v[16:17] op_sel:[0,1]
	s_branch .LBB223_3
.LBB223_2:                              ;   in Loop: Header=BB223_3 Depth=1
	s_or_b64 exec, exec, s[20:21]
	s_waitcnt vmcnt(0)
	ds_write_b64 v21, v[18:19]
	s_waitcnt lgkmcnt(0)
	s_barrier
	ds_read2_b64 v[24:27], v22 offset1:16
	ds_read_b128 v[28:31], v23
	ds_read_b128 v[32:35], v23 offset:16
	ds_read_b128 v[36:39], v23 offset:32
	ds_read_b128 v[40:43], v23 offset:48
	ds_read_b128 v[44:47], v23 offset:1024
	ds_read2_b64 v[48:51], v22 offset0:32 offset1:48
	s_waitcnt lgkmcnt(5)
	v_fmac_f64_e32 v[6:7], v[24:25], v[28:29]
	v_fmac_f64_e32 v[4:5], v[26:27], v[28:29]
	ds_read_b128 v[52:55], v23 offset:1040
	s_waitcnt lgkmcnt(2)
	v_fmac_f64_e32 v[2:3], v[24:25], v[44:45]
	v_fmac_f64_e32 v[0:1], v[26:27], v[44:45]
	ds_read2_b64 v[24:27], v22 offset0:64 offset1:80
	s_waitcnt lgkmcnt(2)
	v_fmac_f64_e32 v[6:7], v[48:49], v[30:31]
	v_fmac_f64_e32 v[4:5], v[50:51], v[30:31]
	ds_read2_b64 v[28:31], v22 offset0:96 offset1:112
	v_fmac_f64_e32 v[2:3], v[48:49], v[46:47]
	v_fmac_f64_e32 v[0:1], v[50:51], v[46:47]
	ds_read_b128 v[44:47], v23 offset:1072
	s_waitcnt lgkmcnt(2)
	v_fmac_f64_e32 v[6:7], v[24:25], v[32:33]
	v_fmac_f64_e32 v[4:5], v[26:27], v[32:33]
	;; [unrolled: 1-line block ×4, first 2 shown]
	s_waitcnt lgkmcnt(1)
	v_fmac_f64_e32 v[6:7], v[28:29], v[34:35]
	ds_read2_b64 v[24:27], v22 offset0:128 offset1:144
	v_fmac_f64_e32 v[4:5], v[30:31], v[34:35]
	v_fmac_f64_e32 v[2:3], v[28:29], v[54:55]
	;; [unrolled: 1-line block ×3, first 2 shown]
	ds_read_b128 v[28:31], v23 offset:1056
	ds_read2_b64 v[32:35], v22 offset0:160 offset1:176
	s_waitcnt lgkmcnt(2)
	v_fmac_f64_e32 v[6:7], v[24:25], v[36:37]
	v_fmac_f64_e32 v[4:5], v[26:27], v[36:37]
	v_add_co_u32_e32 v12, vcc, 64, v12
	s_waitcnt lgkmcnt(1)
	v_fmac_f64_e32 v[2:3], v[24:25], v[28:29]
	v_fmac_f64_e32 v[0:1], v[26:27], v[28:29]
	ds_read2_b64 v[24:27], v22 offset0:192 offset1:208
	s_waitcnt lgkmcnt(1)
	v_fmac_f64_e32 v[2:3], v[32:33], v[30:31]
	v_fmac_f64_e32 v[0:1], v[34:35], v[30:31]
	ds_read2_b64 v[28:31], v22 offset0:224 offset1:240
	v_addc_co_u32_e32 v13, vcc, 0, v13, vcc
	s_add_u32 s34, s34, 8
	v_mov_b32_e32 v18, s7
	v_add_co_u32_e32 v14, vcc, s6, v14
	v_fmac_f64_e32 v[6:7], v[32:33], v[38:39]
	v_fmac_f64_e32 v[4:5], v[34:35], v[38:39]
	s_addc_u32 s35, s35, 0
	v_addc_co_u32_e32 v15, vcc, v15, v18, vcc
	v_pk_mov_b32 v[18:19], s[16:17], s[16:17] op_sel:[0,1]
	s_waitcnt lgkmcnt(1)
	v_fmac_f64_e32 v[6:7], v[24:25], v[40:41]
	v_fmac_f64_e32 v[4:5], v[26:27], v[40:41]
	;; [unrolled: 1-line block ×4, first 2 shown]
	v_cmp_lt_i64_e32 vcc, s[34:35], v[18:19]
	s_waitcnt lgkmcnt(0)
	v_fmac_f64_e32 v[6:7], v[28:29], v[42:43]
	v_fmac_f64_e32 v[4:5], v[30:31], v[42:43]
	v_fmac_f64_e32 v[2:3], v[28:29], v[46:47]
	v_fmac_f64_e32 v[0:1], v[30:31], v[46:47]
	s_barrier
	s_cbranch_vccz .LBB223_7
.LBB223_3:                              ; =>This Inner Loop Header: Depth=1
	v_mov_b32_e32 v19, s35
	v_add_co_u32_e32 v18, vcc, s34, v8
	v_addc_co_u32_e32 v19, vcc, 0, v19, vcc
	v_cmp_gt_i64_e32 vcc, s[16:17], v[18:19]
	s_and_b64 s[22:23], s[0:1], vcc
	v_pk_mov_b32 v[18:19], v[16:17], v[16:17] op_sel:[0,1]
	s_and_saveexec_b64 s[20:21], s[22:23]
	s_cbranch_execz .LBB223_5
; %bb.4:                                ;   in Loop: Header=BB223_3 Depth=1
	global_load_dwordx2 v[18:19], v[14:15], off
.LBB223_5:                              ;   in Loop: Header=BB223_3 Depth=1
	s_or_b64 exec, exec, s[20:21]
	s_waitcnt vmcnt(0)
	ds_write_b64 v11, v[18:19]
	v_mov_b32_e32 v19, s35
	v_add_co_u32_e32 v18, vcc, s34, v10
	v_addc_co_u32_e32 v19, vcc, 0, v19, vcc
	v_cmp_gt_i64_e32 vcc, s[16:17], v[18:19]
	s_and_b64 s[22:23], vcc, s[2:3]
	v_pk_mov_b32 v[18:19], v[16:17], v[16:17] op_sel:[0,1]
	s_and_saveexec_b64 s[20:21], s[22:23]
	s_cbranch_execz .LBB223_2
; %bb.6:                                ;   in Loop: Header=BB223_3 Depth=1
	global_load_dwordx2 v[18:19], v[12:13], off
	s_branch .LBB223_2
.LBB223_7:
	s_load_dwordx2 s[0:1], s[4:5], 0x80
	v_mov_b32_e32 v10, s31
	v_add_co_u32_e32 v8, vcc, s30, v9
	v_addc_co_u32_e32 v9, vcc, 0, v10, vcc
	s_waitcnt lgkmcnt(0)
	s_lshl_b64 s[0:1], s[0:1], 3
	s_add_u32 s20, s28, s0
	v_cmp_neq_f64_e64 s[2:3], s[40:41], 0
	s_addc_u32 s21, s29, s1
	v_cmp_gt_i64_e64 s[0:1], s[14:15], v[8:9]
	s_and_b64 vcc, exec, s[2:3]
	s_cbranch_vccnz .LBB223_20
; %bb.8:
	s_and_saveexec_b64 s[6:7], s[0:1]
	s_cbranch_execz .LBB223_18
; %bb.9:
	v_mov_b32_e32 v10, s11
	v_add_co_u32_e32 v12, vcc, s10, v20
	v_addc_co_u32_e32 v13, vcc, 0, v10, vcc
	v_mul_lo_u32 v14, v9, s50
	v_mul_lo_u32 v15, v8, s51
	v_mad_u64_u32 v[10:11], s[2:3], v8, s50, 0
	v_add3_u32 v11, v11, v15, v14
	v_lshlrev_b64 v[10:11], 3, v[10:11]
	v_mov_b32_e32 v15, s21
	v_add_co_u32_e64 v14, s[2:3], s20, v10
	v_cmp_gt_i64_e32 vcc, s[12:13], v[12:13]
	v_addc_co_u32_e64 v15, s[2:3], v15, v11, s[2:3]
	v_lshlrev_b64 v[10:11], 3, v[12:13]
	s_and_saveexec_b64 s[4:5], vcc
	s_cbranch_execz .LBB223_11
; %bb.10:
	v_add_co_u32_e64 v16, s[2:3], v14, v10
	v_addc_co_u32_e64 v17, s[2:3], v15, v11, s[2:3]
	v_mul_f64 v[18:19], v[6:7], s[18:19]
	global_store_dwordx2 v[16:17], v[18:19], off
.LBB223_11:
	s_or_b64 exec, exec, s[4:5]
	v_add_co_u32_e64 v12, s[2:3], 16, v12
	v_addc_co_u32_e64 v13, s[2:3], 0, v13, s[2:3]
	v_cmp_gt_i64_e64 s[2:3], s[12:13], v[12:13]
	s_and_saveexec_b64 s[16:17], s[2:3]
	s_cbranch_execz .LBB223_13
; %bb.12:
	v_add_co_u32_e64 v12, s[4:5], v14, v10
	v_addc_co_u32_e64 v13, s[4:5], v15, v11, s[4:5]
	v_mul_f64 v[16:17], v[4:5], s[18:19]
	global_store_dwordx2 v[12:13], v[16:17], off offset:128
.LBB223_13:
	s_or_b64 exec, exec, s[16:17]
	v_add_co_u32_e64 v12, s[4:5], 16, v8
	v_addc_co_u32_e64 v13, s[4:5], 0, v9, s[4:5]
	v_cmp_gt_i64_e64 s[4:5], s[14:15], v[12:13]
	s_and_b64 exec, exec, s[4:5]
	s_cbranch_execz .LBB223_18
; %bb.14:
	s_lshl_b64 s[4:5], s[50:51], 7
	v_mov_b32_e32 v12, s5
	v_add_co_u32_e64 v13, s[4:5], s4, v14
	v_addc_co_u32_e64 v12, s[4:5], v15, v12, s[4:5]
	v_add_co_u32_e64 v10, s[4:5], v13, v10
	v_addc_co_u32_e64 v11, s[4:5], v12, v11, s[4:5]
	s_and_saveexec_b64 s[4:5], vcc
	s_cbranch_execz .LBB223_16
; %bb.15:
	v_mul_f64 v[12:13], v[2:3], s[18:19]
	global_store_dwordx2 v[10:11], v[12:13], off
.LBB223_16:
	s_or_b64 exec, exec, s[4:5]
	s_and_b64 exec, exec, s[2:3]
	s_cbranch_execz .LBB223_18
; %bb.17:
	v_mul_f64 v[12:13], v[0:1], s[18:19]
	global_store_dwordx2 v[10:11], v[12:13], off offset:128
.LBB223_18:
	s_or_b64 exec, exec, s[6:7]
	s_cbranch_execz .LBB223_21
.LBB223_19:
	s_endpgm
.LBB223_20:
.LBB223_21:
	s_and_saveexec_b64 s[2:3], s[0:1]
	s_cbranch_execz .LBB223_19
; %bb.22:
	s_lshl_b64 s[0:1], s[46:47], 3
	s_add_u32 s2, s8, s0
	v_mov_b32_e32 v10, s11
	v_add_co_u32_e32 v12, vcc, s10, v20
	s_addc_u32 s3, s9, s1
	v_addc_co_u32_e32 v13, vcc, 0, v10, vcc
	v_mul_lo_u32 v14, v9, s44
	v_mul_lo_u32 v15, v8, s45
	v_mad_u64_u32 v[10:11], s[0:1], v8, s44, 0
	v_add3_u32 v11, v11, v15, v14
	v_mul_lo_u32 v14, v9, s50
	v_mul_lo_u32 v15, v8, s51
	v_mad_u64_u32 v[16:17], s[0:1], v8, s50, 0
	v_lshlrev_b64 v[10:11], 3, v[10:11]
	v_add3_u32 v17, v17, v15, v14
	v_mov_b32_e32 v15, s3
	v_add_co_u32_e64 v14, s[0:1], s2, v10
	v_addc_co_u32_e64 v15, s[0:1], v15, v11, s[0:1]
	v_lshlrev_b64 v[10:11], 3, v[16:17]
	v_mov_b32_e32 v17, s21
	v_add_co_u32_e64 v16, s[0:1], s20, v10
	v_cmp_gt_i64_e32 vcc, s[12:13], v[12:13]
	v_addc_co_u32_e64 v17, s[0:1], v17, v11, s[0:1]
	v_lshlrev_b64 v[10:11], 3, v[12:13]
	s_and_saveexec_b64 s[2:3], vcc
	s_cbranch_execz .LBB223_24
; %bb.23:
	v_add_co_u32_e64 v18, s[0:1], v14, v10
	v_addc_co_u32_e64 v19, s[0:1], v15, v11, s[0:1]
	global_load_dwordx2 v[18:19], v[18:19], off
	s_waitcnt vmcnt(0)
	v_mul_f64 v[18:19], v[18:19], s[40:41]
	v_fmac_f64_e32 v[18:19], s[18:19], v[6:7]
	v_add_co_u32_e64 v6, s[0:1], v16, v10
	v_addc_co_u32_e64 v7, s[0:1], v17, v11, s[0:1]
	global_store_dwordx2 v[6:7], v[18:19], off
.LBB223_24:
	s_or_b64 exec, exec, s[2:3]
	v_add_co_u32_e64 v6, s[0:1], 16, v12
	v_addc_co_u32_e64 v7, s[0:1], 0, v13, s[0:1]
	v_cmp_gt_i64_e64 s[0:1], s[12:13], v[6:7]
	s_and_saveexec_b64 s[4:5], s[0:1]
	s_cbranch_execz .LBB223_26
; %bb.25:
	v_add_co_u32_e64 v6, s[2:3], v14, v10
	v_addc_co_u32_e64 v7, s[2:3], v15, v11, s[2:3]
	global_load_dwordx2 v[6:7], v[6:7], off offset:128
	s_waitcnt vmcnt(0)
	v_mul_f64 v[6:7], v[6:7], s[40:41]
	v_fmac_f64_e32 v[6:7], s[18:19], v[4:5]
	v_add_co_u32_e64 v4, s[2:3], v16, v10
	v_addc_co_u32_e64 v5, s[2:3], v17, v11, s[2:3]
	global_store_dwordx2 v[4:5], v[6:7], off offset:128
.LBB223_26:
	s_or_b64 exec, exec, s[4:5]
	v_add_co_u32_e64 v4, s[2:3], 16, v8
	v_addc_co_u32_e64 v5, s[2:3], 0, v9, s[2:3]
	v_cmp_gt_i64_e64 s[2:3], s[14:15], v[4:5]
	s_and_b64 exec, exec, s[2:3]
	s_cbranch_execz .LBB223_19
; %bb.27:
	s_lshl_b64 s[2:3], s[44:45], 7
	v_mov_b32_e32 v4, s3
	v_add_co_u32_e64 v5, s[2:3], s2, v14
	v_addc_co_u32_e64 v6, s[2:3], v15, v4, s[2:3]
	s_lshl_b64 s[2:3], s[50:51], 7
	v_mov_b32_e32 v4, s3
	v_add_co_u32_e64 v7, s[2:3], s2, v16
	v_addc_co_u32_e64 v8, s[2:3], v17, v4, s[2:3]
	v_add_co_u32_e64 v4, s[2:3], v5, v10
	v_addc_co_u32_e64 v5, s[2:3], v6, v11, s[2:3]
	;; [unrolled: 2-line block ×3, first 2 shown]
	s_and_saveexec_b64 s[2:3], vcc
	s_cbranch_execz .LBB223_29
; %bb.28:
	global_load_dwordx2 v[8:9], v[4:5], off
	s_waitcnt vmcnt(0)
	v_mul_f64 v[8:9], v[8:9], s[40:41]
	v_fmac_f64_e32 v[8:9], s[18:19], v[2:3]
	global_store_dwordx2 v[6:7], v[8:9], off
.LBB223_29:
	s_or_b64 exec, exec, s[2:3]
	s_and_b64 exec, exec, s[0:1]
	s_cbranch_execz .LBB223_19
; %bb.30:
	global_load_dwordx2 v[2:3], v[4:5], off offset:128
	s_waitcnt vmcnt(0)
	v_mul_f64 v[2:3], v[2:3], s[40:41]
	v_fmac_f64_e32 v[2:3], s[18:19], v[0:1]
	global_store_dwordx2 v[6:7], v[2:3], off offset:128
	s_endpgm
	.section	.rodata,"a",@progbits
	.p2align	6, 0x0
	.amdhsa_kernel _ZN12_GLOBAL__N_135rocblas_gemm_batched_general_kernelIdLi16ELi16ELi32ELi32ELi8ELi32ELi8ELi8ELi32ELc78ELc78EKPKdS3_KPdEEvlllT_PT11_llS8_llS6_PT12_llPT13_lli
		.amdhsa_group_segment_fixed_size 4096
		.amdhsa_private_segment_fixed_size 0
		.amdhsa_kernarg_size 140
		.amdhsa_user_sgpr_count 6
		.amdhsa_user_sgpr_private_segment_buffer 1
		.amdhsa_user_sgpr_dispatch_ptr 0
		.amdhsa_user_sgpr_queue_ptr 0
		.amdhsa_user_sgpr_kernarg_segment_ptr 1
		.amdhsa_user_sgpr_dispatch_id 0
		.amdhsa_user_sgpr_flat_scratch_init 0
		.amdhsa_user_sgpr_kernarg_preload_length 0
		.amdhsa_user_sgpr_kernarg_preload_offset 0
		.amdhsa_user_sgpr_private_segment_size 0
		.amdhsa_uses_dynamic_stack 0
		.amdhsa_system_sgpr_private_segment_wavefront_offset 0
		.amdhsa_system_sgpr_workgroup_id_x 1
		.amdhsa_system_sgpr_workgroup_id_y 1
		.amdhsa_system_sgpr_workgroup_id_z 1
		.amdhsa_system_sgpr_workgroup_info 0
		.amdhsa_system_vgpr_workitem_id 1
		.amdhsa_next_free_vgpr 56
		.amdhsa_next_free_sgpr 52
		.amdhsa_accum_offset 56
		.amdhsa_reserve_vcc 1
		.amdhsa_reserve_flat_scratch 0
		.amdhsa_float_round_mode_32 0
		.amdhsa_float_round_mode_16_64 0
		.amdhsa_float_denorm_mode_32 3
		.amdhsa_float_denorm_mode_16_64 3
		.amdhsa_dx10_clamp 1
		.amdhsa_ieee_mode 1
		.amdhsa_fp16_overflow 0
		.amdhsa_tg_split 0
		.amdhsa_exception_fp_ieee_invalid_op 0
		.amdhsa_exception_fp_denorm_src 0
		.amdhsa_exception_fp_ieee_div_zero 0
		.amdhsa_exception_fp_ieee_overflow 0
		.amdhsa_exception_fp_ieee_underflow 0
		.amdhsa_exception_fp_ieee_inexact 0
		.amdhsa_exception_int_div_zero 0
	.end_amdhsa_kernel
	.section	.text._ZN12_GLOBAL__N_135rocblas_gemm_batched_general_kernelIdLi16ELi16ELi32ELi32ELi8ELi32ELi8ELi8ELi32ELc78ELc78EKPKdS3_KPdEEvlllT_PT11_llS8_llS6_PT12_llPT13_lli,"axG",@progbits,_ZN12_GLOBAL__N_135rocblas_gemm_batched_general_kernelIdLi16ELi16ELi32ELi32ELi8ELi32ELi8ELi8ELi32ELc78ELc78EKPKdS3_KPdEEvlllT_PT11_llS8_llS6_PT12_llPT13_lli,comdat
.Lfunc_end223:
	.size	_ZN12_GLOBAL__N_135rocblas_gemm_batched_general_kernelIdLi16ELi16ELi32ELi32ELi8ELi32ELi8ELi8ELi32ELc78ELc78EKPKdS3_KPdEEvlllT_PT11_llS8_llS6_PT12_llPT13_lli, .Lfunc_end223-_ZN12_GLOBAL__N_135rocblas_gemm_batched_general_kernelIdLi16ELi16ELi32ELi32ELi8ELi32ELi8ELi8ELi32ELc78ELc78EKPKdS3_KPdEEvlllT_PT11_llS8_llS6_PT12_llPT13_lli
                                        ; -- End function
	.section	.AMDGPU.csdata,"",@progbits
; Kernel info:
; codeLenInByte = 1916
; NumSgprs: 56
; NumVgprs: 56
; NumAgprs: 0
; TotalNumVgprs: 56
; ScratchSize: 0
; MemoryBound: 0
; FloatMode: 240
; IeeeMode: 1
; LDSByteSize: 4096 bytes/workgroup (compile time only)
; SGPRBlocks: 6
; VGPRBlocks: 6
; NumSGPRsForWavesPerEU: 56
; NumVGPRsForWavesPerEU: 56
; AccumOffset: 56
; Occupancy: 8
; WaveLimiterHint : 1
; COMPUTE_PGM_RSRC2:SCRATCH_EN: 0
; COMPUTE_PGM_RSRC2:USER_SGPR: 6
; COMPUTE_PGM_RSRC2:TRAP_HANDLER: 0
; COMPUTE_PGM_RSRC2:TGID_X_EN: 1
; COMPUTE_PGM_RSRC2:TGID_Y_EN: 1
; COMPUTE_PGM_RSRC2:TGID_Z_EN: 1
; COMPUTE_PGM_RSRC2:TIDIG_COMP_CNT: 1
; COMPUTE_PGM_RSRC3_GFX90A:ACCUM_OFFSET: 13
; COMPUTE_PGM_RSRC3_GFX90A:TG_SPLIT: 0
	.section	.text._ZN12_GLOBAL__N_135rocblas_gemm_batched_general_kernelIdLi16ELi16ELi32ELi32ELi8ELi32ELi8ELi8ELi32ELc84ELc78EKPKdS3_KPdEEvlllT_PT11_llS8_llS6_PT12_llPT13_lli,"axG",@progbits,_ZN12_GLOBAL__N_135rocblas_gemm_batched_general_kernelIdLi16ELi16ELi32ELi32ELi8ELi32ELi8ELi8ELi32ELc84ELc78EKPKdS3_KPdEEvlllT_PT11_llS8_llS6_PT12_llPT13_lli,comdat
	.globl	_ZN12_GLOBAL__N_135rocblas_gemm_batched_general_kernelIdLi16ELi16ELi32ELi32ELi8ELi32ELi8ELi8ELi32ELc84ELc78EKPKdS3_KPdEEvlllT_PT11_llS8_llS6_PT12_llPT13_lli ; -- Begin function _ZN12_GLOBAL__N_135rocblas_gemm_batched_general_kernelIdLi16ELi16ELi32ELi32ELi8ELi32ELi8ELi8ELi32ELc84ELc78EKPKdS3_KPdEEvlllT_PT11_llS8_llS6_PT12_llPT13_lli
	.p2align	8
	.type	_ZN12_GLOBAL__N_135rocblas_gemm_batched_general_kernelIdLi16ELi16ELi32ELi32ELi8ELi32ELi8ELi8ELi32ELc84ELc78EKPKdS3_KPdEEvlllT_PT11_llS8_llS6_PT12_llPT13_lli,@function
_ZN12_GLOBAL__N_135rocblas_gemm_batched_general_kernelIdLi16ELi16ELi32ELi32ELi8ELi32ELi8ELi8ELi32ELc84ELc78EKPKdS3_KPdEEvlllT_PT11_llS8_llS6_PT12_llPT13_lli: ; @_ZN12_GLOBAL__N_135rocblas_gemm_batched_general_kernelIdLi16ELi16ELi32ELi32ELi8ELi32ELi8ELi8ELi32ELc84ELc78EKPKdS3_KPdEEvlllT_PT11_llS8_llS6_PT12_llPT13_lli
; %bb.0:
	s_load_dwordx16 s[12:27], s[4:5], 0x0
	s_load_dwordx16 s[36:51], s[4:5], 0x40
	s_mov_b32 s9, 0
	s_lshl_b64 s[0:1], s[8:9], 3
	s_mov_b32 s2, s7
	v_pk_mov_b32 v[6:7], 0, 0
	s_waitcnt lgkmcnt(0)
	s_add_u32 s8, s42, s0
	s_addc_u32 s9, s43, s1
	s_add_u32 s10, s48, s0
	s_addc_u32 s11, s49, s1
	s_load_dwordx2 s[8:9], s[8:9], 0x0
	s_ashr_i32 s3, s2, 31
	s_load_dwordx2 s[10:11], s[10:11], 0x0
	s_ashr_i32 s7, s6, 31
	s_lshl_b64 s[28:29], s[2:3], 5
	v_cmp_lt_i64_e64 s[2:3], s[16:17], 1
	v_and_b32_e32 v22, 0x3ff, v0
	v_bfe_u32 v9, v0, 10, 10
	s_lshl_b64 s[6:7], s[6:7], 5
	s_mov_b64 s[30:31], 0
	s_and_b64 vcc, exec, s[2:3]
	v_pk_mov_b32 v[4:5], v[6:7], v[6:7] op_sel:[0,1]
	v_pk_mov_b32 v[2:3], v[6:7], v[6:7] op_sel:[0,1]
	;; [unrolled: 1-line block ×3, first 2 shown]
	s_cbranch_vccnz .LBB224_7
; %bb.1:
	s_add_u32 s2, s26, s0
	v_lshl_add_u32 v2, v9, 4, v22
	s_addc_u32 s3, s27, s1
	s_add_u32 s0, s20, s0
	v_and_b32_e32 v5, 31, v2
	v_lshrrev_b32_e32 v8, 5, v2
	s_addc_u32 s1, s21, s1
	v_lshrrev_b32_e32 v4, 3, v2
	v_mov_b32_e32 v3, s7
	v_or_b32_e32 v2, s6, v5
	v_and_b32_e32 v10, 7, v22
	s_load_dwordx2 s[20:21], s[0:1], 0x0
	v_cmp_gt_i64_e64 s[0:1], s[12:13], v[2:3]
	v_lshlrev_b32_e32 v2, 3, v5
	v_lshl_or_b32 v11, v8, 8, v2
	v_lshlrev_b32_e32 v2, 3, v10
	v_mov_b32_e32 v1, s29
	v_add_co_u32_e32 v0, vcc, s28, v4
	v_lshl_or_b32 v3, v4, 6, v2
	v_addc_co_u32_e32 v1, vcc, 0, v1, vcc
	v_add_u32_e32 v23, 0x800, v3
	v_mov_b32_e32 v3, 0x800
	s_load_dwordx2 s[26:27], s[2:3], 0x0
	v_cmp_gt_i64_e64 s[2:3], s[14:15], v[0:1]
	v_lshl_add_u32 v25, v9, 6, v3
	v_mul_lo_u32 v3, s37, v0
	v_mul_lo_u32 v4, s36, v1
	v_mad_u64_u32 v[0:1], s[34:35], s36, v0, 0
	v_add3_u32 v1, v1, v4, v3
	v_lshlrev_b64 v[0:1], 3, v[0:1]
	s_lshl_b64 s[34:35], s[38:39], 3
	v_mov_b32_e32 v3, s35
	v_add_co_u32_e32 v0, vcc, s34, v0
	v_addc_co_u32_e32 v1, vcc, v1, v3, vcc
	v_add_co_u32_e32 v0, vcc, v0, v2
	v_addc_co_u32_e32 v1, vcc, 0, v1, vcc
	s_waitcnt lgkmcnt(0)
	v_mov_b32_e32 v2, s27
	v_add_co_u32_e32 v12, vcc, s26, v0
	v_addc_co_u32_e32 v13, vcc, v2, v1, vcc
	v_mov_b32_e32 v0, s7
	v_add_co_u32_e32 v1, vcc, s6, v5
	v_addc_co_u32_e32 v0, vcc, 0, v0, vcc
	v_mul_lo_u32 v2, s23, v1
	v_mul_lo_u32 v3, s22, v0
	v_mad_u64_u32 v[0:1], s[22:23], s22, v1, 0
	v_add3_u32 v1, v1, v3, v2
	v_lshlrev_b64 v[0:1], 3, v[0:1]
	s_lshl_b64 s[22:23], s[24:25], 3
	v_mov_b32_e32 v2, s23
	v_add_co_u32_e32 v0, vcc, s22, v0
	v_addc_co_u32_e32 v1, vcc, v1, v2, vcc
	v_lshlrev_b32_e32 v2, 3, v8
	v_add_co_u32_e32 v0, vcc, v0, v2
	v_addc_co_u32_e32 v1, vcc, 0, v1, vcc
	v_mov_b32_e32 v2, s21
	v_add_co_u32_e32 v14, vcc, s20, v0
	v_pk_mov_b32 v[16:17], 0, 0
	v_lshlrev_b32_e32 v24, 3, v22
	v_addc_co_u32_e32 v15, vcc, v2, v1, vcc
	v_pk_mov_b32 v[18:19], s[16:17], s[16:17] op_sel:[0,1]
	v_pk_mov_b32 v[0:1], v[16:17], v[16:17] op_sel:[0,1]
	;; [unrolled: 1-line block ×5, first 2 shown]
	s_branch .LBB224_3
.LBB224_2:                              ;   in Loop: Header=BB224_3 Depth=1
	s_or_b64 exec, exec, s[20:21]
	s_waitcnt vmcnt(0)
	ds_write_b64 v23, v[20:21]
	s_waitcnt lgkmcnt(0)
	s_barrier
	ds_read2_b64 v[26:29], v24 offset1:16
	ds_read_b128 v[30:33], v25
	ds_read_b128 v[34:37], v25 offset:16
	ds_read_b128 v[38:41], v25 offset:32
	;; [unrolled: 1-line block ×4, first 2 shown]
	ds_read2_b64 v[50:53], v24 offset0:32 offset1:48
	s_waitcnt lgkmcnt(5)
	v_fmac_f64_e32 v[6:7], v[26:27], v[30:31]
	v_fmac_f64_e32 v[4:5], v[28:29], v[30:31]
	ds_read_b128 v[54:57], v25 offset:1040
	s_waitcnt lgkmcnt(2)
	v_fmac_f64_e32 v[2:3], v[26:27], v[46:47]
	v_fmac_f64_e32 v[0:1], v[28:29], v[46:47]
	ds_read2_b64 v[26:29], v24 offset0:64 offset1:80
	s_waitcnt lgkmcnt(2)
	v_fmac_f64_e32 v[6:7], v[50:51], v[32:33]
	v_fmac_f64_e32 v[4:5], v[52:53], v[32:33]
	ds_read2_b64 v[30:33], v24 offset0:96 offset1:112
	v_fmac_f64_e32 v[2:3], v[50:51], v[48:49]
	v_fmac_f64_e32 v[0:1], v[52:53], v[48:49]
	ds_read_b128 v[46:49], v25 offset:1072
	s_waitcnt lgkmcnt(2)
	v_fmac_f64_e32 v[6:7], v[26:27], v[34:35]
	v_fmac_f64_e32 v[4:5], v[28:29], v[34:35]
	;; [unrolled: 1-line block ×4, first 2 shown]
	s_waitcnt lgkmcnt(1)
	v_fmac_f64_e32 v[6:7], v[30:31], v[36:37]
	ds_read2_b64 v[26:29], v24 offset0:128 offset1:144
	v_fmac_f64_e32 v[4:5], v[32:33], v[36:37]
	v_fmac_f64_e32 v[2:3], v[30:31], v[56:57]
	;; [unrolled: 1-line block ×3, first 2 shown]
	ds_read_b128 v[30:33], v25 offset:1056
	ds_read2_b64 v[34:37], v24 offset0:160 offset1:176
	s_waitcnt lgkmcnt(2)
	v_fmac_f64_e32 v[6:7], v[26:27], v[38:39]
	v_fmac_f64_e32 v[4:5], v[28:29], v[38:39]
	v_add_co_u32_e32 v12, vcc, 64, v12
	s_waitcnt lgkmcnt(1)
	v_fmac_f64_e32 v[2:3], v[26:27], v[30:31]
	v_fmac_f64_e32 v[0:1], v[28:29], v[30:31]
	ds_read2_b64 v[26:29], v24 offset0:192 offset1:208
	s_waitcnt lgkmcnt(1)
	v_fmac_f64_e32 v[2:3], v[34:35], v[32:33]
	v_fmac_f64_e32 v[0:1], v[36:37], v[32:33]
	ds_read2_b64 v[30:33], v24 offset0:224 offset1:240
	v_addc_co_u32_e32 v13, vcc, 0, v13, vcc
	s_add_u32 s30, s30, 8
	v_add_co_u32_e32 v14, vcc, 64, v14
	v_fmac_f64_e32 v[6:7], v[34:35], v[40:41]
	v_fmac_f64_e32 v[4:5], v[36:37], v[40:41]
	s_addc_u32 s31, s31, 0
	v_addc_co_u32_e32 v15, vcc, 0, v15, vcc
	s_waitcnt lgkmcnt(1)
	v_fmac_f64_e32 v[6:7], v[26:27], v[42:43]
	v_fmac_f64_e32 v[4:5], v[28:29], v[42:43]
	;; [unrolled: 1-line block ×4, first 2 shown]
	v_cmp_lt_i64_e32 vcc, s[30:31], v[18:19]
	s_waitcnt lgkmcnt(0)
	v_fmac_f64_e32 v[6:7], v[30:31], v[44:45]
	v_fmac_f64_e32 v[4:5], v[32:33], v[44:45]
	v_fmac_f64_e32 v[2:3], v[30:31], v[48:49]
	v_fmac_f64_e32 v[0:1], v[32:33], v[48:49]
	s_barrier
	s_cbranch_vccz .LBB224_7
.LBB224_3:                              ; =>This Inner Loop Header: Depth=1
	v_mov_b32_e32 v21, s31
	v_add_co_u32_e32 v20, vcc, s30, v8
	v_addc_co_u32_e32 v21, vcc, 0, v21, vcc
	v_cmp_gt_i64_e32 vcc, s[16:17], v[20:21]
	s_and_b64 s[22:23], s[0:1], vcc
	v_pk_mov_b32 v[20:21], v[16:17], v[16:17] op_sel:[0,1]
	s_and_saveexec_b64 s[20:21], s[22:23]
	s_cbranch_execz .LBB224_5
; %bb.4:                                ;   in Loop: Header=BB224_3 Depth=1
	global_load_dwordx2 v[20:21], v[14:15], off
.LBB224_5:                              ;   in Loop: Header=BB224_3 Depth=1
	s_or_b64 exec, exec, s[20:21]
	s_waitcnt vmcnt(0)
	ds_write_b64 v11, v[20:21]
	v_mov_b32_e32 v21, s31
	v_add_co_u32_e32 v20, vcc, s30, v10
	v_addc_co_u32_e32 v21, vcc, 0, v21, vcc
	v_cmp_gt_i64_e32 vcc, s[16:17], v[20:21]
	s_and_b64 s[22:23], vcc, s[2:3]
	v_pk_mov_b32 v[20:21], v[16:17], v[16:17] op_sel:[0,1]
	s_and_saveexec_b64 s[20:21], s[22:23]
	s_cbranch_execz .LBB224_2
; %bb.6:                                ;   in Loop: Header=BB224_3 Depth=1
	global_load_dwordx2 v[20:21], v[12:13], off
	s_branch .LBB224_2
.LBB224_7:
	s_load_dwordx2 s[0:1], s[4:5], 0x80
	v_mov_b32_e32 v10, s29
	v_add_co_u32_e32 v8, vcc, s28, v9
	v_addc_co_u32_e32 v9, vcc, 0, v10, vcc
	s_waitcnt lgkmcnt(0)
	s_lshl_b64 s[0:1], s[0:1], 3
	s_add_u32 s20, s10, s0
	v_cmp_neq_f64_e64 s[2:3], s[40:41], 0
	s_addc_u32 s21, s11, s1
	v_cmp_gt_i64_e64 s[0:1], s[14:15], v[8:9]
	s_and_b64 vcc, exec, s[2:3]
	s_cbranch_vccnz .LBB224_20
; %bb.8:
	s_and_saveexec_b64 s[10:11], s[0:1]
	s_cbranch_execz .LBB224_18
; %bb.9:
	v_mov_b32_e32 v10, s7
	v_add_co_u32_e32 v12, vcc, s6, v22
	v_addc_co_u32_e32 v13, vcc, 0, v10, vcc
	v_mul_lo_u32 v14, v9, s50
	v_mul_lo_u32 v15, v8, s51
	v_mad_u64_u32 v[10:11], s[2:3], v8, s50, 0
	v_add3_u32 v11, v11, v15, v14
	v_lshlrev_b64 v[10:11], 3, v[10:11]
	v_mov_b32_e32 v15, s21
	v_add_co_u32_e64 v14, s[2:3], s20, v10
	v_cmp_gt_i64_e32 vcc, s[12:13], v[12:13]
	v_addc_co_u32_e64 v15, s[2:3], v15, v11, s[2:3]
	v_lshlrev_b64 v[10:11], 3, v[12:13]
	s_and_saveexec_b64 s[4:5], vcc
	s_cbranch_execz .LBB224_11
; %bb.10:
	v_add_co_u32_e64 v16, s[2:3], v14, v10
	v_addc_co_u32_e64 v17, s[2:3], v15, v11, s[2:3]
	v_mul_f64 v[18:19], v[6:7], s[18:19]
	global_store_dwordx2 v[16:17], v[18:19], off
.LBB224_11:
	s_or_b64 exec, exec, s[4:5]
	v_add_co_u32_e64 v12, s[2:3], 16, v12
	v_addc_co_u32_e64 v13, s[2:3], 0, v13, s[2:3]
	v_cmp_gt_i64_e64 s[2:3], s[12:13], v[12:13]
	s_and_saveexec_b64 s[16:17], s[2:3]
	s_cbranch_execz .LBB224_13
; %bb.12:
	v_add_co_u32_e64 v12, s[4:5], v14, v10
	v_addc_co_u32_e64 v13, s[4:5], v15, v11, s[4:5]
	v_mul_f64 v[16:17], v[4:5], s[18:19]
	global_store_dwordx2 v[12:13], v[16:17], off offset:128
.LBB224_13:
	s_or_b64 exec, exec, s[16:17]
	v_add_co_u32_e64 v12, s[4:5], 16, v8
	v_addc_co_u32_e64 v13, s[4:5], 0, v9, s[4:5]
	v_cmp_gt_i64_e64 s[4:5], s[14:15], v[12:13]
	s_and_b64 exec, exec, s[4:5]
	s_cbranch_execz .LBB224_18
; %bb.14:
	s_lshl_b64 s[4:5], s[50:51], 7
	v_mov_b32_e32 v12, s5
	v_add_co_u32_e64 v13, s[4:5], s4, v14
	v_addc_co_u32_e64 v12, s[4:5], v15, v12, s[4:5]
	v_add_co_u32_e64 v10, s[4:5], v13, v10
	v_addc_co_u32_e64 v11, s[4:5], v12, v11, s[4:5]
	s_and_saveexec_b64 s[4:5], vcc
	s_cbranch_execz .LBB224_16
; %bb.15:
	v_mul_f64 v[12:13], v[2:3], s[18:19]
	global_store_dwordx2 v[10:11], v[12:13], off
.LBB224_16:
	s_or_b64 exec, exec, s[4:5]
	s_and_b64 exec, exec, s[2:3]
	s_cbranch_execz .LBB224_18
; %bb.17:
	v_mul_f64 v[12:13], v[0:1], s[18:19]
	global_store_dwordx2 v[10:11], v[12:13], off offset:128
.LBB224_18:
	s_or_b64 exec, exec, s[10:11]
	s_cbranch_execz .LBB224_21
.LBB224_19:
	s_endpgm
.LBB224_20:
.LBB224_21:
	s_and_saveexec_b64 s[2:3], s[0:1]
	s_cbranch_execz .LBB224_19
; %bb.22:
	s_lshl_b64 s[0:1], s[46:47], 3
	s_add_u32 s2, s8, s0
	v_mov_b32_e32 v10, s7
	v_add_co_u32_e32 v12, vcc, s6, v22
	s_addc_u32 s3, s9, s1
	v_addc_co_u32_e32 v13, vcc, 0, v10, vcc
	v_mul_lo_u32 v14, v9, s44
	v_mul_lo_u32 v15, v8, s45
	v_mad_u64_u32 v[10:11], s[0:1], v8, s44, 0
	v_add3_u32 v11, v11, v15, v14
	v_mul_lo_u32 v14, v9, s50
	v_mul_lo_u32 v15, v8, s51
	v_mad_u64_u32 v[16:17], s[0:1], v8, s50, 0
	v_lshlrev_b64 v[10:11], 3, v[10:11]
	v_add3_u32 v17, v17, v15, v14
	v_mov_b32_e32 v15, s3
	v_add_co_u32_e64 v14, s[0:1], s2, v10
	v_addc_co_u32_e64 v15, s[0:1], v15, v11, s[0:1]
	v_lshlrev_b64 v[10:11], 3, v[16:17]
	v_mov_b32_e32 v17, s21
	v_add_co_u32_e64 v16, s[0:1], s20, v10
	v_cmp_gt_i64_e32 vcc, s[12:13], v[12:13]
	v_addc_co_u32_e64 v17, s[0:1], v17, v11, s[0:1]
	v_lshlrev_b64 v[10:11], 3, v[12:13]
	s_and_saveexec_b64 s[2:3], vcc
	s_cbranch_execz .LBB224_24
; %bb.23:
	v_add_co_u32_e64 v18, s[0:1], v14, v10
	v_addc_co_u32_e64 v19, s[0:1], v15, v11, s[0:1]
	global_load_dwordx2 v[18:19], v[18:19], off
	s_waitcnt vmcnt(0)
	v_mul_f64 v[18:19], v[18:19], s[40:41]
	v_fmac_f64_e32 v[18:19], s[18:19], v[6:7]
	v_add_co_u32_e64 v6, s[0:1], v16, v10
	v_addc_co_u32_e64 v7, s[0:1], v17, v11, s[0:1]
	global_store_dwordx2 v[6:7], v[18:19], off
.LBB224_24:
	s_or_b64 exec, exec, s[2:3]
	v_add_co_u32_e64 v6, s[0:1], 16, v12
	v_addc_co_u32_e64 v7, s[0:1], 0, v13, s[0:1]
	v_cmp_gt_i64_e64 s[0:1], s[12:13], v[6:7]
	s_and_saveexec_b64 s[4:5], s[0:1]
	s_cbranch_execz .LBB224_26
; %bb.25:
	v_add_co_u32_e64 v6, s[2:3], v14, v10
	v_addc_co_u32_e64 v7, s[2:3], v15, v11, s[2:3]
	global_load_dwordx2 v[6:7], v[6:7], off offset:128
	s_waitcnt vmcnt(0)
	v_mul_f64 v[6:7], v[6:7], s[40:41]
	v_fmac_f64_e32 v[6:7], s[18:19], v[4:5]
	v_add_co_u32_e64 v4, s[2:3], v16, v10
	v_addc_co_u32_e64 v5, s[2:3], v17, v11, s[2:3]
	global_store_dwordx2 v[4:5], v[6:7], off offset:128
.LBB224_26:
	s_or_b64 exec, exec, s[4:5]
	v_add_co_u32_e64 v4, s[2:3], 16, v8
	v_addc_co_u32_e64 v5, s[2:3], 0, v9, s[2:3]
	v_cmp_gt_i64_e64 s[2:3], s[14:15], v[4:5]
	s_and_b64 exec, exec, s[2:3]
	s_cbranch_execz .LBB224_19
; %bb.27:
	s_lshl_b64 s[2:3], s[44:45], 7
	v_mov_b32_e32 v4, s3
	v_add_co_u32_e64 v5, s[2:3], s2, v14
	v_addc_co_u32_e64 v6, s[2:3], v15, v4, s[2:3]
	s_lshl_b64 s[2:3], s[50:51], 7
	v_mov_b32_e32 v4, s3
	v_add_co_u32_e64 v7, s[2:3], s2, v16
	v_addc_co_u32_e64 v8, s[2:3], v17, v4, s[2:3]
	v_add_co_u32_e64 v4, s[2:3], v5, v10
	v_addc_co_u32_e64 v5, s[2:3], v6, v11, s[2:3]
	;; [unrolled: 2-line block ×3, first 2 shown]
	s_and_saveexec_b64 s[2:3], vcc
	s_cbranch_execz .LBB224_29
; %bb.28:
	global_load_dwordx2 v[8:9], v[4:5], off
	s_waitcnt vmcnt(0)
	v_mul_f64 v[8:9], v[8:9], s[40:41]
	v_fmac_f64_e32 v[8:9], s[18:19], v[2:3]
	global_store_dwordx2 v[6:7], v[8:9], off
.LBB224_29:
	s_or_b64 exec, exec, s[2:3]
	s_and_b64 exec, exec, s[0:1]
	s_cbranch_execz .LBB224_19
; %bb.30:
	global_load_dwordx2 v[2:3], v[4:5], off offset:128
	s_waitcnt vmcnt(0)
	v_mul_f64 v[2:3], v[2:3], s[40:41]
	v_fmac_f64_e32 v[2:3], s[18:19], v[0:1]
	global_store_dwordx2 v[6:7], v[2:3], off offset:128
	s_endpgm
	.section	.rodata,"a",@progbits
	.p2align	6, 0x0
	.amdhsa_kernel _ZN12_GLOBAL__N_135rocblas_gemm_batched_general_kernelIdLi16ELi16ELi32ELi32ELi8ELi32ELi8ELi8ELi32ELc84ELc78EKPKdS3_KPdEEvlllT_PT11_llS8_llS6_PT12_llPT13_lli
		.amdhsa_group_segment_fixed_size 4096
		.amdhsa_private_segment_fixed_size 0
		.amdhsa_kernarg_size 140
		.amdhsa_user_sgpr_count 6
		.amdhsa_user_sgpr_private_segment_buffer 1
		.amdhsa_user_sgpr_dispatch_ptr 0
		.amdhsa_user_sgpr_queue_ptr 0
		.amdhsa_user_sgpr_kernarg_segment_ptr 1
		.amdhsa_user_sgpr_dispatch_id 0
		.amdhsa_user_sgpr_flat_scratch_init 0
		.amdhsa_user_sgpr_kernarg_preload_length 0
		.amdhsa_user_sgpr_kernarg_preload_offset 0
		.amdhsa_user_sgpr_private_segment_size 0
		.amdhsa_uses_dynamic_stack 0
		.amdhsa_system_sgpr_private_segment_wavefront_offset 0
		.amdhsa_system_sgpr_workgroup_id_x 1
		.amdhsa_system_sgpr_workgroup_id_y 1
		.amdhsa_system_sgpr_workgroup_id_z 1
		.amdhsa_system_sgpr_workgroup_info 0
		.amdhsa_system_vgpr_workitem_id 1
		.amdhsa_next_free_vgpr 58
		.amdhsa_next_free_sgpr 52
		.amdhsa_accum_offset 60
		.amdhsa_reserve_vcc 1
		.amdhsa_reserve_flat_scratch 0
		.amdhsa_float_round_mode_32 0
		.amdhsa_float_round_mode_16_64 0
		.amdhsa_float_denorm_mode_32 3
		.amdhsa_float_denorm_mode_16_64 3
		.amdhsa_dx10_clamp 1
		.amdhsa_ieee_mode 1
		.amdhsa_fp16_overflow 0
		.amdhsa_tg_split 0
		.amdhsa_exception_fp_ieee_invalid_op 0
		.amdhsa_exception_fp_denorm_src 0
		.amdhsa_exception_fp_ieee_div_zero 0
		.amdhsa_exception_fp_ieee_overflow 0
		.amdhsa_exception_fp_ieee_underflow 0
		.amdhsa_exception_fp_ieee_inexact 0
		.amdhsa_exception_int_div_zero 0
	.end_amdhsa_kernel
	.section	.text._ZN12_GLOBAL__N_135rocblas_gemm_batched_general_kernelIdLi16ELi16ELi32ELi32ELi8ELi32ELi8ELi8ELi32ELc84ELc78EKPKdS3_KPdEEvlllT_PT11_llS8_llS6_PT12_llPT13_lli,"axG",@progbits,_ZN12_GLOBAL__N_135rocblas_gemm_batched_general_kernelIdLi16ELi16ELi32ELi32ELi8ELi32ELi8ELi8ELi32ELc84ELc78EKPKdS3_KPdEEvlllT_PT11_llS8_llS6_PT12_llPT13_lli,comdat
.Lfunc_end224:
	.size	_ZN12_GLOBAL__N_135rocblas_gemm_batched_general_kernelIdLi16ELi16ELi32ELi32ELi8ELi32ELi8ELi8ELi32ELc84ELc78EKPKdS3_KPdEEvlllT_PT11_llS8_llS6_PT12_llPT13_lli, .Lfunc_end224-_ZN12_GLOBAL__N_135rocblas_gemm_batched_general_kernelIdLi16ELi16ELi32ELi32ELi8ELi32ELi8ELi8ELi32ELc84ELc78EKPKdS3_KPdEEvlllT_PT11_llS8_llS6_PT12_llPT13_lli
                                        ; -- End function
	.section	.AMDGPU.csdata,"",@progbits
; Kernel info:
; codeLenInByte = 1920
; NumSgprs: 56
; NumVgprs: 58
; NumAgprs: 0
; TotalNumVgprs: 58
; ScratchSize: 0
; MemoryBound: 0
; FloatMode: 240
; IeeeMode: 1
; LDSByteSize: 4096 bytes/workgroup (compile time only)
; SGPRBlocks: 6
; VGPRBlocks: 7
; NumSGPRsForWavesPerEU: 56
; NumVGPRsForWavesPerEU: 58
; AccumOffset: 60
; Occupancy: 8
; WaveLimiterHint : 1
; COMPUTE_PGM_RSRC2:SCRATCH_EN: 0
; COMPUTE_PGM_RSRC2:USER_SGPR: 6
; COMPUTE_PGM_RSRC2:TRAP_HANDLER: 0
; COMPUTE_PGM_RSRC2:TGID_X_EN: 1
; COMPUTE_PGM_RSRC2:TGID_Y_EN: 1
; COMPUTE_PGM_RSRC2:TGID_Z_EN: 1
; COMPUTE_PGM_RSRC2:TIDIG_COMP_CNT: 1
; COMPUTE_PGM_RSRC3_GFX90A:ACCUM_OFFSET: 14
; COMPUTE_PGM_RSRC3_GFX90A:TG_SPLIT: 0
	.section	.text._ZN12_GLOBAL__N_135rocblas_gemm_batched_general_kernelIdLi16ELi16ELi32ELi32ELi8ELi32ELi8ELi8ELi32ELc78ELc84EKPKdS3_KPdEEvlllT_PT11_llS8_llS6_PT12_llPT13_lli,"axG",@progbits,_ZN12_GLOBAL__N_135rocblas_gemm_batched_general_kernelIdLi16ELi16ELi32ELi32ELi8ELi32ELi8ELi8ELi32ELc78ELc84EKPKdS3_KPdEEvlllT_PT11_llS8_llS6_PT12_llPT13_lli,comdat
	.globl	_ZN12_GLOBAL__N_135rocblas_gemm_batched_general_kernelIdLi16ELi16ELi32ELi32ELi8ELi32ELi8ELi8ELi32ELc78ELc84EKPKdS3_KPdEEvlllT_PT11_llS8_llS6_PT12_llPT13_lli ; -- Begin function _ZN12_GLOBAL__N_135rocblas_gemm_batched_general_kernelIdLi16ELi16ELi32ELi32ELi8ELi32ELi8ELi8ELi32ELc78ELc84EKPKdS3_KPdEEvlllT_PT11_llS8_llS6_PT12_llPT13_lli
	.p2align	8
	.type	_ZN12_GLOBAL__N_135rocblas_gemm_batched_general_kernelIdLi16ELi16ELi32ELi32ELi8ELi32ELi8ELi8ELi32ELc78ELc84EKPKdS3_KPdEEvlllT_PT11_llS8_llS6_PT12_llPT13_lli,@function
_ZN12_GLOBAL__N_135rocblas_gemm_batched_general_kernelIdLi16ELi16ELi32ELi32ELi8ELi32ELi8ELi8ELi32ELc78ELc84EKPKdS3_KPdEEvlllT_PT11_llS8_llS6_PT12_llPT13_lli: ; @_ZN12_GLOBAL__N_135rocblas_gemm_batched_general_kernelIdLi16ELi16ELi32ELi32ELi8ELi32ELi8ELi8ELi32ELc78ELc84EKPKdS3_KPdEEvlllT_PT11_llS8_llS6_PT12_llPT13_lli
; %bb.0:
	s_load_dwordx16 s[12:27], s[4:5], 0x0
	s_load_dwordx16 s[36:51], s[4:5], 0x40
	s_mov_b32 s9, 0
	s_lshl_b64 s[0:1], s[8:9], 3
	s_mov_b32 s52, s7
	v_pk_mov_b32 v[6:7], 0, 0
	s_waitcnt lgkmcnt(0)
	s_add_u32 s2, s42, s0
	s_addc_u32 s3, s43, s1
	s_load_dwordx2 s[8:9], s[2:3], 0x0
	s_add_u32 s2, s48, s0
	s_addc_u32 s3, s49, s1
	s_load_dwordx2 s[28:29], s[2:3], 0x0
	s_ashr_i32 s7, s6, 31
	s_ashr_i32 s53, s52, 31
	v_cmp_lt_i64_e64 s[2:3], s[16:17], 1
	v_and_b32_e32 v20, 0x3ff, v0
	v_bfe_u32 v9, v0, 10, 10
	s_lshl_b64 s[10:11], s[6:7], 5
	s_lshl_b64 s[30:31], s[52:53], 5
	s_mov_b64 s[34:35], 0
	s_and_b64 vcc, exec, s[2:3]
	v_pk_mov_b32 v[4:5], v[6:7], v[6:7] op_sel:[0,1]
	v_pk_mov_b32 v[2:3], v[6:7], v[6:7] op_sel:[0,1]
	;; [unrolled: 1-line block ×3, first 2 shown]
	s_cbranch_vccnz .LBB225_7
; %bb.1:
	v_lshl_add_u32 v4, v9, 4, v20
	v_lshrrev_b32_e32 v5, 3, v4
	s_add_u32 s2, s26, s0
	v_mov_b32_e32 v1, s31
	v_add_co_u32_e32 v0, vcc, s30, v5
	s_addc_u32 s3, s27, s1
	v_and_b32_e32 v10, 7, v20
	v_addc_co_u32_e32 v1, vcc, 0, v1, vcc
	s_load_dwordx2 s[26:27], s[2:3], 0x0
	v_cmp_gt_i64_e64 s[2:3], s[14:15], v[0:1]
	v_lshlrev_b32_e32 v0, 3, v10
	v_lshl_or_b32 v0, v5, 6, v0
	s_add_u32 s0, s20, s0
	v_and_b32_e32 v6, 31, v4
	v_add_u32_e32 v21, 0x800, v0
	v_mov_b32_e32 v0, 0x800
	s_addc_u32 s1, s21, s1
	v_mov_b32_e32 v3, s11
	v_or_b32_e32 v2, s10, v6
	v_lshl_add_u32 v23, v9, 6, v0
	v_mad_u64_u32 v[0:1], s[20:21], s36, v10, 0
	s_load_dwordx2 s[42:43], s[0:1], 0x0
	v_cmp_gt_i64_e64 s[0:1], s[12:13], v[2:3]
	v_mov_b32_e32 v2, v1
	v_mad_u64_u32 v[2:3], s[20:21], s37, v10, v[2:3]
	s_lshl_b64 s[20:21], s[52:53], 8
	s_lshl_b64 s[38:39], s[38:39], 3
	v_mov_b32_e32 v1, v2
	s_add_u32 s20, s38, s20
	v_lshlrev_b64 v[0:1], 3, v[0:1]
	s_addc_u32 s21, s39, s21
	v_mov_b32_e32 v2, s21
	v_add_co_u32_e32 v0, vcc, s20, v0
	v_addc_co_u32_e32 v1, vcc, v2, v1, vcc
	v_and_b32_e32 v2, 0x7ff8, v4
	v_add_co_u32_e32 v0, vcc, v0, v2
	v_addc_co_u32_e32 v1, vcc, 0, v1, vcc
	v_lshrrev_b32_e32 v8, 5, v4
	s_waitcnt lgkmcnt(0)
	v_mov_b32_e32 v2, s27
	v_add_co_u32_e32 v12, vcc, s26, v0
	v_addc_co_u32_e32 v13, vcc, v2, v1, vcc
	v_mad_u64_u32 v[0:1], s[26:27], s22, v8, 0
	v_mov_b32_e32 v2, v1
	s_lshl_b64 s[20:21], s[36:37], 6
	v_mad_u64_u32 v[2:3], s[26:27], s23, v8, v[2:3]
	s_lshl_b64 s[6:7], s[6:7], 8
	s_lshl_b64 s[24:25], s[24:25], 3
	v_mov_b32_e32 v1, v2
	s_add_u32 s6, s24, s6
	v_lshlrev_b64 v[0:1], 3, v[0:1]
	s_addc_u32 s7, s25, s7
	v_mov_b32_e32 v2, s7
	v_add_co_u32_e32 v0, vcc, s6, v0
	v_lshlrev_b32_e32 v6, 3, v6
	v_addc_co_u32_e32 v1, vcc, v2, v1, vcc
	v_add_co_u32_e32 v0, vcc, v0, v6
	v_addc_co_u32_e32 v1, vcc, 0, v1, vcc
	v_mov_b32_e32 v2, s43
	v_add_co_u32_e32 v14, vcc, s42, v0
	v_pk_mov_b32 v[16:17], 0, 0
	v_lshl_or_b32 v11, v8, 8, v6
	v_lshlrev_b32_e32 v22, 3, v20
	v_addc_co_u32_e32 v15, vcc, v2, v1, vcc
	s_lshl_b64 s[6:7], s[22:23], 6
	v_pk_mov_b32 v[0:1], v[16:17], v[16:17] op_sel:[0,1]
	v_pk_mov_b32 v[2:3], v[16:17], v[16:17] op_sel:[0,1]
	;; [unrolled: 1-line block ×4, first 2 shown]
	s_branch .LBB225_3
.LBB225_2:                              ;   in Loop: Header=BB225_3 Depth=1
	s_or_b64 exec, exec, s[22:23]
	s_waitcnt vmcnt(0)
	ds_write_b64 v21, v[18:19]
	s_waitcnt lgkmcnt(0)
	s_barrier
	ds_read2_b64 v[24:27], v22 offset1:16
	ds_read_b128 v[28:31], v23
	ds_read_b128 v[32:35], v23 offset:16
	ds_read_b128 v[36:39], v23 offset:32
	;; [unrolled: 1-line block ×4, first 2 shown]
	ds_read2_b64 v[48:51], v22 offset0:32 offset1:48
	s_waitcnt lgkmcnt(5)
	v_fmac_f64_e32 v[6:7], v[24:25], v[28:29]
	v_fmac_f64_e32 v[4:5], v[26:27], v[28:29]
	ds_read_b128 v[52:55], v23 offset:1040
	s_waitcnt lgkmcnt(2)
	v_fmac_f64_e32 v[2:3], v[24:25], v[44:45]
	v_fmac_f64_e32 v[0:1], v[26:27], v[44:45]
	ds_read2_b64 v[24:27], v22 offset0:64 offset1:80
	s_waitcnt lgkmcnt(2)
	v_fmac_f64_e32 v[6:7], v[48:49], v[30:31]
	v_fmac_f64_e32 v[4:5], v[50:51], v[30:31]
	ds_read2_b64 v[28:31], v22 offset0:96 offset1:112
	v_fmac_f64_e32 v[2:3], v[48:49], v[46:47]
	v_fmac_f64_e32 v[0:1], v[50:51], v[46:47]
	ds_read_b128 v[44:47], v23 offset:1072
	s_waitcnt lgkmcnt(2)
	v_fmac_f64_e32 v[6:7], v[24:25], v[32:33]
	v_fmac_f64_e32 v[4:5], v[26:27], v[32:33]
	;; [unrolled: 1-line block ×4, first 2 shown]
	s_waitcnt lgkmcnt(1)
	v_fmac_f64_e32 v[6:7], v[28:29], v[34:35]
	ds_read2_b64 v[24:27], v22 offset0:128 offset1:144
	v_fmac_f64_e32 v[4:5], v[30:31], v[34:35]
	v_fmac_f64_e32 v[2:3], v[28:29], v[54:55]
	;; [unrolled: 1-line block ×3, first 2 shown]
	ds_read_b128 v[28:31], v23 offset:1056
	ds_read2_b64 v[32:35], v22 offset0:160 offset1:176
	s_waitcnt lgkmcnt(2)
	v_fmac_f64_e32 v[6:7], v[24:25], v[36:37]
	v_fmac_f64_e32 v[4:5], v[26:27], v[36:37]
	v_mov_b32_e32 v18, s21
	s_waitcnt lgkmcnt(1)
	v_fmac_f64_e32 v[2:3], v[24:25], v[28:29]
	v_fmac_f64_e32 v[0:1], v[26:27], v[28:29]
	ds_read2_b64 v[24:27], v22 offset0:192 offset1:208
	s_waitcnt lgkmcnt(1)
	v_fmac_f64_e32 v[2:3], v[32:33], v[30:31]
	v_fmac_f64_e32 v[0:1], v[34:35], v[30:31]
	ds_read2_b64 v[28:31], v22 offset0:224 offset1:240
	v_add_co_u32_e32 v12, vcc, s20, v12
	v_addc_co_u32_e32 v13, vcc, v13, v18, vcc
	s_add_u32 s34, s34, 8
	v_mov_b32_e32 v18, s7
	v_add_co_u32_e32 v14, vcc, s6, v14
	v_fmac_f64_e32 v[6:7], v[32:33], v[38:39]
	v_fmac_f64_e32 v[4:5], v[34:35], v[38:39]
	s_addc_u32 s35, s35, 0
	v_addc_co_u32_e32 v15, vcc, v15, v18, vcc
	v_pk_mov_b32 v[18:19], s[16:17], s[16:17] op_sel:[0,1]
	s_waitcnt lgkmcnt(1)
	v_fmac_f64_e32 v[6:7], v[24:25], v[40:41]
	v_fmac_f64_e32 v[4:5], v[26:27], v[40:41]
	;; [unrolled: 1-line block ×4, first 2 shown]
	v_cmp_lt_i64_e32 vcc, s[34:35], v[18:19]
	s_waitcnt lgkmcnt(0)
	v_fmac_f64_e32 v[6:7], v[28:29], v[42:43]
	v_fmac_f64_e32 v[4:5], v[30:31], v[42:43]
	;; [unrolled: 1-line block ×4, first 2 shown]
	s_barrier
	s_cbranch_vccz .LBB225_7
.LBB225_3:                              ; =>This Inner Loop Header: Depth=1
	v_mov_b32_e32 v19, s35
	v_add_co_u32_e32 v18, vcc, s34, v8
	v_addc_co_u32_e32 v19, vcc, 0, v19, vcc
	v_cmp_gt_i64_e32 vcc, s[16:17], v[18:19]
	s_and_b64 s[24:25], s[0:1], vcc
	v_pk_mov_b32 v[18:19], v[16:17], v[16:17] op_sel:[0,1]
	s_and_saveexec_b64 s[22:23], s[24:25]
	s_cbranch_execz .LBB225_5
; %bb.4:                                ;   in Loop: Header=BB225_3 Depth=1
	global_load_dwordx2 v[18:19], v[14:15], off
.LBB225_5:                              ;   in Loop: Header=BB225_3 Depth=1
	s_or_b64 exec, exec, s[22:23]
	s_waitcnt vmcnt(0)
	ds_write_b64 v11, v[18:19]
	v_mov_b32_e32 v19, s35
	v_add_co_u32_e32 v18, vcc, s34, v10
	v_addc_co_u32_e32 v19, vcc, 0, v19, vcc
	v_cmp_gt_i64_e32 vcc, s[16:17], v[18:19]
	s_and_b64 s[24:25], vcc, s[2:3]
	v_pk_mov_b32 v[18:19], v[16:17], v[16:17] op_sel:[0,1]
	s_and_saveexec_b64 s[22:23], s[24:25]
	s_cbranch_execz .LBB225_2
; %bb.6:                                ;   in Loop: Header=BB225_3 Depth=1
	global_load_dwordx2 v[18:19], v[12:13], off
	s_branch .LBB225_2
.LBB225_7:
	s_load_dwordx2 s[0:1], s[4:5], 0x80
	v_mov_b32_e32 v10, s31
	v_add_co_u32_e32 v8, vcc, s30, v9
	v_addc_co_u32_e32 v9, vcc, 0, v10, vcc
	s_waitcnt lgkmcnt(0)
	s_lshl_b64 s[0:1], s[0:1], 3
	s_add_u32 s20, s28, s0
	v_cmp_neq_f64_e64 s[2:3], s[40:41], 0
	s_addc_u32 s21, s29, s1
	v_cmp_gt_i64_e64 s[0:1], s[14:15], v[8:9]
	s_and_b64 vcc, exec, s[2:3]
	s_cbranch_vccnz .LBB225_20
; %bb.8:
	s_and_saveexec_b64 s[6:7], s[0:1]
	s_cbranch_execz .LBB225_18
; %bb.9:
	v_mov_b32_e32 v10, s11
	v_add_co_u32_e32 v12, vcc, s10, v20
	v_addc_co_u32_e32 v13, vcc, 0, v10, vcc
	v_mul_lo_u32 v14, v9, s50
	v_mul_lo_u32 v15, v8, s51
	v_mad_u64_u32 v[10:11], s[2:3], v8, s50, 0
	v_add3_u32 v11, v11, v15, v14
	v_lshlrev_b64 v[10:11], 3, v[10:11]
	v_mov_b32_e32 v15, s21
	v_add_co_u32_e64 v14, s[2:3], s20, v10
	v_cmp_gt_i64_e32 vcc, s[12:13], v[12:13]
	v_addc_co_u32_e64 v15, s[2:3], v15, v11, s[2:3]
	v_lshlrev_b64 v[10:11], 3, v[12:13]
	s_and_saveexec_b64 s[4:5], vcc
	s_cbranch_execz .LBB225_11
; %bb.10:
	v_add_co_u32_e64 v16, s[2:3], v14, v10
	v_addc_co_u32_e64 v17, s[2:3], v15, v11, s[2:3]
	v_mul_f64 v[18:19], v[6:7], s[18:19]
	global_store_dwordx2 v[16:17], v[18:19], off
.LBB225_11:
	s_or_b64 exec, exec, s[4:5]
	v_add_co_u32_e64 v12, s[2:3], 16, v12
	v_addc_co_u32_e64 v13, s[2:3], 0, v13, s[2:3]
	v_cmp_gt_i64_e64 s[2:3], s[12:13], v[12:13]
	s_and_saveexec_b64 s[16:17], s[2:3]
	s_cbranch_execz .LBB225_13
; %bb.12:
	v_add_co_u32_e64 v12, s[4:5], v14, v10
	v_addc_co_u32_e64 v13, s[4:5], v15, v11, s[4:5]
	v_mul_f64 v[16:17], v[4:5], s[18:19]
	global_store_dwordx2 v[12:13], v[16:17], off offset:128
.LBB225_13:
	s_or_b64 exec, exec, s[16:17]
	v_add_co_u32_e64 v12, s[4:5], 16, v8
	v_addc_co_u32_e64 v13, s[4:5], 0, v9, s[4:5]
	v_cmp_gt_i64_e64 s[4:5], s[14:15], v[12:13]
	s_and_b64 exec, exec, s[4:5]
	s_cbranch_execz .LBB225_18
; %bb.14:
	s_lshl_b64 s[4:5], s[50:51], 7
	v_mov_b32_e32 v12, s5
	v_add_co_u32_e64 v13, s[4:5], s4, v14
	v_addc_co_u32_e64 v12, s[4:5], v15, v12, s[4:5]
	v_add_co_u32_e64 v10, s[4:5], v13, v10
	v_addc_co_u32_e64 v11, s[4:5], v12, v11, s[4:5]
	s_and_saveexec_b64 s[4:5], vcc
	s_cbranch_execz .LBB225_16
; %bb.15:
	v_mul_f64 v[12:13], v[2:3], s[18:19]
	global_store_dwordx2 v[10:11], v[12:13], off
.LBB225_16:
	s_or_b64 exec, exec, s[4:5]
	s_and_b64 exec, exec, s[2:3]
	s_cbranch_execz .LBB225_18
; %bb.17:
	v_mul_f64 v[12:13], v[0:1], s[18:19]
	global_store_dwordx2 v[10:11], v[12:13], off offset:128
.LBB225_18:
	s_or_b64 exec, exec, s[6:7]
	s_cbranch_execz .LBB225_21
.LBB225_19:
	s_endpgm
.LBB225_20:
.LBB225_21:
	s_and_saveexec_b64 s[2:3], s[0:1]
	s_cbranch_execz .LBB225_19
; %bb.22:
	s_lshl_b64 s[0:1], s[46:47], 3
	s_add_u32 s2, s8, s0
	v_mov_b32_e32 v10, s11
	v_add_co_u32_e32 v12, vcc, s10, v20
	s_addc_u32 s3, s9, s1
	v_addc_co_u32_e32 v13, vcc, 0, v10, vcc
	v_mul_lo_u32 v14, v9, s44
	v_mul_lo_u32 v15, v8, s45
	v_mad_u64_u32 v[10:11], s[0:1], v8, s44, 0
	v_add3_u32 v11, v11, v15, v14
	v_mul_lo_u32 v14, v9, s50
	v_mul_lo_u32 v15, v8, s51
	v_mad_u64_u32 v[16:17], s[0:1], v8, s50, 0
	v_lshlrev_b64 v[10:11], 3, v[10:11]
	v_add3_u32 v17, v17, v15, v14
	v_mov_b32_e32 v15, s3
	v_add_co_u32_e64 v14, s[0:1], s2, v10
	v_addc_co_u32_e64 v15, s[0:1], v15, v11, s[0:1]
	v_lshlrev_b64 v[10:11], 3, v[16:17]
	v_mov_b32_e32 v17, s21
	v_add_co_u32_e64 v16, s[0:1], s20, v10
	v_cmp_gt_i64_e32 vcc, s[12:13], v[12:13]
	v_addc_co_u32_e64 v17, s[0:1], v17, v11, s[0:1]
	v_lshlrev_b64 v[10:11], 3, v[12:13]
	s_and_saveexec_b64 s[2:3], vcc
	s_cbranch_execz .LBB225_24
; %bb.23:
	v_add_co_u32_e64 v18, s[0:1], v14, v10
	v_addc_co_u32_e64 v19, s[0:1], v15, v11, s[0:1]
	global_load_dwordx2 v[18:19], v[18:19], off
	s_waitcnt vmcnt(0)
	v_mul_f64 v[18:19], v[18:19], s[40:41]
	v_fmac_f64_e32 v[18:19], s[18:19], v[6:7]
	v_add_co_u32_e64 v6, s[0:1], v16, v10
	v_addc_co_u32_e64 v7, s[0:1], v17, v11, s[0:1]
	global_store_dwordx2 v[6:7], v[18:19], off
.LBB225_24:
	s_or_b64 exec, exec, s[2:3]
	v_add_co_u32_e64 v6, s[0:1], 16, v12
	v_addc_co_u32_e64 v7, s[0:1], 0, v13, s[0:1]
	v_cmp_gt_i64_e64 s[0:1], s[12:13], v[6:7]
	s_and_saveexec_b64 s[4:5], s[0:1]
	s_cbranch_execz .LBB225_26
; %bb.25:
	v_add_co_u32_e64 v6, s[2:3], v14, v10
	v_addc_co_u32_e64 v7, s[2:3], v15, v11, s[2:3]
	global_load_dwordx2 v[6:7], v[6:7], off offset:128
	s_waitcnt vmcnt(0)
	v_mul_f64 v[6:7], v[6:7], s[40:41]
	v_fmac_f64_e32 v[6:7], s[18:19], v[4:5]
	v_add_co_u32_e64 v4, s[2:3], v16, v10
	v_addc_co_u32_e64 v5, s[2:3], v17, v11, s[2:3]
	global_store_dwordx2 v[4:5], v[6:7], off offset:128
.LBB225_26:
	s_or_b64 exec, exec, s[4:5]
	v_add_co_u32_e64 v4, s[2:3], 16, v8
	v_addc_co_u32_e64 v5, s[2:3], 0, v9, s[2:3]
	v_cmp_gt_i64_e64 s[2:3], s[14:15], v[4:5]
	s_and_b64 exec, exec, s[2:3]
	s_cbranch_execz .LBB225_19
; %bb.27:
	s_lshl_b64 s[2:3], s[44:45], 7
	v_mov_b32_e32 v4, s3
	v_add_co_u32_e64 v5, s[2:3], s2, v14
	v_addc_co_u32_e64 v6, s[2:3], v15, v4, s[2:3]
	s_lshl_b64 s[2:3], s[50:51], 7
	v_mov_b32_e32 v4, s3
	v_add_co_u32_e64 v7, s[2:3], s2, v16
	v_addc_co_u32_e64 v8, s[2:3], v17, v4, s[2:3]
	v_add_co_u32_e64 v4, s[2:3], v5, v10
	v_addc_co_u32_e64 v5, s[2:3], v6, v11, s[2:3]
	;; [unrolled: 2-line block ×3, first 2 shown]
	s_and_saveexec_b64 s[2:3], vcc
	s_cbranch_execz .LBB225_29
; %bb.28:
	global_load_dwordx2 v[8:9], v[4:5], off
	s_waitcnt vmcnt(0)
	v_mul_f64 v[8:9], v[8:9], s[40:41]
	v_fmac_f64_e32 v[8:9], s[18:19], v[2:3]
	global_store_dwordx2 v[6:7], v[8:9], off
.LBB225_29:
	s_or_b64 exec, exec, s[2:3]
	s_and_b64 exec, exec, s[0:1]
	s_cbranch_execz .LBB225_19
; %bb.30:
	global_load_dwordx2 v[2:3], v[4:5], off offset:128
	s_waitcnt vmcnt(0)
	v_mul_f64 v[2:3], v[2:3], s[40:41]
	v_fmac_f64_e32 v[2:3], s[18:19], v[0:1]
	global_store_dwordx2 v[6:7], v[2:3], off offset:128
	s_endpgm
	.section	.rodata,"a",@progbits
	.p2align	6, 0x0
	.amdhsa_kernel _ZN12_GLOBAL__N_135rocblas_gemm_batched_general_kernelIdLi16ELi16ELi32ELi32ELi8ELi32ELi8ELi8ELi32ELc78ELc84EKPKdS3_KPdEEvlllT_PT11_llS8_llS6_PT12_llPT13_lli
		.amdhsa_group_segment_fixed_size 4096
		.amdhsa_private_segment_fixed_size 0
		.amdhsa_kernarg_size 140
		.amdhsa_user_sgpr_count 6
		.amdhsa_user_sgpr_private_segment_buffer 1
		.amdhsa_user_sgpr_dispatch_ptr 0
		.amdhsa_user_sgpr_queue_ptr 0
		.amdhsa_user_sgpr_kernarg_segment_ptr 1
		.amdhsa_user_sgpr_dispatch_id 0
		.amdhsa_user_sgpr_flat_scratch_init 0
		.amdhsa_user_sgpr_kernarg_preload_length 0
		.amdhsa_user_sgpr_kernarg_preload_offset 0
		.amdhsa_user_sgpr_private_segment_size 0
		.amdhsa_uses_dynamic_stack 0
		.amdhsa_system_sgpr_private_segment_wavefront_offset 0
		.amdhsa_system_sgpr_workgroup_id_x 1
		.amdhsa_system_sgpr_workgroup_id_y 1
		.amdhsa_system_sgpr_workgroup_id_z 1
		.amdhsa_system_sgpr_workgroup_info 0
		.amdhsa_system_vgpr_workitem_id 1
		.amdhsa_next_free_vgpr 56
		.amdhsa_next_free_sgpr 54
		.amdhsa_accum_offset 56
		.amdhsa_reserve_vcc 1
		.amdhsa_reserve_flat_scratch 0
		.amdhsa_float_round_mode_32 0
		.amdhsa_float_round_mode_16_64 0
		.amdhsa_float_denorm_mode_32 3
		.amdhsa_float_denorm_mode_16_64 3
		.amdhsa_dx10_clamp 1
		.amdhsa_ieee_mode 1
		.amdhsa_fp16_overflow 0
		.amdhsa_tg_split 0
		.amdhsa_exception_fp_ieee_invalid_op 0
		.amdhsa_exception_fp_denorm_src 0
		.amdhsa_exception_fp_ieee_div_zero 0
		.amdhsa_exception_fp_ieee_overflow 0
		.amdhsa_exception_fp_ieee_underflow 0
		.amdhsa_exception_fp_ieee_inexact 0
		.amdhsa_exception_int_div_zero 0
	.end_amdhsa_kernel
	.section	.text._ZN12_GLOBAL__N_135rocblas_gemm_batched_general_kernelIdLi16ELi16ELi32ELi32ELi8ELi32ELi8ELi8ELi32ELc78ELc84EKPKdS3_KPdEEvlllT_PT11_llS8_llS6_PT12_llPT13_lli,"axG",@progbits,_ZN12_GLOBAL__N_135rocblas_gemm_batched_general_kernelIdLi16ELi16ELi32ELi32ELi8ELi32ELi8ELi8ELi32ELc78ELc84EKPKdS3_KPdEEvlllT_PT11_llS8_llS6_PT12_llPT13_lli,comdat
.Lfunc_end225:
	.size	_ZN12_GLOBAL__N_135rocblas_gemm_batched_general_kernelIdLi16ELi16ELi32ELi32ELi8ELi32ELi8ELi8ELi32ELc78ELc84EKPKdS3_KPdEEvlllT_PT11_llS8_llS6_PT12_llPT13_lli, .Lfunc_end225-_ZN12_GLOBAL__N_135rocblas_gemm_batched_general_kernelIdLi16ELi16ELi32ELi32ELi8ELi32ELi8ELi8ELi32ELc78ELc84EKPKdS3_KPdEEvlllT_PT11_llS8_llS6_PT12_llPT13_lli
                                        ; -- End function
	.section	.AMDGPU.csdata,"",@progbits
; Kernel info:
; codeLenInByte = 1936
; NumSgprs: 58
; NumVgprs: 56
; NumAgprs: 0
; TotalNumVgprs: 56
; ScratchSize: 0
; MemoryBound: 0
; FloatMode: 240
; IeeeMode: 1
; LDSByteSize: 4096 bytes/workgroup (compile time only)
; SGPRBlocks: 7
; VGPRBlocks: 6
; NumSGPRsForWavesPerEU: 58
; NumVGPRsForWavesPerEU: 56
; AccumOffset: 56
; Occupancy: 8
; WaveLimiterHint : 1
; COMPUTE_PGM_RSRC2:SCRATCH_EN: 0
; COMPUTE_PGM_RSRC2:USER_SGPR: 6
; COMPUTE_PGM_RSRC2:TRAP_HANDLER: 0
; COMPUTE_PGM_RSRC2:TGID_X_EN: 1
; COMPUTE_PGM_RSRC2:TGID_Y_EN: 1
; COMPUTE_PGM_RSRC2:TGID_Z_EN: 1
; COMPUTE_PGM_RSRC2:TIDIG_COMP_CNT: 1
; COMPUTE_PGM_RSRC3_GFX90A:ACCUM_OFFSET: 13
; COMPUTE_PGM_RSRC3_GFX90A:TG_SPLIT: 0
	.section	.text._ZN12_GLOBAL__N_135rocblas_gemm_batched_general_kernelIdLi16ELi16ELi32ELi32ELi8ELi32ELi8ELi8ELi32ELc84ELc84EKPKdS3_KPdEEvlllT_PT11_llS8_llS6_PT12_llPT13_lli,"axG",@progbits,_ZN12_GLOBAL__N_135rocblas_gemm_batched_general_kernelIdLi16ELi16ELi32ELi32ELi8ELi32ELi8ELi8ELi32ELc84ELc84EKPKdS3_KPdEEvlllT_PT11_llS8_llS6_PT12_llPT13_lli,comdat
	.globl	_ZN12_GLOBAL__N_135rocblas_gemm_batched_general_kernelIdLi16ELi16ELi32ELi32ELi8ELi32ELi8ELi8ELi32ELc84ELc84EKPKdS3_KPdEEvlllT_PT11_llS8_llS6_PT12_llPT13_lli ; -- Begin function _ZN12_GLOBAL__N_135rocblas_gemm_batched_general_kernelIdLi16ELi16ELi32ELi32ELi8ELi32ELi8ELi8ELi32ELc84ELc84EKPKdS3_KPdEEvlllT_PT11_llS8_llS6_PT12_llPT13_lli
	.p2align	8
	.type	_ZN12_GLOBAL__N_135rocblas_gemm_batched_general_kernelIdLi16ELi16ELi32ELi32ELi8ELi32ELi8ELi8ELi32ELc84ELc84EKPKdS3_KPdEEvlllT_PT11_llS8_llS6_PT12_llPT13_lli,@function
_ZN12_GLOBAL__N_135rocblas_gemm_batched_general_kernelIdLi16ELi16ELi32ELi32ELi8ELi32ELi8ELi8ELi32ELc84ELc84EKPKdS3_KPdEEvlllT_PT11_llS8_llS6_PT12_llPT13_lli: ; @_ZN12_GLOBAL__N_135rocblas_gemm_batched_general_kernelIdLi16ELi16ELi32ELi32ELi8ELi32ELi8ELi8ELi32ELc84ELc84EKPKdS3_KPdEEvlllT_PT11_llS8_llS6_PT12_llPT13_lli
; %bb.0:
	s_load_dwordx16 s[12:27], s[4:5], 0x0
	s_load_dwordx16 s[36:51], s[4:5], 0x40
	s_mov_b32 s9, 0
	s_lshl_b64 s[0:1], s[8:9], 3
	s_mov_b32 s34, s7
	v_pk_mov_b32 v[6:7], 0, 0
	s_waitcnt lgkmcnt(0)
	s_add_u32 s2, s42, s0
	s_addc_u32 s3, s43, s1
	s_load_dwordx2 s[8:9], s[2:3], 0x0
	s_add_u32 s2, s48, s0
	s_addc_u32 s3, s49, s1
	s_load_dwordx2 s[10:11], s[2:3], 0x0
	s_ashr_i32 s7, s6, 31
	s_ashr_i32 s35, s34, 31
	v_cmp_lt_i64_e64 s[2:3], s[16:17], 1
	v_and_b32_e32 v20, 0x3ff, v0
	v_bfe_u32 v9, v0, 10, 10
	s_lshl_b64 s[6:7], s[6:7], 5
	s_lshl_b64 s[28:29], s[34:35], 5
	s_mov_b64 s[30:31], 0
	s_and_b64 vcc, exec, s[2:3]
	v_pk_mov_b32 v[4:5], v[6:7], v[6:7] op_sel:[0,1]
	v_pk_mov_b32 v[2:3], v[6:7], v[6:7] op_sel:[0,1]
	;; [unrolled: 1-line block ×3, first 2 shown]
	s_cbranch_vccnz .LBB226_7
; %bb.1:
	v_lshl_add_u32 v4, v9, 4, v20
	v_lshrrev_b32_e32 v5, 3, v4
	s_add_u32 s2, s26, s0
	v_mov_b32_e32 v1, s29
	v_add_co_u32_e32 v0, vcc, s28, v5
	s_addc_u32 s3, s27, s1
	v_and_b32_e32 v10, 7, v20
	v_addc_co_u32_e32 v1, vcc, 0, v1, vcc
	s_load_dwordx2 s[26:27], s[2:3], 0x0
	v_cmp_gt_i64_e64 s[2:3], s[14:15], v[0:1]
	v_lshlrev_b32_e32 v0, 3, v10
	s_add_u32 s0, s20, s0
	v_and_b32_e32 v6, 31, v4
	v_lshl_or_b32 v0, v5, 6, v0
	s_addc_u32 s1, s21, s1
	v_mov_b32_e32 v3, s7
	v_or_b32_e32 v2, s6, v6
	v_add_u32_e32 v21, 0x800, v0
	v_mov_b32_e32 v0, 0x800
	v_lshrrev_b32_e32 v8, 5, v4
	s_load_dwordx2 s[42:43], s[0:1], 0x0
	v_cmp_gt_i64_e64 s[0:1], s[12:13], v[2:3]
	v_lshlrev_b32_e32 v2, 3, v6
	v_lshl_add_u32 v23, v9, 6, v0
	v_mad_u64_u32 v[0:1], s[20:21], s36, v10, 0
	v_lshl_or_b32 v11, v8, 8, v2
	v_mov_b32_e32 v2, v1
	v_mad_u64_u32 v[2:3], s[20:21], s37, v10, v[2:3]
	s_lshl_b64 s[20:21], s[34:35], 8
	s_lshl_b64 s[34:35], s[38:39], 3
	v_mov_b32_e32 v1, v2
	s_add_u32 s20, s34, s20
	v_lshlrev_b64 v[0:1], 3, v[0:1]
	s_addc_u32 s21, s35, s21
	v_mov_b32_e32 v2, s21
	v_add_co_u32_e32 v0, vcc, s20, v0
	v_addc_co_u32_e32 v1, vcc, v2, v1, vcc
	v_and_b32_e32 v2, 0x7ff8, v4
	v_add_co_u32_e32 v0, vcc, v0, v2
	v_addc_co_u32_e32 v1, vcc, 0, v1, vcc
	s_waitcnt lgkmcnt(0)
	v_mov_b32_e32 v2, s27
	v_add_co_u32_e32 v12, vcc, s26, v0
	v_addc_co_u32_e32 v13, vcc, v2, v1, vcc
	v_mov_b32_e32 v0, s7
	v_add_co_u32_e32 v1, vcc, s6, v6
	v_addc_co_u32_e32 v0, vcc, 0, v0, vcc
	v_mul_lo_u32 v2, s23, v1
	v_mul_lo_u32 v3, s22, v0
	v_mad_u64_u32 v[0:1], s[22:23], s22, v1, 0
	v_add3_u32 v1, v1, v3, v2
	v_lshlrev_b64 v[0:1], 3, v[0:1]
	s_lshl_b64 s[22:23], s[24:25], 3
	v_mov_b32_e32 v2, s23
	v_add_co_u32_e32 v0, vcc, s22, v0
	v_addc_co_u32_e32 v1, vcc, v1, v2, vcc
	v_lshlrev_b32_e32 v2, 3, v8
	v_add_co_u32_e32 v0, vcc, v0, v2
	v_addc_co_u32_e32 v1, vcc, 0, v1, vcc
	s_lshl_b64 s[20:21], s[36:37], 6
	v_mov_b32_e32 v2, s43
	v_add_co_u32_e32 v14, vcc, s42, v0
	v_pk_mov_b32 v[16:17], 0, 0
	v_lshlrev_b32_e32 v22, 3, v20
	v_addc_co_u32_e32 v15, vcc, v2, v1, vcc
	v_mov_b32_e32 v24, s21
	v_pk_mov_b32 v[0:1], v[16:17], v[16:17] op_sel:[0,1]
	v_pk_mov_b32 v[2:3], v[16:17], v[16:17] op_sel:[0,1]
	;; [unrolled: 1-line block ×4, first 2 shown]
	s_branch .LBB226_3
.LBB226_2:                              ;   in Loop: Header=BB226_3 Depth=1
	s_or_b64 exec, exec, s[22:23]
	s_waitcnt vmcnt(0)
	ds_write_b64 v21, v[18:19]
	s_waitcnt lgkmcnt(0)
	s_barrier
	ds_read2_b64 v[26:29], v22 offset1:16
	ds_read_b128 v[30:33], v23
	ds_read_b128 v[34:37], v23 offset:16
	ds_read_b128 v[38:41], v23 offset:32
	ds_read_b128 v[42:45], v23 offset:48
	ds_read_b128 v[46:49], v23 offset:1024
	ds_read2_b64 v[50:53], v22 offset0:32 offset1:48
	s_waitcnt lgkmcnt(5)
	v_fmac_f64_e32 v[6:7], v[26:27], v[30:31]
	v_fmac_f64_e32 v[4:5], v[28:29], v[30:31]
	ds_read_b128 v[54:57], v23 offset:1040
	s_waitcnt lgkmcnt(2)
	v_fmac_f64_e32 v[2:3], v[26:27], v[46:47]
	v_fmac_f64_e32 v[0:1], v[28:29], v[46:47]
	ds_read2_b64 v[26:29], v22 offset0:64 offset1:80
	s_waitcnt lgkmcnt(2)
	v_fmac_f64_e32 v[6:7], v[50:51], v[32:33]
	v_fmac_f64_e32 v[4:5], v[52:53], v[32:33]
	ds_read2_b64 v[30:33], v22 offset0:96 offset1:112
	v_fmac_f64_e32 v[2:3], v[50:51], v[48:49]
	v_fmac_f64_e32 v[0:1], v[52:53], v[48:49]
	ds_read_b128 v[46:49], v23 offset:1072
	s_waitcnt lgkmcnt(2)
	v_fmac_f64_e32 v[6:7], v[26:27], v[34:35]
	v_fmac_f64_e32 v[4:5], v[28:29], v[34:35]
	;; [unrolled: 1-line block ×4, first 2 shown]
	s_waitcnt lgkmcnt(1)
	v_fmac_f64_e32 v[6:7], v[30:31], v[36:37]
	ds_read2_b64 v[26:29], v22 offset0:128 offset1:144
	v_fmac_f64_e32 v[4:5], v[32:33], v[36:37]
	v_fmac_f64_e32 v[2:3], v[30:31], v[56:57]
	;; [unrolled: 1-line block ×3, first 2 shown]
	ds_read_b128 v[30:33], v23 offset:1056
	ds_read2_b64 v[34:37], v22 offset0:160 offset1:176
	s_waitcnt lgkmcnt(2)
	v_fmac_f64_e32 v[6:7], v[26:27], v[38:39]
	v_fmac_f64_e32 v[4:5], v[28:29], v[38:39]
	v_add_co_u32_e32 v12, vcc, s20, v12
	s_waitcnt lgkmcnt(1)
	v_fmac_f64_e32 v[2:3], v[26:27], v[30:31]
	v_fmac_f64_e32 v[0:1], v[28:29], v[30:31]
	ds_read2_b64 v[26:29], v22 offset0:192 offset1:208
	s_waitcnt lgkmcnt(1)
	v_fmac_f64_e32 v[2:3], v[34:35], v[32:33]
	v_fmac_f64_e32 v[0:1], v[36:37], v[32:33]
	ds_read2_b64 v[30:33], v22 offset0:224 offset1:240
	v_addc_co_u32_e32 v13, vcc, v13, v24, vcc
	s_add_u32 s30, s30, 8
	v_add_co_u32_e32 v14, vcc, 64, v14
	v_fmac_f64_e32 v[6:7], v[34:35], v[40:41]
	v_fmac_f64_e32 v[4:5], v[36:37], v[40:41]
	s_addc_u32 s31, s31, 0
	v_addc_co_u32_e32 v15, vcc, 0, v15, vcc
	v_pk_mov_b32 v[18:19], s[16:17], s[16:17] op_sel:[0,1]
	s_waitcnt lgkmcnt(1)
	v_fmac_f64_e32 v[6:7], v[26:27], v[42:43]
	v_fmac_f64_e32 v[4:5], v[28:29], v[42:43]
	;; [unrolled: 1-line block ×4, first 2 shown]
	v_cmp_lt_i64_e32 vcc, s[30:31], v[18:19]
	s_waitcnt lgkmcnt(0)
	v_fmac_f64_e32 v[6:7], v[30:31], v[44:45]
	v_fmac_f64_e32 v[4:5], v[32:33], v[44:45]
	;; [unrolled: 1-line block ×4, first 2 shown]
	s_barrier
	s_cbranch_vccz .LBB226_7
.LBB226_3:                              ; =>This Inner Loop Header: Depth=1
	v_mov_b32_e32 v19, s31
	v_add_co_u32_e32 v18, vcc, s30, v8
	v_addc_co_u32_e32 v19, vcc, 0, v19, vcc
	v_cmp_gt_i64_e32 vcc, s[16:17], v[18:19]
	s_and_b64 s[24:25], s[0:1], vcc
	v_pk_mov_b32 v[18:19], v[16:17], v[16:17] op_sel:[0,1]
	s_and_saveexec_b64 s[22:23], s[24:25]
	s_cbranch_execz .LBB226_5
; %bb.4:                                ;   in Loop: Header=BB226_3 Depth=1
	global_load_dwordx2 v[18:19], v[14:15], off
.LBB226_5:                              ;   in Loop: Header=BB226_3 Depth=1
	s_or_b64 exec, exec, s[22:23]
	s_waitcnt vmcnt(0)
	ds_write_b64 v11, v[18:19]
	v_mov_b32_e32 v19, s31
	v_add_co_u32_e32 v18, vcc, s30, v10
	v_addc_co_u32_e32 v19, vcc, 0, v19, vcc
	v_cmp_gt_i64_e32 vcc, s[16:17], v[18:19]
	s_and_b64 s[24:25], vcc, s[2:3]
	v_pk_mov_b32 v[18:19], v[16:17], v[16:17] op_sel:[0,1]
	s_and_saveexec_b64 s[22:23], s[24:25]
	s_cbranch_execz .LBB226_2
; %bb.6:                                ;   in Loop: Header=BB226_3 Depth=1
	global_load_dwordx2 v[18:19], v[12:13], off
	s_branch .LBB226_2
.LBB226_7:
	s_load_dwordx2 s[0:1], s[4:5], 0x80
	v_mov_b32_e32 v10, s29
	v_add_co_u32_e32 v8, vcc, s28, v9
	v_addc_co_u32_e32 v9, vcc, 0, v10, vcc
	s_waitcnt lgkmcnt(0)
	s_lshl_b64 s[0:1], s[0:1], 3
	s_add_u32 s20, s10, s0
	v_cmp_neq_f64_e64 s[2:3], s[40:41], 0
	s_addc_u32 s21, s11, s1
	v_cmp_gt_i64_e64 s[0:1], s[14:15], v[8:9]
	s_and_b64 vcc, exec, s[2:3]
	s_cbranch_vccnz .LBB226_20
; %bb.8:
	s_and_saveexec_b64 s[10:11], s[0:1]
	s_cbranch_execz .LBB226_18
; %bb.9:
	v_mov_b32_e32 v10, s7
	v_add_co_u32_e32 v12, vcc, s6, v20
	v_addc_co_u32_e32 v13, vcc, 0, v10, vcc
	v_mul_lo_u32 v14, v9, s50
	v_mul_lo_u32 v15, v8, s51
	v_mad_u64_u32 v[10:11], s[2:3], v8, s50, 0
	v_add3_u32 v11, v11, v15, v14
	v_lshlrev_b64 v[10:11], 3, v[10:11]
	v_mov_b32_e32 v15, s21
	v_add_co_u32_e64 v14, s[2:3], s20, v10
	v_cmp_gt_i64_e32 vcc, s[12:13], v[12:13]
	v_addc_co_u32_e64 v15, s[2:3], v15, v11, s[2:3]
	v_lshlrev_b64 v[10:11], 3, v[12:13]
	s_and_saveexec_b64 s[4:5], vcc
	s_cbranch_execz .LBB226_11
; %bb.10:
	v_add_co_u32_e64 v16, s[2:3], v14, v10
	v_addc_co_u32_e64 v17, s[2:3], v15, v11, s[2:3]
	v_mul_f64 v[18:19], v[6:7], s[18:19]
	global_store_dwordx2 v[16:17], v[18:19], off
.LBB226_11:
	s_or_b64 exec, exec, s[4:5]
	v_add_co_u32_e64 v12, s[2:3], 16, v12
	v_addc_co_u32_e64 v13, s[2:3], 0, v13, s[2:3]
	v_cmp_gt_i64_e64 s[2:3], s[12:13], v[12:13]
	s_and_saveexec_b64 s[16:17], s[2:3]
	s_cbranch_execz .LBB226_13
; %bb.12:
	v_add_co_u32_e64 v12, s[4:5], v14, v10
	v_addc_co_u32_e64 v13, s[4:5], v15, v11, s[4:5]
	v_mul_f64 v[16:17], v[4:5], s[18:19]
	global_store_dwordx2 v[12:13], v[16:17], off offset:128
.LBB226_13:
	s_or_b64 exec, exec, s[16:17]
	v_add_co_u32_e64 v12, s[4:5], 16, v8
	v_addc_co_u32_e64 v13, s[4:5], 0, v9, s[4:5]
	v_cmp_gt_i64_e64 s[4:5], s[14:15], v[12:13]
	s_and_b64 exec, exec, s[4:5]
	s_cbranch_execz .LBB226_18
; %bb.14:
	s_lshl_b64 s[4:5], s[50:51], 7
	v_mov_b32_e32 v12, s5
	v_add_co_u32_e64 v13, s[4:5], s4, v14
	v_addc_co_u32_e64 v12, s[4:5], v15, v12, s[4:5]
	v_add_co_u32_e64 v10, s[4:5], v13, v10
	v_addc_co_u32_e64 v11, s[4:5], v12, v11, s[4:5]
	s_and_saveexec_b64 s[4:5], vcc
	s_cbranch_execz .LBB226_16
; %bb.15:
	v_mul_f64 v[12:13], v[2:3], s[18:19]
	global_store_dwordx2 v[10:11], v[12:13], off
.LBB226_16:
	s_or_b64 exec, exec, s[4:5]
	s_and_b64 exec, exec, s[2:3]
	s_cbranch_execz .LBB226_18
; %bb.17:
	v_mul_f64 v[12:13], v[0:1], s[18:19]
	global_store_dwordx2 v[10:11], v[12:13], off offset:128
.LBB226_18:
	s_or_b64 exec, exec, s[10:11]
	s_cbranch_execz .LBB226_21
.LBB226_19:
	s_endpgm
.LBB226_20:
.LBB226_21:
	s_and_saveexec_b64 s[2:3], s[0:1]
	s_cbranch_execz .LBB226_19
; %bb.22:
	s_lshl_b64 s[0:1], s[46:47], 3
	s_add_u32 s2, s8, s0
	v_mov_b32_e32 v10, s7
	v_add_co_u32_e32 v12, vcc, s6, v20
	s_addc_u32 s3, s9, s1
	v_addc_co_u32_e32 v13, vcc, 0, v10, vcc
	v_mul_lo_u32 v14, v9, s44
	v_mul_lo_u32 v15, v8, s45
	v_mad_u64_u32 v[10:11], s[0:1], v8, s44, 0
	v_add3_u32 v11, v11, v15, v14
	v_mul_lo_u32 v14, v9, s50
	v_mul_lo_u32 v15, v8, s51
	v_mad_u64_u32 v[16:17], s[0:1], v8, s50, 0
	v_lshlrev_b64 v[10:11], 3, v[10:11]
	v_add3_u32 v17, v17, v15, v14
	v_mov_b32_e32 v15, s3
	v_add_co_u32_e64 v14, s[0:1], s2, v10
	v_addc_co_u32_e64 v15, s[0:1], v15, v11, s[0:1]
	v_lshlrev_b64 v[10:11], 3, v[16:17]
	v_mov_b32_e32 v17, s21
	v_add_co_u32_e64 v16, s[0:1], s20, v10
	v_cmp_gt_i64_e32 vcc, s[12:13], v[12:13]
	v_addc_co_u32_e64 v17, s[0:1], v17, v11, s[0:1]
	v_lshlrev_b64 v[10:11], 3, v[12:13]
	s_and_saveexec_b64 s[2:3], vcc
	s_cbranch_execz .LBB226_24
; %bb.23:
	v_add_co_u32_e64 v18, s[0:1], v14, v10
	v_addc_co_u32_e64 v19, s[0:1], v15, v11, s[0:1]
	global_load_dwordx2 v[18:19], v[18:19], off
	s_waitcnt vmcnt(0)
	v_mul_f64 v[18:19], v[18:19], s[40:41]
	v_fmac_f64_e32 v[18:19], s[18:19], v[6:7]
	v_add_co_u32_e64 v6, s[0:1], v16, v10
	v_addc_co_u32_e64 v7, s[0:1], v17, v11, s[0:1]
	global_store_dwordx2 v[6:7], v[18:19], off
.LBB226_24:
	s_or_b64 exec, exec, s[2:3]
	v_add_co_u32_e64 v6, s[0:1], 16, v12
	v_addc_co_u32_e64 v7, s[0:1], 0, v13, s[0:1]
	v_cmp_gt_i64_e64 s[0:1], s[12:13], v[6:7]
	s_and_saveexec_b64 s[4:5], s[0:1]
	s_cbranch_execz .LBB226_26
; %bb.25:
	v_add_co_u32_e64 v6, s[2:3], v14, v10
	v_addc_co_u32_e64 v7, s[2:3], v15, v11, s[2:3]
	global_load_dwordx2 v[6:7], v[6:7], off offset:128
	s_waitcnt vmcnt(0)
	v_mul_f64 v[6:7], v[6:7], s[40:41]
	v_fmac_f64_e32 v[6:7], s[18:19], v[4:5]
	v_add_co_u32_e64 v4, s[2:3], v16, v10
	v_addc_co_u32_e64 v5, s[2:3], v17, v11, s[2:3]
	global_store_dwordx2 v[4:5], v[6:7], off offset:128
.LBB226_26:
	s_or_b64 exec, exec, s[4:5]
	v_add_co_u32_e64 v4, s[2:3], 16, v8
	v_addc_co_u32_e64 v5, s[2:3], 0, v9, s[2:3]
	v_cmp_gt_i64_e64 s[2:3], s[14:15], v[4:5]
	s_and_b64 exec, exec, s[2:3]
	s_cbranch_execz .LBB226_19
; %bb.27:
	s_lshl_b64 s[2:3], s[44:45], 7
	v_mov_b32_e32 v4, s3
	v_add_co_u32_e64 v5, s[2:3], s2, v14
	v_addc_co_u32_e64 v6, s[2:3], v15, v4, s[2:3]
	s_lshl_b64 s[2:3], s[50:51], 7
	v_mov_b32_e32 v4, s3
	v_add_co_u32_e64 v7, s[2:3], s2, v16
	v_addc_co_u32_e64 v8, s[2:3], v17, v4, s[2:3]
	v_add_co_u32_e64 v4, s[2:3], v5, v10
	v_addc_co_u32_e64 v5, s[2:3], v6, v11, s[2:3]
	;; [unrolled: 2-line block ×3, first 2 shown]
	s_and_saveexec_b64 s[2:3], vcc
	s_cbranch_execz .LBB226_29
; %bb.28:
	global_load_dwordx2 v[8:9], v[4:5], off
	s_waitcnt vmcnt(0)
	v_mul_f64 v[8:9], v[8:9], s[40:41]
	v_fmac_f64_e32 v[8:9], s[18:19], v[2:3]
	global_store_dwordx2 v[6:7], v[8:9], off
.LBB226_29:
	s_or_b64 exec, exec, s[2:3]
	s_and_b64 exec, exec, s[0:1]
	s_cbranch_execz .LBB226_19
; %bb.30:
	global_load_dwordx2 v[2:3], v[4:5], off offset:128
	s_waitcnt vmcnt(0)
	v_mul_f64 v[2:3], v[2:3], s[40:41]
	v_fmac_f64_e32 v[2:3], s[18:19], v[0:1]
	global_store_dwordx2 v[6:7], v[2:3], off offset:128
	s_endpgm
	.section	.rodata,"a",@progbits
	.p2align	6, 0x0
	.amdhsa_kernel _ZN12_GLOBAL__N_135rocblas_gemm_batched_general_kernelIdLi16ELi16ELi32ELi32ELi8ELi32ELi8ELi8ELi32ELc84ELc84EKPKdS3_KPdEEvlllT_PT11_llS8_llS6_PT12_llPT13_lli
		.amdhsa_group_segment_fixed_size 4096
		.amdhsa_private_segment_fixed_size 0
		.amdhsa_kernarg_size 140
		.amdhsa_user_sgpr_count 6
		.amdhsa_user_sgpr_private_segment_buffer 1
		.amdhsa_user_sgpr_dispatch_ptr 0
		.amdhsa_user_sgpr_queue_ptr 0
		.amdhsa_user_sgpr_kernarg_segment_ptr 1
		.amdhsa_user_sgpr_dispatch_id 0
		.amdhsa_user_sgpr_flat_scratch_init 0
		.amdhsa_user_sgpr_kernarg_preload_length 0
		.amdhsa_user_sgpr_kernarg_preload_offset 0
		.amdhsa_user_sgpr_private_segment_size 0
		.amdhsa_uses_dynamic_stack 0
		.amdhsa_system_sgpr_private_segment_wavefront_offset 0
		.amdhsa_system_sgpr_workgroup_id_x 1
		.amdhsa_system_sgpr_workgroup_id_y 1
		.amdhsa_system_sgpr_workgroup_id_z 1
		.amdhsa_system_sgpr_workgroup_info 0
		.amdhsa_system_vgpr_workitem_id 1
		.amdhsa_next_free_vgpr 58
		.amdhsa_next_free_sgpr 52
		.amdhsa_accum_offset 60
		.amdhsa_reserve_vcc 1
		.amdhsa_reserve_flat_scratch 0
		.amdhsa_float_round_mode_32 0
		.amdhsa_float_round_mode_16_64 0
		.amdhsa_float_denorm_mode_32 3
		.amdhsa_float_denorm_mode_16_64 3
		.amdhsa_dx10_clamp 1
		.amdhsa_ieee_mode 1
		.amdhsa_fp16_overflow 0
		.amdhsa_tg_split 0
		.amdhsa_exception_fp_ieee_invalid_op 0
		.amdhsa_exception_fp_denorm_src 0
		.amdhsa_exception_fp_ieee_div_zero 0
		.amdhsa_exception_fp_ieee_overflow 0
		.amdhsa_exception_fp_ieee_underflow 0
		.amdhsa_exception_fp_ieee_inexact 0
		.amdhsa_exception_int_div_zero 0
	.end_amdhsa_kernel
	.section	.text._ZN12_GLOBAL__N_135rocblas_gemm_batched_general_kernelIdLi16ELi16ELi32ELi32ELi8ELi32ELi8ELi8ELi32ELc84ELc84EKPKdS3_KPdEEvlllT_PT11_llS8_llS6_PT12_llPT13_lli,"axG",@progbits,_ZN12_GLOBAL__N_135rocblas_gemm_batched_general_kernelIdLi16ELi16ELi32ELi32ELi8ELi32ELi8ELi8ELi32ELc84ELc84EKPKdS3_KPdEEvlllT_PT11_llS8_llS6_PT12_llPT13_lli,comdat
.Lfunc_end226:
	.size	_ZN12_GLOBAL__N_135rocblas_gemm_batched_general_kernelIdLi16ELi16ELi32ELi32ELi8ELi32ELi8ELi8ELi32ELc84ELc84EKPKdS3_KPdEEvlllT_PT11_llS8_llS6_PT12_llPT13_lli, .Lfunc_end226-_ZN12_GLOBAL__N_135rocblas_gemm_batched_general_kernelIdLi16ELi16ELi32ELi32ELi8ELi32ELi8ELi8ELi32ELc84ELc84EKPKdS3_KPdEEvlllT_PT11_llS8_llS6_PT12_llPT13_lli
                                        ; -- End function
	.section	.AMDGPU.csdata,"",@progbits
; Kernel info:
; codeLenInByte = 1940
; NumSgprs: 56
; NumVgprs: 58
; NumAgprs: 0
; TotalNumVgprs: 58
; ScratchSize: 0
; MemoryBound: 0
; FloatMode: 240
; IeeeMode: 1
; LDSByteSize: 4096 bytes/workgroup (compile time only)
; SGPRBlocks: 6
; VGPRBlocks: 7
; NumSGPRsForWavesPerEU: 56
; NumVGPRsForWavesPerEU: 58
; AccumOffset: 60
; Occupancy: 8
; WaveLimiterHint : 1
; COMPUTE_PGM_RSRC2:SCRATCH_EN: 0
; COMPUTE_PGM_RSRC2:USER_SGPR: 6
; COMPUTE_PGM_RSRC2:TRAP_HANDLER: 0
; COMPUTE_PGM_RSRC2:TGID_X_EN: 1
; COMPUTE_PGM_RSRC2:TGID_Y_EN: 1
; COMPUTE_PGM_RSRC2:TGID_Z_EN: 1
; COMPUTE_PGM_RSRC2:TIDIG_COMP_CNT: 1
; COMPUTE_PGM_RSRC3_GFX90A:ACCUM_OFFSET: 14
; COMPUTE_PGM_RSRC3_GFX90A:TG_SPLIT: 0
	.section	.text._ZN12_GLOBAL__N_135rocblas_gemm_batched_general_kernelIdLi16ELi16ELi32ELi32ELi8ELi32ELi8ELi8ELi32ELc67ELc67EKPKdS3_KPdEEvlllT_PT11_llS8_llS6_PT12_llPT13_lli,"axG",@progbits,_ZN12_GLOBAL__N_135rocblas_gemm_batched_general_kernelIdLi16ELi16ELi32ELi32ELi8ELi32ELi8ELi8ELi32ELc67ELc67EKPKdS3_KPdEEvlllT_PT11_llS8_llS6_PT12_llPT13_lli,comdat
	.globl	_ZN12_GLOBAL__N_135rocblas_gemm_batched_general_kernelIdLi16ELi16ELi32ELi32ELi8ELi32ELi8ELi8ELi32ELc67ELc67EKPKdS3_KPdEEvlllT_PT11_llS8_llS6_PT12_llPT13_lli ; -- Begin function _ZN12_GLOBAL__N_135rocblas_gemm_batched_general_kernelIdLi16ELi16ELi32ELi32ELi8ELi32ELi8ELi8ELi32ELc67ELc67EKPKdS3_KPdEEvlllT_PT11_llS8_llS6_PT12_llPT13_lli
	.p2align	8
	.type	_ZN12_GLOBAL__N_135rocblas_gemm_batched_general_kernelIdLi16ELi16ELi32ELi32ELi8ELi32ELi8ELi8ELi32ELc67ELc67EKPKdS3_KPdEEvlllT_PT11_llS8_llS6_PT12_llPT13_lli,@function
_ZN12_GLOBAL__N_135rocblas_gemm_batched_general_kernelIdLi16ELi16ELi32ELi32ELi8ELi32ELi8ELi8ELi32ELc67ELc67EKPKdS3_KPdEEvlllT_PT11_llS8_llS6_PT12_llPT13_lli: ; @_ZN12_GLOBAL__N_135rocblas_gemm_batched_general_kernelIdLi16ELi16ELi32ELi32ELi8ELi32ELi8ELi8ELi32ELc67ELc67EKPKdS3_KPdEEvlllT_PT11_llS8_llS6_PT12_llPT13_lli
; %bb.0:
	s_load_dwordx16 s[12:27], s[4:5], 0x0
	s_load_dwordx16 s[36:51], s[4:5], 0x40
	s_mov_b32 s9, 0
	s_lshl_b64 s[0:1], s[8:9], 3
	s_mov_b32 s34, s7
	v_pk_mov_b32 v[6:7], 0, 0
	s_waitcnt lgkmcnt(0)
	s_add_u32 s2, s42, s0
	s_addc_u32 s3, s43, s1
	s_load_dwordx2 s[8:9], s[2:3], 0x0
	s_add_u32 s2, s48, s0
	s_addc_u32 s3, s49, s1
	s_load_dwordx2 s[10:11], s[2:3], 0x0
	s_ashr_i32 s7, s6, 31
	s_ashr_i32 s35, s34, 31
	v_cmp_lt_i64_e64 s[2:3], s[16:17], 1
	v_and_b32_e32 v20, 0x3ff, v0
	v_bfe_u32 v9, v0, 10, 10
	s_lshl_b64 s[6:7], s[6:7], 5
	s_lshl_b64 s[28:29], s[34:35], 5
	s_mov_b64 s[30:31], 0
	s_and_b64 vcc, exec, s[2:3]
	v_pk_mov_b32 v[4:5], v[6:7], v[6:7] op_sel:[0,1]
	v_pk_mov_b32 v[2:3], v[6:7], v[6:7] op_sel:[0,1]
	;; [unrolled: 1-line block ×3, first 2 shown]
	s_cbranch_vccnz .LBB227_7
; %bb.1:
	v_lshl_add_u32 v4, v9, 4, v20
	v_lshrrev_b32_e32 v5, 3, v4
	s_add_u32 s2, s26, s0
	v_mov_b32_e32 v1, s29
	v_add_co_u32_e32 v0, vcc, s28, v5
	s_addc_u32 s3, s27, s1
	v_and_b32_e32 v10, 7, v20
	v_addc_co_u32_e32 v1, vcc, 0, v1, vcc
	s_load_dwordx2 s[26:27], s[2:3], 0x0
	v_cmp_gt_i64_e64 s[2:3], s[14:15], v[0:1]
	v_lshlrev_b32_e32 v0, 3, v10
	s_add_u32 s0, s20, s0
	v_and_b32_e32 v6, 31, v4
	v_lshl_or_b32 v0, v5, 6, v0
	s_addc_u32 s1, s21, s1
	v_mov_b32_e32 v3, s7
	v_or_b32_e32 v2, s6, v6
	v_add_u32_e32 v21, 0x800, v0
	v_mov_b32_e32 v0, 0x800
	v_lshrrev_b32_e32 v8, 5, v4
	s_load_dwordx2 s[42:43], s[0:1], 0x0
	v_cmp_gt_i64_e64 s[0:1], s[12:13], v[2:3]
	v_lshlrev_b32_e32 v2, 3, v6
	v_lshl_add_u32 v23, v9, 6, v0
	v_mad_u64_u32 v[0:1], s[20:21], s36, v10, 0
	v_lshl_or_b32 v11, v8, 8, v2
	v_mov_b32_e32 v2, v1
	v_mad_u64_u32 v[2:3], s[20:21], s37, v10, v[2:3]
	s_lshl_b64 s[20:21], s[34:35], 8
	s_lshl_b64 s[34:35], s[38:39], 3
	v_mov_b32_e32 v1, v2
	s_add_u32 s20, s34, s20
	v_lshlrev_b64 v[0:1], 3, v[0:1]
	s_addc_u32 s21, s35, s21
	v_mov_b32_e32 v2, s21
	v_add_co_u32_e32 v0, vcc, s20, v0
	v_addc_co_u32_e32 v1, vcc, v2, v1, vcc
	v_and_b32_e32 v2, 0x7ff8, v4
	v_add_co_u32_e32 v0, vcc, v0, v2
	v_addc_co_u32_e32 v1, vcc, 0, v1, vcc
	s_waitcnt lgkmcnt(0)
	v_mov_b32_e32 v2, s27
	v_add_co_u32_e32 v12, vcc, s26, v0
	v_addc_co_u32_e32 v13, vcc, v2, v1, vcc
	v_mov_b32_e32 v0, s7
	v_add_co_u32_e32 v1, vcc, s6, v6
	v_addc_co_u32_e32 v0, vcc, 0, v0, vcc
	v_mul_lo_u32 v2, s23, v1
	v_mul_lo_u32 v3, s22, v0
	v_mad_u64_u32 v[0:1], s[22:23], s22, v1, 0
	v_add3_u32 v1, v1, v3, v2
	v_lshlrev_b64 v[0:1], 3, v[0:1]
	s_lshl_b64 s[22:23], s[24:25], 3
	v_mov_b32_e32 v2, s23
	v_add_co_u32_e32 v0, vcc, s22, v0
	v_addc_co_u32_e32 v1, vcc, v1, v2, vcc
	v_lshlrev_b32_e32 v2, 3, v8
	v_add_co_u32_e32 v0, vcc, v0, v2
	v_addc_co_u32_e32 v1, vcc, 0, v1, vcc
	s_lshl_b64 s[20:21], s[36:37], 6
	v_mov_b32_e32 v2, s43
	v_add_co_u32_e32 v14, vcc, s42, v0
	v_pk_mov_b32 v[16:17], 0, 0
	v_lshlrev_b32_e32 v22, 3, v20
	v_addc_co_u32_e32 v15, vcc, v2, v1, vcc
	v_mov_b32_e32 v24, s21
	v_pk_mov_b32 v[0:1], v[16:17], v[16:17] op_sel:[0,1]
	v_pk_mov_b32 v[2:3], v[16:17], v[16:17] op_sel:[0,1]
	;; [unrolled: 1-line block ×4, first 2 shown]
	s_branch .LBB227_3
.LBB227_2:                              ;   in Loop: Header=BB227_3 Depth=1
	s_or_b64 exec, exec, s[22:23]
	s_waitcnt vmcnt(0)
	ds_write_b64 v21, v[18:19]
	s_waitcnt lgkmcnt(0)
	s_barrier
	ds_read2_b64 v[26:29], v22 offset1:16
	ds_read_b128 v[30:33], v23
	ds_read_b128 v[34:37], v23 offset:16
	ds_read_b128 v[38:41], v23 offset:32
	ds_read_b128 v[42:45], v23 offset:48
	ds_read_b128 v[46:49], v23 offset:1024
	ds_read2_b64 v[50:53], v22 offset0:32 offset1:48
	s_waitcnt lgkmcnt(5)
	v_fmac_f64_e32 v[6:7], v[26:27], v[30:31]
	v_fmac_f64_e32 v[4:5], v[28:29], v[30:31]
	ds_read_b128 v[54:57], v23 offset:1040
	s_waitcnt lgkmcnt(2)
	v_fmac_f64_e32 v[2:3], v[26:27], v[46:47]
	v_fmac_f64_e32 v[0:1], v[28:29], v[46:47]
	ds_read2_b64 v[26:29], v22 offset0:64 offset1:80
	s_waitcnt lgkmcnt(2)
	v_fmac_f64_e32 v[6:7], v[50:51], v[32:33]
	v_fmac_f64_e32 v[4:5], v[52:53], v[32:33]
	ds_read2_b64 v[30:33], v22 offset0:96 offset1:112
	v_fmac_f64_e32 v[2:3], v[50:51], v[48:49]
	v_fmac_f64_e32 v[0:1], v[52:53], v[48:49]
	ds_read_b128 v[46:49], v23 offset:1072
	s_waitcnt lgkmcnt(2)
	v_fmac_f64_e32 v[6:7], v[26:27], v[34:35]
	v_fmac_f64_e32 v[4:5], v[28:29], v[34:35]
	;; [unrolled: 1-line block ×4, first 2 shown]
	s_waitcnt lgkmcnt(1)
	v_fmac_f64_e32 v[6:7], v[30:31], v[36:37]
	ds_read2_b64 v[26:29], v22 offset0:128 offset1:144
	v_fmac_f64_e32 v[4:5], v[32:33], v[36:37]
	v_fmac_f64_e32 v[2:3], v[30:31], v[56:57]
	;; [unrolled: 1-line block ×3, first 2 shown]
	ds_read_b128 v[30:33], v23 offset:1056
	ds_read2_b64 v[34:37], v22 offset0:160 offset1:176
	s_waitcnt lgkmcnt(2)
	v_fmac_f64_e32 v[6:7], v[26:27], v[38:39]
	v_fmac_f64_e32 v[4:5], v[28:29], v[38:39]
	v_add_co_u32_e32 v12, vcc, s20, v12
	s_waitcnt lgkmcnt(1)
	v_fmac_f64_e32 v[2:3], v[26:27], v[30:31]
	v_fmac_f64_e32 v[0:1], v[28:29], v[30:31]
	ds_read2_b64 v[26:29], v22 offset0:192 offset1:208
	s_waitcnt lgkmcnt(1)
	v_fmac_f64_e32 v[2:3], v[34:35], v[32:33]
	v_fmac_f64_e32 v[0:1], v[36:37], v[32:33]
	ds_read2_b64 v[30:33], v22 offset0:224 offset1:240
	v_addc_co_u32_e32 v13, vcc, v13, v24, vcc
	s_add_u32 s30, s30, 8
	v_add_co_u32_e32 v14, vcc, 64, v14
	v_fmac_f64_e32 v[6:7], v[34:35], v[40:41]
	v_fmac_f64_e32 v[4:5], v[36:37], v[40:41]
	s_addc_u32 s31, s31, 0
	v_addc_co_u32_e32 v15, vcc, 0, v15, vcc
	v_pk_mov_b32 v[18:19], s[16:17], s[16:17] op_sel:[0,1]
	s_waitcnt lgkmcnt(1)
	v_fmac_f64_e32 v[6:7], v[26:27], v[42:43]
	v_fmac_f64_e32 v[4:5], v[28:29], v[42:43]
	;; [unrolled: 1-line block ×4, first 2 shown]
	v_cmp_lt_i64_e32 vcc, s[30:31], v[18:19]
	s_waitcnt lgkmcnt(0)
	v_fmac_f64_e32 v[6:7], v[30:31], v[44:45]
	v_fmac_f64_e32 v[4:5], v[32:33], v[44:45]
	;; [unrolled: 1-line block ×4, first 2 shown]
	s_barrier
	s_cbranch_vccz .LBB227_7
.LBB227_3:                              ; =>This Inner Loop Header: Depth=1
	v_mov_b32_e32 v19, s31
	v_add_co_u32_e32 v18, vcc, s30, v8
	v_addc_co_u32_e32 v19, vcc, 0, v19, vcc
	v_cmp_gt_i64_e32 vcc, s[16:17], v[18:19]
	s_and_b64 s[24:25], s[0:1], vcc
	v_pk_mov_b32 v[18:19], v[16:17], v[16:17] op_sel:[0,1]
	s_and_saveexec_b64 s[22:23], s[24:25]
	s_cbranch_execz .LBB227_5
; %bb.4:                                ;   in Loop: Header=BB227_3 Depth=1
	global_load_dwordx2 v[18:19], v[14:15], off
.LBB227_5:                              ;   in Loop: Header=BB227_3 Depth=1
	s_or_b64 exec, exec, s[22:23]
	s_waitcnt vmcnt(0)
	ds_write_b64 v11, v[18:19]
	v_mov_b32_e32 v19, s31
	v_add_co_u32_e32 v18, vcc, s30, v10
	v_addc_co_u32_e32 v19, vcc, 0, v19, vcc
	v_cmp_gt_i64_e32 vcc, s[16:17], v[18:19]
	s_and_b64 s[24:25], vcc, s[2:3]
	v_pk_mov_b32 v[18:19], v[16:17], v[16:17] op_sel:[0,1]
	s_and_saveexec_b64 s[22:23], s[24:25]
	s_cbranch_execz .LBB227_2
; %bb.6:                                ;   in Loop: Header=BB227_3 Depth=1
	global_load_dwordx2 v[18:19], v[12:13], off
	s_branch .LBB227_2
.LBB227_7:
	s_load_dwordx2 s[0:1], s[4:5], 0x80
	v_mov_b32_e32 v10, s29
	v_add_co_u32_e32 v8, vcc, s28, v9
	v_addc_co_u32_e32 v9, vcc, 0, v10, vcc
	s_waitcnt lgkmcnt(0)
	s_lshl_b64 s[0:1], s[0:1], 3
	s_add_u32 s20, s10, s0
	v_cmp_neq_f64_e64 s[2:3], s[40:41], 0
	s_addc_u32 s21, s11, s1
	v_cmp_gt_i64_e64 s[0:1], s[14:15], v[8:9]
	s_and_b64 vcc, exec, s[2:3]
	s_cbranch_vccnz .LBB227_20
; %bb.8:
	s_and_saveexec_b64 s[10:11], s[0:1]
	s_cbranch_execz .LBB227_18
; %bb.9:
	v_mov_b32_e32 v10, s7
	v_add_co_u32_e32 v12, vcc, s6, v20
	v_addc_co_u32_e32 v13, vcc, 0, v10, vcc
	v_mul_lo_u32 v14, v9, s50
	v_mul_lo_u32 v15, v8, s51
	v_mad_u64_u32 v[10:11], s[2:3], v8, s50, 0
	v_add3_u32 v11, v11, v15, v14
	v_lshlrev_b64 v[10:11], 3, v[10:11]
	v_mov_b32_e32 v15, s21
	v_add_co_u32_e64 v14, s[2:3], s20, v10
	v_cmp_gt_i64_e32 vcc, s[12:13], v[12:13]
	v_addc_co_u32_e64 v15, s[2:3], v15, v11, s[2:3]
	v_lshlrev_b64 v[10:11], 3, v[12:13]
	s_and_saveexec_b64 s[4:5], vcc
	s_cbranch_execz .LBB227_11
; %bb.10:
	v_add_co_u32_e64 v16, s[2:3], v14, v10
	v_addc_co_u32_e64 v17, s[2:3], v15, v11, s[2:3]
	v_mul_f64 v[18:19], v[6:7], s[18:19]
	global_store_dwordx2 v[16:17], v[18:19], off
.LBB227_11:
	s_or_b64 exec, exec, s[4:5]
	v_add_co_u32_e64 v12, s[2:3], 16, v12
	v_addc_co_u32_e64 v13, s[2:3], 0, v13, s[2:3]
	v_cmp_gt_i64_e64 s[2:3], s[12:13], v[12:13]
	s_and_saveexec_b64 s[16:17], s[2:3]
	s_cbranch_execz .LBB227_13
; %bb.12:
	v_add_co_u32_e64 v12, s[4:5], v14, v10
	v_addc_co_u32_e64 v13, s[4:5], v15, v11, s[4:5]
	v_mul_f64 v[16:17], v[4:5], s[18:19]
	global_store_dwordx2 v[12:13], v[16:17], off offset:128
.LBB227_13:
	s_or_b64 exec, exec, s[16:17]
	v_add_co_u32_e64 v12, s[4:5], 16, v8
	v_addc_co_u32_e64 v13, s[4:5], 0, v9, s[4:5]
	v_cmp_gt_i64_e64 s[4:5], s[14:15], v[12:13]
	s_and_b64 exec, exec, s[4:5]
	s_cbranch_execz .LBB227_18
; %bb.14:
	s_lshl_b64 s[4:5], s[50:51], 7
	v_mov_b32_e32 v12, s5
	v_add_co_u32_e64 v13, s[4:5], s4, v14
	v_addc_co_u32_e64 v12, s[4:5], v15, v12, s[4:5]
	v_add_co_u32_e64 v10, s[4:5], v13, v10
	v_addc_co_u32_e64 v11, s[4:5], v12, v11, s[4:5]
	s_and_saveexec_b64 s[4:5], vcc
	s_cbranch_execz .LBB227_16
; %bb.15:
	v_mul_f64 v[12:13], v[2:3], s[18:19]
	global_store_dwordx2 v[10:11], v[12:13], off
.LBB227_16:
	s_or_b64 exec, exec, s[4:5]
	s_and_b64 exec, exec, s[2:3]
	s_cbranch_execz .LBB227_18
; %bb.17:
	v_mul_f64 v[12:13], v[0:1], s[18:19]
	global_store_dwordx2 v[10:11], v[12:13], off offset:128
.LBB227_18:
	s_or_b64 exec, exec, s[10:11]
	s_cbranch_execz .LBB227_21
.LBB227_19:
	s_endpgm
.LBB227_20:
.LBB227_21:
	s_and_saveexec_b64 s[2:3], s[0:1]
	s_cbranch_execz .LBB227_19
; %bb.22:
	s_lshl_b64 s[0:1], s[46:47], 3
	s_add_u32 s2, s8, s0
	v_mov_b32_e32 v10, s7
	v_add_co_u32_e32 v12, vcc, s6, v20
	s_addc_u32 s3, s9, s1
	v_addc_co_u32_e32 v13, vcc, 0, v10, vcc
	v_mul_lo_u32 v14, v9, s44
	v_mul_lo_u32 v15, v8, s45
	v_mad_u64_u32 v[10:11], s[0:1], v8, s44, 0
	v_add3_u32 v11, v11, v15, v14
	v_mul_lo_u32 v14, v9, s50
	v_mul_lo_u32 v15, v8, s51
	v_mad_u64_u32 v[16:17], s[0:1], v8, s50, 0
	v_lshlrev_b64 v[10:11], 3, v[10:11]
	v_add3_u32 v17, v17, v15, v14
	v_mov_b32_e32 v15, s3
	v_add_co_u32_e64 v14, s[0:1], s2, v10
	v_addc_co_u32_e64 v15, s[0:1], v15, v11, s[0:1]
	v_lshlrev_b64 v[10:11], 3, v[16:17]
	v_mov_b32_e32 v17, s21
	v_add_co_u32_e64 v16, s[0:1], s20, v10
	v_cmp_gt_i64_e32 vcc, s[12:13], v[12:13]
	v_addc_co_u32_e64 v17, s[0:1], v17, v11, s[0:1]
	v_lshlrev_b64 v[10:11], 3, v[12:13]
	s_and_saveexec_b64 s[2:3], vcc
	s_cbranch_execz .LBB227_24
; %bb.23:
	v_add_co_u32_e64 v18, s[0:1], v14, v10
	v_addc_co_u32_e64 v19, s[0:1], v15, v11, s[0:1]
	global_load_dwordx2 v[18:19], v[18:19], off
	s_waitcnt vmcnt(0)
	v_mul_f64 v[18:19], v[18:19], s[40:41]
	v_fmac_f64_e32 v[18:19], s[18:19], v[6:7]
	v_add_co_u32_e64 v6, s[0:1], v16, v10
	v_addc_co_u32_e64 v7, s[0:1], v17, v11, s[0:1]
	global_store_dwordx2 v[6:7], v[18:19], off
.LBB227_24:
	s_or_b64 exec, exec, s[2:3]
	v_add_co_u32_e64 v6, s[0:1], 16, v12
	v_addc_co_u32_e64 v7, s[0:1], 0, v13, s[0:1]
	v_cmp_gt_i64_e64 s[0:1], s[12:13], v[6:7]
	s_and_saveexec_b64 s[4:5], s[0:1]
	s_cbranch_execz .LBB227_26
; %bb.25:
	v_add_co_u32_e64 v6, s[2:3], v14, v10
	v_addc_co_u32_e64 v7, s[2:3], v15, v11, s[2:3]
	global_load_dwordx2 v[6:7], v[6:7], off offset:128
	s_waitcnt vmcnt(0)
	v_mul_f64 v[6:7], v[6:7], s[40:41]
	v_fmac_f64_e32 v[6:7], s[18:19], v[4:5]
	v_add_co_u32_e64 v4, s[2:3], v16, v10
	v_addc_co_u32_e64 v5, s[2:3], v17, v11, s[2:3]
	global_store_dwordx2 v[4:5], v[6:7], off offset:128
.LBB227_26:
	s_or_b64 exec, exec, s[4:5]
	v_add_co_u32_e64 v4, s[2:3], 16, v8
	v_addc_co_u32_e64 v5, s[2:3], 0, v9, s[2:3]
	v_cmp_gt_i64_e64 s[2:3], s[14:15], v[4:5]
	s_and_b64 exec, exec, s[2:3]
	s_cbranch_execz .LBB227_19
; %bb.27:
	s_lshl_b64 s[2:3], s[44:45], 7
	v_mov_b32_e32 v4, s3
	v_add_co_u32_e64 v5, s[2:3], s2, v14
	v_addc_co_u32_e64 v6, s[2:3], v15, v4, s[2:3]
	s_lshl_b64 s[2:3], s[50:51], 7
	v_mov_b32_e32 v4, s3
	v_add_co_u32_e64 v7, s[2:3], s2, v16
	v_addc_co_u32_e64 v8, s[2:3], v17, v4, s[2:3]
	v_add_co_u32_e64 v4, s[2:3], v5, v10
	v_addc_co_u32_e64 v5, s[2:3], v6, v11, s[2:3]
	;; [unrolled: 2-line block ×3, first 2 shown]
	s_and_saveexec_b64 s[2:3], vcc
	s_cbranch_execz .LBB227_29
; %bb.28:
	global_load_dwordx2 v[8:9], v[4:5], off
	s_waitcnt vmcnt(0)
	v_mul_f64 v[8:9], v[8:9], s[40:41]
	v_fmac_f64_e32 v[8:9], s[18:19], v[2:3]
	global_store_dwordx2 v[6:7], v[8:9], off
.LBB227_29:
	s_or_b64 exec, exec, s[2:3]
	s_and_b64 exec, exec, s[0:1]
	s_cbranch_execz .LBB227_19
; %bb.30:
	global_load_dwordx2 v[2:3], v[4:5], off offset:128
	s_waitcnt vmcnt(0)
	v_mul_f64 v[2:3], v[2:3], s[40:41]
	v_fmac_f64_e32 v[2:3], s[18:19], v[0:1]
	global_store_dwordx2 v[6:7], v[2:3], off offset:128
	s_endpgm
	.section	.rodata,"a",@progbits
	.p2align	6, 0x0
	.amdhsa_kernel _ZN12_GLOBAL__N_135rocblas_gemm_batched_general_kernelIdLi16ELi16ELi32ELi32ELi8ELi32ELi8ELi8ELi32ELc67ELc67EKPKdS3_KPdEEvlllT_PT11_llS8_llS6_PT12_llPT13_lli
		.amdhsa_group_segment_fixed_size 4096
		.amdhsa_private_segment_fixed_size 0
		.amdhsa_kernarg_size 140
		.amdhsa_user_sgpr_count 6
		.amdhsa_user_sgpr_private_segment_buffer 1
		.amdhsa_user_sgpr_dispatch_ptr 0
		.amdhsa_user_sgpr_queue_ptr 0
		.amdhsa_user_sgpr_kernarg_segment_ptr 1
		.amdhsa_user_sgpr_dispatch_id 0
		.amdhsa_user_sgpr_flat_scratch_init 0
		.amdhsa_user_sgpr_kernarg_preload_length 0
		.amdhsa_user_sgpr_kernarg_preload_offset 0
		.amdhsa_user_sgpr_private_segment_size 0
		.amdhsa_uses_dynamic_stack 0
		.amdhsa_system_sgpr_private_segment_wavefront_offset 0
		.amdhsa_system_sgpr_workgroup_id_x 1
		.amdhsa_system_sgpr_workgroup_id_y 1
		.amdhsa_system_sgpr_workgroup_id_z 1
		.amdhsa_system_sgpr_workgroup_info 0
		.amdhsa_system_vgpr_workitem_id 1
		.amdhsa_next_free_vgpr 58
		.amdhsa_next_free_sgpr 52
		.amdhsa_accum_offset 60
		.amdhsa_reserve_vcc 1
		.amdhsa_reserve_flat_scratch 0
		.amdhsa_float_round_mode_32 0
		.amdhsa_float_round_mode_16_64 0
		.amdhsa_float_denorm_mode_32 3
		.amdhsa_float_denorm_mode_16_64 3
		.amdhsa_dx10_clamp 1
		.amdhsa_ieee_mode 1
		.amdhsa_fp16_overflow 0
		.amdhsa_tg_split 0
		.amdhsa_exception_fp_ieee_invalid_op 0
		.amdhsa_exception_fp_denorm_src 0
		.amdhsa_exception_fp_ieee_div_zero 0
		.amdhsa_exception_fp_ieee_overflow 0
		.amdhsa_exception_fp_ieee_underflow 0
		.amdhsa_exception_fp_ieee_inexact 0
		.amdhsa_exception_int_div_zero 0
	.end_amdhsa_kernel
	.section	.text._ZN12_GLOBAL__N_135rocblas_gemm_batched_general_kernelIdLi16ELi16ELi32ELi32ELi8ELi32ELi8ELi8ELi32ELc67ELc67EKPKdS3_KPdEEvlllT_PT11_llS8_llS6_PT12_llPT13_lli,"axG",@progbits,_ZN12_GLOBAL__N_135rocblas_gemm_batched_general_kernelIdLi16ELi16ELi32ELi32ELi8ELi32ELi8ELi8ELi32ELc67ELc67EKPKdS3_KPdEEvlllT_PT11_llS8_llS6_PT12_llPT13_lli,comdat
.Lfunc_end227:
	.size	_ZN12_GLOBAL__N_135rocblas_gemm_batched_general_kernelIdLi16ELi16ELi32ELi32ELi8ELi32ELi8ELi8ELi32ELc67ELc67EKPKdS3_KPdEEvlllT_PT11_llS8_llS6_PT12_llPT13_lli, .Lfunc_end227-_ZN12_GLOBAL__N_135rocblas_gemm_batched_general_kernelIdLi16ELi16ELi32ELi32ELi8ELi32ELi8ELi8ELi32ELc67ELc67EKPKdS3_KPdEEvlllT_PT11_llS8_llS6_PT12_llPT13_lli
                                        ; -- End function
	.section	.AMDGPU.csdata,"",@progbits
; Kernel info:
; codeLenInByte = 1940
; NumSgprs: 56
; NumVgprs: 58
; NumAgprs: 0
; TotalNumVgprs: 58
; ScratchSize: 0
; MemoryBound: 0
; FloatMode: 240
; IeeeMode: 1
; LDSByteSize: 4096 bytes/workgroup (compile time only)
; SGPRBlocks: 6
; VGPRBlocks: 7
; NumSGPRsForWavesPerEU: 56
; NumVGPRsForWavesPerEU: 58
; AccumOffset: 60
; Occupancy: 8
; WaveLimiterHint : 1
; COMPUTE_PGM_RSRC2:SCRATCH_EN: 0
; COMPUTE_PGM_RSRC2:USER_SGPR: 6
; COMPUTE_PGM_RSRC2:TRAP_HANDLER: 0
; COMPUTE_PGM_RSRC2:TGID_X_EN: 1
; COMPUTE_PGM_RSRC2:TGID_Y_EN: 1
; COMPUTE_PGM_RSRC2:TGID_Z_EN: 1
; COMPUTE_PGM_RSRC2:TIDIG_COMP_CNT: 1
; COMPUTE_PGM_RSRC3_GFX90A:ACCUM_OFFSET: 14
; COMPUTE_PGM_RSRC3_GFX90A:TG_SPLIT: 0
	.section	.text._ZN12_GLOBAL__N_135rocblas_gemm_batched_general_kernelIdLi16ELi16ELi32ELi32ELi8ELi32ELi8ELi8ELi32ELc67ELc78EKPKdS3_KPdEEvlllT_PT11_llS8_llS6_PT12_llPT13_lli,"axG",@progbits,_ZN12_GLOBAL__N_135rocblas_gemm_batched_general_kernelIdLi16ELi16ELi32ELi32ELi8ELi32ELi8ELi8ELi32ELc67ELc78EKPKdS3_KPdEEvlllT_PT11_llS8_llS6_PT12_llPT13_lli,comdat
	.globl	_ZN12_GLOBAL__N_135rocblas_gemm_batched_general_kernelIdLi16ELi16ELi32ELi32ELi8ELi32ELi8ELi8ELi32ELc67ELc78EKPKdS3_KPdEEvlllT_PT11_llS8_llS6_PT12_llPT13_lli ; -- Begin function _ZN12_GLOBAL__N_135rocblas_gemm_batched_general_kernelIdLi16ELi16ELi32ELi32ELi8ELi32ELi8ELi8ELi32ELc67ELc78EKPKdS3_KPdEEvlllT_PT11_llS8_llS6_PT12_llPT13_lli
	.p2align	8
	.type	_ZN12_GLOBAL__N_135rocblas_gemm_batched_general_kernelIdLi16ELi16ELi32ELi32ELi8ELi32ELi8ELi8ELi32ELc67ELc78EKPKdS3_KPdEEvlllT_PT11_llS8_llS6_PT12_llPT13_lli,@function
_ZN12_GLOBAL__N_135rocblas_gemm_batched_general_kernelIdLi16ELi16ELi32ELi32ELi8ELi32ELi8ELi8ELi32ELc67ELc78EKPKdS3_KPdEEvlllT_PT11_llS8_llS6_PT12_llPT13_lli: ; @_ZN12_GLOBAL__N_135rocblas_gemm_batched_general_kernelIdLi16ELi16ELi32ELi32ELi8ELi32ELi8ELi8ELi32ELc67ELc78EKPKdS3_KPdEEvlllT_PT11_llS8_llS6_PT12_llPT13_lli
; %bb.0:
	s_load_dwordx16 s[12:27], s[4:5], 0x0
	s_load_dwordx16 s[36:51], s[4:5], 0x40
	s_mov_b32 s9, 0
	s_lshl_b64 s[0:1], s[8:9], 3
	s_mov_b32 s2, s7
	v_pk_mov_b32 v[6:7], 0, 0
	s_waitcnt lgkmcnt(0)
	s_add_u32 s8, s42, s0
	s_addc_u32 s9, s43, s1
	s_add_u32 s10, s48, s0
	s_addc_u32 s11, s49, s1
	s_load_dwordx2 s[8:9], s[8:9], 0x0
	s_ashr_i32 s3, s2, 31
	s_load_dwordx2 s[10:11], s[10:11], 0x0
	s_ashr_i32 s7, s6, 31
	s_lshl_b64 s[28:29], s[2:3], 5
	v_cmp_lt_i64_e64 s[2:3], s[16:17], 1
	v_and_b32_e32 v22, 0x3ff, v0
	v_bfe_u32 v9, v0, 10, 10
	s_lshl_b64 s[6:7], s[6:7], 5
	s_mov_b64 s[30:31], 0
	s_and_b64 vcc, exec, s[2:3]
	v_pk_mov_b32 v[4:5], v[6:7], v[6:7] op_sel:[0,1]
	v_pk_mov_b32 v[2:3], v[6:7], v[6:7] op_sel:[0,1]
	;; [unrolled: 1-line block ×3, first 2 shown]
	s_cbranch_vccnz .LBB228_7
; %bb.1:
	s_add_u32 s2, s26, s0
	v_lshl_add_u32 v2, v9, 4, v22
	s_addc_u32 s3, s27, s1
	s_add_u32 s0, s20, s0
	v_and_b32_e32 v5, 31, v2
	v_lshrrev_b32_e32 v8, 5, v2
	s_addc_u32 s1, s21, s1
	v_lshrrev_b32_e32 v4, 3, v2
	v_mov_b32_e32 v3, s7
	v_or_b32_e32 v2, s6, v5
	v_and_b32_e32 v10, 7, v22
	s_load_dwordx2 s[20:21], s[0:1], 0x0
	v_cmp_gt_i64_e64 s[0:1], s[12:13], v[2:3]
	v_lshlrev_b32_e32 v2, 3, v5
	v_lshl_or_b32 v11, v8, 8, v2
	v_lshlrev_b32_e32 v2, 3, v10
	v_mov_b32_e32 v1, s29
	v_add_co_u32_e32 v0, vcc, s28, v4
	v_lshl_or_b32 v3, v4, 6, v2
	v_addc_co_u32_e32 v1, vcc, 0, v1, vcc
	v_add_u32_e32 v23, 0x800, v3
	v_mov_b32_e32 v3, 0x800
	s_load_dwordx2 s[26:27], s[2:3], 0x0
	v_cmp_gt_i64_e64 s[2:3], s[14:15], v[0:1]
	v_lshl_add_u32 v25, v9, 6, v3
	v_mul_lo_u32 v3, s37, v0
	v_mul_lo_u32 v4, s36, v1
	v_mad_u64_u32 v[0:1], s[34:35], s36, v0, 0
	v_add3_u32 v1, v1, v4, v3
	v_lshlrev_b64 v[0:1], 3, v[0:1]
	s_lshl_b64 s[34:35], s[38:39], 3
	v_mov_b32_e32 v3, s35
	v_add_co_u32_e32 v0, vcc, s34, v0
	v_addc_co_u32_e32 v1, vcc, v1, v3, vcc
	v_add_co_u32_e32 v0, vcc, v0, v2
	v_addc_co_u32_e32 v1, vcc, 0, v1, vcc
	s_waitcnt lgkmcnt(0)
	v_mov_b32_e32 v2, s27
	v_add_co_u32_e32 v12, vcc, s26, v0
	v_addc_co_u32_e32 v13, vcc, v2, v1, vcc
	v_mov_b32_e32 v0, s7
	v_add_co_u32_e32 v1, vcc, s6, v5
	v_addc_co_u32_e32 v0, vcc, 0, v0, vcc
	v_mul_lo_u32 v2, s23, v1
	v_mul_lo_u32 v3, s22, v0
	v_mad_u64_u32 v[0:1], s[22:23], s22, v1, 0
	v_add3_u32 v1, v1, v3, v2
	v_lshlrev_b64 v[0:1], 3, v[0:1]
	s_lshl_b64 s[22:23], s[24:25], 3
	v_mov_b32_e32 v2, s23
	v_add_co_u32_e32 v0, vcc, s22, v0
	v_addc_co_u32_e32 v1, vcc, v1, v2, vcc
	v_lshlrev_b32_e32 v2, 3, v8
	v_add_co_u32_e32 v0, vcc, v0, v2
	v_addc_co_u32_e32 v1, vcc, 0, v1, vcc
	v_mov_b32_e32 v2, s21
	v_add_co_u32_e32 v14, vcc, s20, v0
	v_pk_mov_b32 v[16:17], 0, 0
	v_lshlrev_b32_e32 v24, 3, v22
	v_addc_co_u32_e32 v15, vcc, v2, v1, vcc
	v_pk_mov_b32 v[18:19], s[16:17], s[16:17] op_sel:[0,1]
	v_pk_mov_b32 v[0:1], v[16:17], v[16:17] op_sel:[0,1]
	;; [unrolled: 1-line block ×5, first 2 shown]
	s_branch .LBB228_3
.LBB228_2:                              ;   in Loop: Header=BB228_3 Depth=1
	s_or_b64 exec, exec, s[20:21]
	s_waitcnt vmcnt(0)
	ds_write_b64 v23, v[20:21]
	s_waitcnt lgkmcnt(0)
	s_barrier
	ds_read2_b64 v[26:29], v24 offset1:16
	ds_read_b128 v[30:33], v25
	ds_read_b128 v[34:37], v25 offset:16
	ds_read_b128 v[38:41], v25 offset:32
	;; [unrolled: 1-line block ×4, first 2 shown]
	ds_read2_b64 v[50:53], v24 offset0:32 offset1:48
	s_waitcnt lgkmcnt(5)
	v_fmac_f64_e32 v[6:7], v[26:27], v[30:31]
	v_fmac_f64_e32 v[4:5], v[28:29], v[30:31]
	ds_read_b128 v[54:57], v25 offset:1040
	s_waitcnt lgkmcnt(2)
	v_fmac_f64_e32 v[2:3], v[26:27], v[46:47]
	v_fmac_f64_e32 v[0:1], v[28:29], v[46:47]
	ds_read2_b64 v[26:29], v24 offset0:64 offset1:80
	s_waitcnt lgkmcnt(2)
	v_fmac_f64_e32 v[6:7], v[50:51], v[32:33]
	v_fmac_f64_e32 v[4:5], v[52:53], v[32:33]
	ds_read2_b64 v[30:33], v24 offset0:96 offset1:112
	v_fmac_f64_e32 v[2:3], v[50:51], v[48:49]
	v_fmac_f64_e32 v[0:1], v[52:53], v[48:49]
	ds_read_b128 v[46:49], v25 offset:1072
	s_waitcnt lgkmcnt(2)
	v_fmac_f64_e32 v[6:7], v[26:27], v[34:35]
	v_fmac_f64_e32 v[4:5], v[28:29], v[34:35]
	;; [unrolled: 1-line block ×4, first 2 shown]
	s_waitcnt lgkmcnt(1)
	v_fmac_f64_e32 v[6:7], v[30:31], v[36:37]
	ds_read2_b64 v[26:29], v24 offset0:128 offset1:144
	v_fmac_f64_e32 v[4:5], v[32:33], v[36:37]
	v_fmac_f64_e32 v[2:3], v[30:31], v[56:57]
	;; [unrolled: 1-line block ×3, first 2 shown]
	ds_read_b128 v[30:33], v25 offset:1056
	ds_read2_b64 v[34:37], v24 offset0:160 offset1:176
	s_waitcnt lgkmcnt(2)
	v_fmac_f64_e32 v[6:7], v[26:27], v[38:39]
	v_fmac_f64_e32 v[4:5], v[28:29], v[38:39]
	v_add_co_u32_e32 v12, vcc, 64, v12
	s_waitcnt lgkmcnt(1)
	v_fmac_f64_e32 v[2:3], v[26:27], v[30:31]
	v_fmac_f64_e32 v[0:1], v[28:29], v[30:31]
	ds_read2_b64 v[26:29], v24 offset0:192 offset1:208
	s_waitcnt lgkmcnt(1)
	v_fmac_f64_e32 v[2:3], v[34:35], v[32:33]
	v_fmac_f64_e32 v[0:1], v[36:37], v[32:33]
	ds_read2_b64 v[30:33], v24 offset0:224 offset1:240
	v_addc_co_u32_e32 v13, vcc, 0, v13, vcc
	s_add_u32 s30, s30, 8
	v_add_co_u32_e32 v14, vcc, 64, v14
	v_fmac_f64_e32 v[6:7], v[34:35], v[40:41]
	v_fmac_f64_e32 v[4:5], v[36:37], v[40:41]
	s_addc_u32 s31, s31, 0
	v_addc_co_u32_e32 v15, vcc, 0, v15, vcc
	s_waitcnt lgkmcnt(1)
	v_fmac_f64_e32 v[6:7], v[26:27], v[42:43]
	v_fmac_f64_e32 v[4:5], v[28:29], v[42:43]
	v_fmac_f64_e32 v[2:3], v[26:27], v[46:47]
	v_fmac_f64_e32 v[0:1], v[28:29], v[46:47]
	v_cmp_lt_i64_e32 vcc, s[30:31], v[18:19]
	s_waitcnt lgkmcnt(0)
	v_fmac_f64_e32 v[6:7], v[30:31], v[44:45]
	v_fmac_f64_e32 v[4:5], v[32:33], v[44:45]
	;; [unrolled: 1-line block ×4, first 2 shown]
	s_barrier
	s_cbranch_vccz .LBB228_7
.LBB228_3:                              ; =>This Inner Loop Header: Depth=1
	v_mov_b32_e32 v21, s31
	v_add_co_u32_e32 v20, vcc, s30, v8
	v_addc_co_u32_e32 v21, vcc, 0, v21, vcc
	v_cmp_gt_i64_e32 vcc, s[16:17], v[20:21]
	s_and_b64 s[22:23], s[0:1], vcc
	v_pk_mov_b32 v[20:21], v[16:17], v[16:17] op_sel:[0,1]
	s_and_saveexec_b64 s[20:21], s[22:23]
	s_cbranch_execz .LBB228_5
; %bb.4:                                ;   in Loop: Header=BB228_3 Depth=1
	global_load_dwordx2 v[20:21], v[14:15], off
.LBB228_5:                              ;   in Loop: Header=BB228_3 Depth=1
	s_or_b64 exec, exec, s[20:21]
	s_waitcnt vmcnt(0)
	ds_write_b64 v11, v[20:21]
	v_mov_b32_e32 v21, s31
	v_add_co_u32_e32 v20, vcc, s30, v10
	v_addc_co_u32_e32 v21, vcc, 0, v21, vcc
	v_cmp_gt_i64_e32 vcc, s[16:17], v[20:21]
	s_and_b64 s[22:23], vcc, s[2:3]
	v_pk_mov_b32 v[20:21], v[16:17], v[16:17] op_sel:[0,1]
	s_and_saveexec_b64 s[20:21], s[22:23]
	s_cbranch_execz .LBB228_2
; %bb.6:                                ;   in Loop: Header=BB228_3 Depth=1
	global_load_dwordx2 v[20:21], v[12:13], off
	s_branch .LBB228_2
.LBB228_7:
	s_load_dwordx2 s[0:1], s[4:5], 0x80
	v_mov_b32_e32 v10, s29
	v_add_co_u32_e32 v8, vcc, s28, v9
	v_addc_co_u32_e32 v9, vcc, 0, v10, vcc
	s_waitcnt lgkmcnt(0)
	s_lshl_b64 s[0:1], s[0:1], 3
	s_add_u32 s20, s10, s0
	v_cmp_neq_f64_e64 s[2:3], s[40:41], 0
	s_addc_u32 s21, s11, s1
	v_cmp_gt_i64_e64 s[0:1], s[14:15], v[8:9]
	s_and_b64 vcc, exec, s[2:3]
	s_cbranch_vccnz .LBB228_20
; %bb.8:
	s_and_saveexec_b64 s[10:11], s[0:1]
	s_cbranch_execz .LBB228_18
; %bb.9:
	v_mov_b32_e32 v10, s7
	v_add_co_u32_e32 v12, vcc, s6, v22
	v_addc_co_u32_e32 v13, vcc, 0, v10, vcc
	v_mul_lo_u32 v14, v9, s50
	v_mul_lo_u32 v15, v8, s51
	v_mad_u64_u32 v[10:11], s[2:3], v8, s50, 0
	v_add3_u32 v11, v11, v15, v14
	v_lshlrev_b64 v[10:11], 3, v[10:11]
	v_mov_b32_e32 v15, s21
	v_add_co_u32_e64 v14, s[2:3], s20, v10
	v_cmp_gt_i64_e32 vcc, s[12:13], v[12:13]
	v_addc_co_u32_e64 v15, s[2:3], v15, v11, s[2:3]
	v_lshlrev_b64 v[10:11], 3, v[12:13]
	s_and_saveexec_b64 s[4:5], vcc
	s_cbranch_execz .LBB228_11
; %bb.10:
	v_add_co_u32_e64 v16, s[2:3], v14, v10
	v_addc_co_u32_e64 v17, s[2:3], v15, v11, s[2:3]
	v_mul_f64 v[18:19], v[6:7], s[18:19]
	global_store_dwordx2 v[16:17], v[18:19], off
.LBB228_11:
	s_or_b64 exec, exec, s[4:5]
	v_add_co_u32_e64 v12, s[2:3], 16, v12
	v_addc_co_u32_e64 v13, s[2:3], 0, v13, s[2:3]
	v_cmp_gt_i64_e64 s[2:3], s[12:13], v[12:13]
	s_and_saveexec_b64 s[16:17], s[2:3]
	s_cbranch_execz .LBB228_13
; %bb.12:
	v_add_co_u32_e64 v12, s[4:5], v14, v10
	v_addc_co_u32_e64 v13, s[4:5], v15, v11, s[4:5]
	v_mul_f64 v[16:17], v[4:5], s[18:19]
	global_store_dwordx2 v[12:13], v[16:17], off offset:128
.LBB228_13:
	s_or_b64 exec, exec, s[16:17]
	v_add_co_u32_e64 v12, s[4:5], 16, v8
	v_addc_co_u32_e64 v13, s[4:5], 0, v9, s[4:5]
	v_cmp_gt_i64_e64 s[4:5], s[14:15], v[12:13]
	s_and_b64 exec, exec, s[4:5]
	s_cbranch_execz .LBB228_18
; %bb.14:
	s_lshl_b64 s[4:5], s[50:51], 7
	v_mov_b32_e32 v12, s5
	v_add_co_u32_e64 v13, s[4:5], s4, v14
	v_addc_co_u32_e64 v12, s[4:5], v15, v12, s[4:5]
	v_add_co_u32_e64 v10, s[4:5], v13, v10
	v_addc_co_u32_e64 v11, s[4:5], v12, v11, s[4:5]
	s_and_saveexec_b64 s[4:5], vcc
	s_cbranch_execz .LBB228_16
; %bb.15:
	v_mul_f64 v[12:13], v[2:3], s[18:19]
	global_store_dwordx2 v[10:11], v[12:13], off
.LBB228_16:
	s_or_b64 exec, exec, s[4:5]
	s_and_b64 exec, exec, s[2:3]
	s_cbranch_execz .LBB228_18
; %bb.17:
	v_mul_f64 v[12:13], v[0:1], s[18:19]
	global_store_dwordx2 v[10:11], v[12:13], off offset:128
.LBB228_18:
	s_or_b64 exec, exec, s[10:11]
	s_cbranch_execz .LBB228_21
.LBB228_19:
	s_endpgm
.LBB228_20:
.LBB228_21:
	s_and_saveexec_b64 s[2:3], s[0:1]
	s_cbranch_execz .LBB228_19
; %bb.22:
	s_lshl_b64 s[0:1], s[46:47], 3
	s_add_u32 s2, s8, s0
	v_mov_b32_e32 v10, s7
	v_add_co_u32_e32 v12, vcc, s6, v22
	s_addc_u32 s3, s9, s1
	v_addc_co_u32_e32 v13, vcc, 0, v10, vcc
	v_mul_lo_u32 v14, v9, s44
	v_mul_lo_u32 v15, v8, s45
	v_mad_u64_u32 v[10:11], s[0:1], v8, s44, 0
	v_add3_u32 v11, v11, v15, v14
	v_mul_lo_u32 v14, v9, s50
	v_mul_lo_u32 v15, v8, s51
	v_mad_u64_u32 v[16:17], s[0:1], v8, s50, 0
	v_lshlrev_b64 v[10:11], 3, v[10:11]
	v_add3_u32 v17, v17, v15, v14
	v_mov_b32_e32 v15, s3
	v_add_co_u32_e64 v14, s[0:1], s2, v10
	v_addc_co_u32_e64 v15, s[0:1], v15, v11, s[0:1]
	v_lshlrev_b64 v[10:11], 3, v[16:17]
	v_mov_b32_e32 v17, s21
	v_add_co_u32_e64 v16, s[0:1], s20, v10
	v_cmp_gt_i64_e32 vcc, s[12:13], v[12:13]
	v_addc_co_u32_e64 v17, s[0:1], v17, v11, s[0:1]
	v_lshlrev_b64 v[10:11], 3, v[12:13]
	s_and_saveexec_b64 s[2:3], vcc
	s_cbranch_execz .LBB228_24
; %bb.23:
	v_add_co_u32_e64 v18, s[0:1], v14, v10
	v_addc_co_u32_e64 v19, s[0:1], v15, v11, s[0:1]
	global_load_dwordx2 v[18:19], v[18:19], off
	s_waitcnt vmcnt(0)
	v_mul_f64 v[18:19], v[18:19], s[40:41]
	v_fmac_f64_e32 v[18:19], s[18:19], v[6:7]
	v_add_co_u32_e64 v6, s[0:1], v16, v10
	v_addc_co_u32_e64 v7, s[0:1], v17, v11, s[0:1]
	global_store_dwordx2 v[6:7], v[18:19], off
.LBB228_24:
	s_or_b64 exec, exec, s[2:3]
	v_add_co_u32_e64 v6, s[0:1], 16, v12
	v_addc_co_u32_e64 v7, s[0:1], 0, v13, s[0:1]
	v_cmp_gt_i64_e64 s[0:1], s[12:13], v[6:7]
	s_and_saveexec_b64 s[4:5], s[0:1]
	s_cbranch_execz .LBB228_26
; %bb.25:
	v_add_co_u32_e64 v6, s[2:3], v14, v10
	v_addc_co_u32_e64 v7, s[2:3], v15, v11, s[2:3]
	global_load_dwordx2 v[6:7], v[6:7], off offset:128
	s_waitcnt vmcnt(0)
	v_mul_f64 v[6:7], v[6:7], s[40:41]
	v_fmac_f64_e32 v[6:7], s[18:19], v[4:5]
	v_add_co_u32_e64 v4, s[2:3], v16, v10
	v_addc_co_u32_e64 v5, s[2:3], v17, v11, s[2:3]
	global_store_dwordx2 v[4:5], v[6:7], off offset:128
.LBB228_26:
	s_or_b64 exec, exec, s[4:5]
	v_add_co_u32_e64 v4, s[2:3], 16, v8
	v_addc_co_u32_e64 v5, s[2:3], 0, v9, s[2:3]
	v_cmp_gt_i64_e64 s[2:3], s[14:15], v[4:5]
	s_and_b64 exec, exec, s[2:3]
	s_cbranch_execz .LBB228_19
; %bb.27:
	s_lshl_b64 s[2:3], s[44:45], 7
	v_mov_b32_e32 v4, s3
	v_add_co_u32_e64 v5, s[2:3], s2, v14
	v_addc_co_u32_e64 v6, s[2:3], v15, v4, s[2:3]
	s_lshl_b64 s[2:3], s[50:51], 7
	v_mov_b32_e32 v4, s3
	v_add_co_u32_e64 v7, s[2:3], s2, v16
	v_addc_co_u32_e64 v8, s[2:3], v17, v4, s[2:3]
	v_add_co_u32_e64 v4, s[2:3], v5, v10
	v_addc_co_u32_e64 v5, s[2:3], v6, v11, s[2:3]
	;; [unrolled: 2-line block ×3, first 2 shown]
	s_and_saveexec_b64 s[2:3], vcc
	s_cbranch_execz .LBB228_29
; %bb.28:
	global_load_dwordx2 v[8:9], v[4:5], off
	s_waitcnt vmcnt(0)
	v_mul_f64 v[8:9], v[8:9], s[40:41]
	v_fmac_f64_e32 v[8:9], s[18:19], v[2:3]
	global_store_dwordx2 v[6:7], v[8:9], off
.LBB228_29:
	s_or_b64 exec, exec, s[2:3]
	s_and_b64 exec, exec, s[0:1]
	s_cbranch_execz .LBB228_19
; %bb.30:
	global_load_dwordx2 v[2:3], v[4:5], off offset:128
	s_waitcnt vmcnt(0)
	v_mul_f64 v[2:3], v[2:3], s[40:41]
	v_fmac_f64_e32 v[2:3], s[18:19], v[0:1]
	global_store_dwordx2 v[6:7], v[2:3], off offset:128
	s_endpgm
	.section	.rodata,"a",@progbits
	.p2align	6, 0x0
	.amdhsa_kernel _ZN12_GLOBAL__N_135rocblas_gemm_batched_general_kernelIdLi16ELi16ELi32ELi32ELi8ELi32ELi8ELi8ELi32ELc67ELc78EKPKdS3_KPdEEvlllT_PT11_llS8_llS6_PT12_llPT13_lli
		.amdhsa_group_segment_fixed_size 4096
		.amdhsa_private_segment_fixed_size 0
		.amdhsa_kernarg_size 140
		.amdhsa_user_sgpr_count 6
		.amdhsa_user_sgpr_private_segment_buffer 1
		.amdhsa_user_sgpr_dispatch_ptr 0
		.amdhsa_user_sgpr_queue_ptr 0
		.amdhsa_user_sgpr_kernarg_segment_ptr 1
		.amdhsa_user_sgpr_dispatch_id 0
		.amdhsa_user_sgpr_flat_scratch_init 0
		.amdhsa_user_sgpr_kernarg_preload_length 0
		.amdhsa_user_sgpr_kernarg_preload_offset 0
		.amdhsa_user_sgpr_private_segment_size 0
		.amdhsa_uses_dynamic_stack 0
		.amdhsa_system_sgpr_private_segment_wavefront_offset 0
		.amdhsa_system_sgpr_workgroup_id_x 1
		.amdhsa_system_sgpr_workgroup_id_y 1
		.amdhsa_system_sgpr_workgroup_id_z 1
		.amdhsa_system_sgpr_workgroup_info 0
		.amdhsa_system_vgpr_workitem_id 1
		.amdhsa_next_free_vgpr 58
		.amdhsa_next_free_sgpr 52
		.amdhsa_accum_offset 60
		.amdhsa_reserve_vcc 1
		.amdhsa_reserve_flat_scratch 0
		.amdhsa_float_round_mode_32 0
		.amdhsa_float_round_mode_16_64 0
		.amdhsa_float_denorm_mode_32 3
		.amdhsa_float_denorm_mode_16_64 3
		.amdhsa_dx10_clamp 1
		.amdhsa_ieee_mode 1
		.amdhsa_fp16_overflow 0
		.amdhsa_tg_split 0
		.amdhsa_exception_fp_ieee_invalid_op 0
		.amdhsa_exception_fp_denorm_src 0
		.amdhsa_exception_fp_ieee_div_zero 0
		.amdhsa_exception_fp_ieee_overflow 0
		.amdhsa_exception_fp_ieee_underflow 0
		.amdhsa_exception_fp_ieee_inexact 0
		.amdhsa_exception_int_div_zero 0
	.end_amdhsa_kernel
	.section	.text._ZN12_GLOBAL__N_135rocblas_gemm_batched_general_kernelIdLi16ELi16ELi32ELi32ELi8ELi32ELi8ELi8ELi32ELc67ELc78EKPKdS3_KPdEEvlllT_PT11_llS8_llS6_PT12_llPT13_lli,"axG",@progbits,_ZN12_GLOBAL__N_135rocblas_gemm_batched_general_kernelIdLi16ELi16ELi32ELi32ELi8ELi32ELi8ELi8ELi32ELc67ELc78EKPKdS3_KPdEEvlllT_PT11_llS8_llS6_PT12_llPT13_lli,comdat
.Lfunc_end228:
	.size	_ZN12_GLOBAL__N_135rocblas_gemm_batched_general_kernelIdLi16ELi16ELi32ELi32ELi8ELi32ELi8ELi8ELi32ELc67ELc78EKPKdS3_KPdEEvlllT_PT11_llS8_llS6_PT12_llPT13_lli, .Lfunc_end228-_ZN12_GLOBAL__N_135rocblas_gemm_batched_general_kernelIdLi16ELi16ELi32ELi32ELi8ELi32ELi8ELi8ELi32ELc67ELc78EKPKdS3_KPdEEvlllT_PT11_llS8_llS6_PT12_llPT13_lli
                                        ; -- End function
	.section	.AMDGPU.csdata,"",@progbits
; Kernel info:
; codeLenInByte = 1920
; NumSgprs: 56
; NumVgprs: 58
; NumAgprs: 0
; TotalNumVgprs: 58
; ScratchSize: 0
; MemoryBound: 0
; FloatMode: 240
; IeeeMode: 1
; LDSByteSize: 4096 bytes/workgroup (compile time only)
; SGPRBlocks: 6
; VGPRBlocks: 7
; NumSGPRsForWavesPerEU: 56
; NumVGPRsForWavesPerEU: 58
; AccumOffset: 60
; Occupancy: 8
; WaveLimiterHint : 1
; COMPUTE_PGM_RSRC2:SCRATCH_EN: 0
; COMPUTE_PGM_RSRC2:USER_SGPR: 6
; COMPUTE_PGM_RSRC2:TRAP_HANDLER: 0
; COMPUTE_PGM_RSRC2:TGID_X_EN: 1
; COMPUTE_PGM_RSRC2:TGID_Y_EN: 1
; COMPUTE_PGM_RSRC2:TGID_Z_EN: 1
; COMPUTE_PGM_RSRC2:TIDIG_COMP_CNT: 1
; COMPUTE_PGM_RSRC3_GFX90A:ACCUM_OFFSET: 14
; COMPUTE_PGM_RSRC3_GFX90A:TG_SPLIT: 0
	.section	.text._ZN12_GLOBAL__N_135rocblas_gemm_batched_general_kernelIdLi16ELi16ELi32ELi32ELi8ELi32ELi8ELi8ELi32ELc67ELc84EKPKdS3_KPdEEvlllT_PT11_llS8_llS6_PT12_llPT13_lli,"axG",@progbits,_ZN12_GLOBAL__N_135rocblas_gemm_batched_general_kernelIdLi16ELi16ELi32ELi32ELi8ELi32ELi8ELi8ELi32ELc67ELc84EKPKdS3_KPdEEvlllT_PT11_llS8_llS6_PT12_llPT13_lli,comdat
	.globl	_ZN12_GLOBAL__N_135rocblas_gemm_batched_general_kernelIdLi16ELi16ELi32ELi32ELi8ELi32ELi8ELi8ELi32ELc67ELc84EKPKdS3_KPdEEvlllT_PT11_llS8_llS6_PT12_llPT13_lli ; -- Begin function _ZN12_GLOBAL__N_135rocblas_gemm_batched_general_kernelIdLi16ELi16ELi32ELi32ELi8ELi32ELi8ELi8ELi32ELc67ELc84EKPKdS3_KPdEEvlllT_PT11_llS8_llS6_PT12_llPT13_lli
	.p2align	8
	.type	_ZN12_GLOBAL__N_135rocblas_gemm_batched_general_kernelIdLi16ELi16ELi32ELi32ELi8ELi32ELi8ELi8ELi32ELc67ELc84EKPKdS3_KPdEEvlllT_PT11_llS8_llS6_PT12_llPT13_lli,@function
_ZN12_GLOBAL__N_135rocblas_gemm_batched_general_kernelIdLi16ELi16ELi32ELi32ELi8ELi32ELi8ELi8ELi32ELc67ELc84EKPKdS3_KPdEEvlllT_PT11_llS8_llS6_PT12_llPT13_lli: ; @_ZN12_GLOBAL__N_135rocblas_gemm_batched_general_kernelIdLi16ELi16ELi32ELi32ELi8ELi32ELi8ELi8ELi32ELc67ELc84EKPKdS3_KPdEEvlllT_PT11_llS8_llS6_PT12_llPT13_lli
; %bb.0:
	s_load_dwordx16 s[12:27], s[4:5], 0x0
	s_load_dwordx16 s[36:51], s[4:5], 0x40
	s_mov_b32 s9, 0
	s_lshl_b64 s[0:1], s[8:9], 3
	s_mov_b32 s34, s7
	v_pk_mov_b32 v[6:7], 0, 0
	s_waitcnt lgkmcnt(0)
	s_add_u32 s2, s42, s0
	s_addc_u32 s3, s43, s1
	s_load_dwordx2 s[8:9], s[2:3], 0x0
	s_add_u32 s2, s48, s0
	s_addc_u32 s3, s49, s1
	s_load_dwordx2 s[10:11], s[2:3], 0x0
	s_ashr_i32 s7, s6, 31
	s_ashr_i32 s35, s34, 31
	v_cmp_lt_i64_e64 s[2:3], s[16:17], 1
	v_and_b32_e32 v20, 0x3ff, v0
	v_bfe_u32 v9, v0, 10, 10
	s_lshl_b64 s[6:7], s[6:7], 5
	s_lshl_b64 s[28:29], s[34:35], 5
	s_mov_b64 s[30:31], 0
	s_and_b64 vcc, exec, s[2:3]
	v_pk_mov_b32 v[4:5], v[6:7], v[6:7] op_sel:[0,1]
	v_pk_mov_b32 v[2:3], v[6:7], v[6:7] op_sel:[0,1]
	;; [unrolled: 1-line block ×3, first 2 shown]
	s_cbranch_vccnz .LBB229_7
; %bb.1:
	v_lshl_add_u32 v4, v9, 4, v20
	v_lshrrev_b32_e32 v5, 3, v4
	s_add_u32 s2, s26, s0
	v_mov_b32_e32 v1, s29
	v_add_co_u32_e32 v0, vcc, s28, v5
	s_addc_u32 s3, s27, s1
	v_and_b32_e32 v10, 7, v20
	v_addc_co_u32_e32 v1, vcc, 0, v1, vcc
	s_load_dwordx2 s[26:27], s[2:3], 0x0
	v_cmp_gt_i64_e64 s[2:3], s[14:15], v[0:1]
	v_lshlrev_b32_e32 v0, 3, v10
	s_add_u32 s0, s20, s0
	v_and_b32_e32 v6, 31, v4
	v_lshl_or_b32 v0, v5, 6, v0
	s_addc_u32 s1, s21, s1
	v_mov_b32_e32 v3, s7
	v_or_b32_e32 v2, s6, v6
	v_add_u32_e32 v21, 0x800, v0
	v_mov_b32_e32 v0, 0x800
	v_lshrrev_b32_e32 v8, 5, v4
	s_load_dwordx2 s[42:43], s[0:1], 0x0
	v_cmp_gt_i64_e64 s[0:1], s[12:13], v[2:3]
	v_lshlrev_b32_e32 v2, 3, v6
	v_lshl_add_u32 v23, v9, 6, v0
	v_mad_u64_u32 v[0:1], s[20:21], s36, v10, 0
	v_lshl_or_b32 v11, v8, 8, v2
	v_mov_b32_e32 v2, v1
	v_mad_u64_u32 v[2:3], s[20:21], s37, v10, v[2:3]
	s_lshl_b64 s[20:21], s[34:35], 8
	s_lshl_b64 s[34:35], s[38:39], 3
	v_mov_b32_e32 v1, v2
	s_add_u32 s20, s34, s20
	v_lshlrev_b64 v[0:1], 3, v[0:1]
	s_addc_u32 s21, s35, s21
	v_mov_b32_e32 v2, s21
	v_add_co_u32_e32 v0, vcc, s20, v0
	v_addc_co_u32_e32 v1, vcc, v2, v1, vcc
	v_and_b32_e32 v2, 0x7ff8, v4
	v_add_co_u32_e32 v0, vcc, v0, v2
	v_addc_co_u32_e32 v1, vcc, 0, v1, vcc
	s_waitcnt lgkmcnt(0)
	v_mov_b32_e32 v2, s27
	v_add_co_u32_e32 v12, vcc, s26, v0
	v_addc_co_u32_e32 v13, vcc, v2, v1, vcc
	v_mov_b32_e32 v0, s7
	v_add_co_u32_e32 v1, vcc, s6, v6
	v_addc_co_u32_e32 v0, vcc, 0, v0, vcc
	v_mul_lo_u32 v2, s23, v1
	v_mul_lo_u32 v3, s22, v0
	v_mad_u64_u32 v[0:1], s[22:23], s22, v1, 0
	v_add3_u32 v1, v1, v3, v2
	v_lshlrev_b64 v[0:1], 3, v[0:1]
	s_lshl_b64 s[22:23], s[24:25], 3
	v_mov_b32_e32 v2, s23
	v_add_co_u32_e32 v0, vcc, s22, v0
	v_addc_co_u32_e32 v1, vcc, v1, v2, vcc
	v_lshlrev_b32_e32 v2, 3, v8
	v_add_co_u32_e32 v0, vcc, v0, v2
	v_addc_co_u32_e32 v1, vcc, 0, v1, vcc
	s_lshl_b64 s[20:21], s[36:37], 6
	v_mov_b32_e32 v2, s43
	v_add_co_u32_e32 v14, vcc, s42, v0
	v_pk_mov_b32 v[16:17], 0, 0
	v_lshlrev_b32_e32 v22, 3, v20
	v_addc_co_u32_e32 v15, vcc, v2, v1, vcc
	v_mov_b32_e32 v24, s21
	v_pk_mov_b32 v[0:1], v[16:17], v[16:17] op_sel:[0,1]
	v_pk_mov_b32 v[2:3], v[16:17], v[16:17] op_sel:[0,1]
	;; [unrolled: 1-line block ×4, first 2 shown]
	s_branch .LBB229_3
.LBB229_2:                              ;   in Loop: Header=BB229_3 Depth=1
	s_or_b64 exec, exec, s[22:23]
	s_waitcnt vmcnt(0)
	ds_write_b64 v21, v[18:19]
	s_waitcnt lgkmcnt(0)
	s_barrier
	ds_read2_b64 v[26:29], v22 offset1:16
	ds_read_b128 v[30:33], v23
	ds_read_b128 v[34:37], v23 offset:16
	ds_read_b128 v[38:41], v23 offset:32
	;; [unrolled: 1-line block ×4, first 2 shown]
	ds_read2_b64 v[50:53], v22 offset0:32 offset1:48
	s_waitcnt lgkmcnt(5)
	v_fmac_f64_e32 v[6:7], v[26:27], v[30:31]
	v_fmac_f64_e32 v[4:5], v[28:29], v[30:31]
	ds_read_b128 v[54:57], v23 offset:1040
	s_waitcnt lgkmcnt(2)
	v_fmac_f64_e32 v[2:3], v[26:27], v[46:47]
	v_fmac_f64_e32 v[0:1], v[28:29], v[46:47]
	ds_read2_b64 v[26:29], v22 offset0:64 offset1:80
	s_waitcnt lgkmcnt(2)
	v_fmac_f64_e32 v[6:7], v[50:51], v[32:33]
	v_fmac_f64_e32 v[4:5], v[52:53], v[32:33]
	ds_read2_b64 v[30:33], v22 offset0:96 offset1:112
	v_fmac_f64_e32 v[2:3], v[50:51], v[48:49]
	v_fmac_f64_e32 v[0:1], v[52:53], v[48:49]
	ds_read_b128 v[46:49], v23 offset:1072
	s_waitcnt lgkmcnt(2)
	v_fmac_f64_e32 v[6:7], v[26:27], v[34:35]
	v_fmac_f64_e32 v[4:5], v[28:29], v[34:35]
	;; [unrolled: 1-line block ×4, first 2 shown]
	s_waitcnt lgkmcnt(1)
	v_fmac_f64_e32 v[6:7], v[30:31], v[36:37]
	ds_read2_b64 v[26:29], v22 offset0:128 offset1:144
	v_fmac_f64_e32 v[4:5], v[32:33], v[36:37]
	v_fmac_f64_e32 v[2:3], v[30:31], v[56:57]
	;; [unrolled: 1-line block ×3, first 2 shown]
	ds_read_b128 v[30:33], v23 offset:1056
	ds_read2_b64 v[34:37], v22 offset0:160 offset1:176
	s_waitcnt lgkmcnt(2)
	v_fmac_f64_e32 v[6:7], v[26:27], v[38:39]
	v_fmac_f64_e32 v[4:5], v[28:29], v[38:39]
	v_add_co_u32_e32 v12, vcc, s20, v12
	s_waitcnt lgkmcnt(1)
	v_fmac_f64_e32 v[2:3], v[26:27], v[30:31]
	v_fmac_f64_e32 v[0:1], v[28:29], v[30:31]
	ds_read2_b64 v[26:29], v22 offset0:192 offset1:208
	s_waitcnt lgkmcnt(1)
	v_fmac_f64_e32 v[2:3], v[34:35], v[32:33]
	v_fmac_f64_e32 v[0:1], v[36:37], v[32:33]
	ds_read2_b64 v[30:33], v22 offset0:224 offset1:240
	v_addc_co_u32_e32 v13, vcc, v13, v24, vcc
	s_add_u32 s30, s30, 8
	v_add_co_u32_e32 v14, vcc, 64, v14
	v_fmac_f64_e32 v[6:7], v[34:35], v[40:41]
	v_fmac_f64_e32 v[4:5], v[36:37], v[40:41]
	s_addc_u32 s31, s31, 0
	v_addc_co_u32_e32 v15, vcc, 0, v15, vcc
	v_pk_mov_b32 v[18:19], s[16:17], s[16:17] op_sel:[0,1]
	s_waitcnt lgkmcnt(1)
	v_fmac_f64_e32 v[6:7], v[26:27], v[42:43]
	v_fmac_f64_e32 v[4:5], v[28:29], v[42:43]
	;; [unrolled: 1-line block ×4, first 2 shown]
	v_cmp_lt_i64_e32 vcc, s[30:31], v[18:19]
	s_waitcnt lgkmcnt(0)
	v_fmac_f64_e32 v[6:7], v[30:31], v[44:45]
	v_fmac_f64_e32 v[4:5], v[32:33], v[44:45]
	;; [unrolled: 1-line block ×4, first 2 shown]
	s_barrier
	s_cbranch_vccz .LBB229_7
.LBB229_3:                              ; =>This Inner Loop Header: Depth=1
	v_mov_b32_e32 v19, s31
	v_add_co_u32_e32 v18, vcc, s30, v8
	v_addc_co_u32_e32 v19, vcc, 0, v19, vcc
	v_cmp_gt_i64_e32 vcc, s[16:17], v[18:19]
	s_and_b64 s[24:25], s[0:1], vcc
	v_pk_mov_b32 v[18:19], v[16:17], v[16:17] op_sel:[0,1]
	s_and_saveexec_b64 s[22:23], s[24:25]
	s_cbranch_execz .LBB229_5
; %bb.4:                                ;   in Loop: Header=BB229_3 Depth=1
	global_load_dwordx2 v[18:19], v[14:15], off
.LBB229_5:                              ;   in Loop: Header=BB229_3 Depth=1
	s_or_b64 exec, exec, s[22:23]
	s_waitcnt vmcnt(0)
	ds_write_b64 v11, v[18:19]
	v_mov_b32_e32 v19, s31
	v_add_co_u32_e32 v18, vcc, s30, v10
	v_addc_co_u32_e32 v19, vcc, 0, v19, vcc
	v_cmp_gt_i64_e32 vcc, s[16:17], v[18:19]
	s_and_b64 s[24:25], vcc, s[2:3]
	v_pk_mov_b32 v[18:19], v[16:17], v[16:17] op_sel:[0,1]
	s_and_saveexec_b64 s[22:23], s[24:25]
	s_cbranch_execz .LBB229_2
; %bb.6:                                ;   in Loop: Header=BB229_3 Depth=1
	global_load_dwordx2 v[18:19], v[12:13], off
	s_branch .LBB229_2
.LBB229_7:
	s_load_dwordx2 s[0:1], s[4:5], 0x80
	v_mov_b32_e32 v10, s29
	v_add_co_u32_e32 v8, vcc, s28, v9
	v_addc_co_u32_e32 v9, vcc, 0, v10, vcc
	s_waitcnt lgkmcnt(0)
	s_lshl_b64 s[0:1], s[0:1], 3
	s_add_u32 s20, s10, s0
	v_cmp_neq_f64_e64 s[2:3], s[40:41], 0
	s_addc_u32 s21, s11, s1
	v_cmp_gt_i64_e64 s[0:1], s[14:15], v[8:9]
	s_and_b64 vcc, exec, s[2:3]
	s_cbranch_vccnz .LBB229_20
; %bb.8:
	s_and_saveexec_b64 s[10:11], s[0:1]
	s_cbranch_execz .LBB229_18
; %bb.9:
	v_mov_b32_e32 v10, s7
	v_add_co_u32_e32 v12, vcc, s6, v20
	v_addc_co_u32_e32 v13, vcc, 0, v10, vcc
	v_mul_lo_u32 v14, v9, s50
	v_mul_lo_u32 v15, v8, s51
	v_mad_u64_u32 v[10:11], s[2:3], v8, s50, 0
	v_add3_u32 v11, v11, v15, v14
	v_lshlrev_b64 v[10:11], 3, v[10:11]
	v_mov_b32_e32 v15, s21
	v_add_co_u32_e64 v14, s[2:3], s20, v10
	v_cmp_gt_i64_e32 vcc, s[12:13], v[12:13]
	v_addc_co_u32_e64 v15, s[2:3], v15, v11, s[2:3]
	v_lshlrev_b64 v[10:11], 3, v[12:13]
	s_and_saveexec_b64 s[4:5], vcc
	s_cbranch_execz .LBB229_11
; %bb.10:
	v_add_co_u32_e64 v16, s[2:3], v14, v10
	v_addc_co_u32_e64 v17, s[2:3], v15, v11, s[2:3]
	v_mul_f64 v[18:19], v[6:7], s[18:19]
	global_store_dwordx2 v[16:17], v[18:19], off
.LBB229_11:
	s_or_b64 exec, exec, s[4:5]
	v_add_co_u32_e64 v12, s[2:3], 16, v12
	v_addc_co_u32_e64 v13, s[2:3], 0, v13, s[2:3]
	v_cmp_gt_i64_e64 s[2:3], s[12:13], v[12:13]
	s_and_saveexec_b64 s[16:17], s[2:3]
	s_cbranch_execz .LBB229_13
; %bb.12:
	v_add_co_u32_e64 v12, s[4:5], v14, v10
	v_addc_co_u32_e64 v13, s[4:5], v15, v11, s[4:5]
	v_mul_f64 v[16:17], v[4:5], s[18:19]
	global_store_dwordx2 v[12:13], v[16:17], off offset:128
.LBB229_13:
	s_or_b64 exec, exec, s[16:17]
	v_add_co_u32_e64 v12, s[4:5], 16, v8
	v_addc_co_u32_e64 v13, s[4:5], 0, v9, s[4:5]
	v_cmp_gt_i64_e64 s[4:5], s[14:15], v[12:13]
	s_and_b64 exec, exec, s[4:5]
	s_cbranch_execz .LBB229_18
; %bb.14:
	s_lshl_b64 s[4:5], s[50:51], 7
	v_mov_b32_e32 v12, s5
	v_add_co_u32_e64 v13, s[4:5], s4, v14
	v_addc_co_u32_e64 v12, s[4:5], v15, v12, s[4:5]
	v_add_co_u32_e64 v10, s[4:5], v13, v10
	v_addc_co_u32_e64 v11, s[4:5], v12, v11, s[4:5]
	s_and_saveexec_b64 s[4:5], vcc
	s_cbranch_execz .LBB229_16
; %bb.15:
	v_mul_f64 v[12:13], v[2:3], s[18:19]
	global_store_dwordx2 v[10:11], v[12:13], off
.LBB229_16:
	s_or_b64 exec, exec, s[4:5]
	s_and_b64 exec, exec, s[2:3]
	s_cbranch_execz .LBB229_18
; %bb.17:
	v_mul_f64 v[12:13], v[0:1], s[18:19]
	global_store_dwordx2 v[10:11], v[12:13], off offset:128
.LBB229_18:
	s_or_b64 exec, exec, s[10:11]
	s_cbranch_execz .LBB229_21
.LBB229_19:
	s_endpgm
.LBB229_20:
.LBB229_21:
	s_and_saveexec_b64 s[2:3], s[0:1]
	s_cbranch_execz .LBB229_19
; %bb.22:
	s_lshl_b64 s[0:1], s[46:47], 3
	s_add_u32 s2, s8, s0
	v_mov_b32_e32 v10, s7
	v_add_co_u32_e32 v12, vcc, s6, v20
	s_addc_u32 s3, s9, s1
	v_addc_co_u32_e32 v13, vcc, 0, v10, vcc
	v_mul_lo_u32 v14, v9, s44
	v_mul_lo_u32 v15, v8, s45
	v_mad_u64_u32 v[10:11], s[0:1], v8, s44, 0
	v_add3_u32 v11, v11, v15, v14
	v_mul_lo_u32 v14, v9, s50
	v_mul_lo_u32 v15, v8, s51
	v_mad_u64_u32 v[16:17], s[0:1], v8, s50, 0
	v_lshlrev_b64 v[10:11], 3, v[10:11]
	v_add3_u32 v17, v17, v15, v14
	v_mov_b32_e32 v15, s3
	v_add_co_u32_e64 v14, s[0:1], s2, v10
	v_addc_co_u32_e64 v15, s[0:1], v15, v11, s[0:1]
	v_lshlrev_b64 v[10:11], 3, v[16:17]
	v_mov_b32_e32 v17, s21
	v_add_co_u32_e64 v16, s[0:1], s20, v10
	v_cmp_gt_i64_e32 vcc, s[12:13], v[12:13]
	v_addc_co_u32_e64 v17, s[0:1], v17, v11, s[0:1]
	v_lshlrev_b64 v[10:11], 3, v[12:13]
	s_and_saveexec_b64 s[2:3], vcc
	s_cbranch_execz .LBB229_24
; %bb.23:
	v_add_co_u32_e64 v18, s[0:1], v14, v10
	v_addc_co_u32_e64 v19, s[0:1], v15, v11, s[0:1]
	global_load_dwordx2 v[18:19], v[18:19], off
	s_waitcnt vmcnt(0)
	v_mul_f64 v[18:19], v[18:19], s[40:41]
	v_fmac_f64_e32 v[18:19], s[18:19], v[6:7]
	v_add_co_u32_e64 v6, s[0:1], v16, v10
	v_addc_co_u32_e64 v7, s[0:1], v17, v11, s[0:1]
	global_store_dwordx2 v[6:7], v[18:19], off
.LBB229_24:
	s_or_b64 exec, exec, s[2:3]
	v_add_co_u32_e64 v6, s[0:1], 16, v12
	v_addc_co_u32_e64 v7, s[0:1], 0, v13, s[0:1]
	v_cmp_gt_i64_e64 s[0:1], s[12:13], v[6:7]
	s_and_saveexec_b64 s[4:5], s[0:1]
	s_cbranch_execz .LBB229_26
; %bb.25:
	v_add_co_u32_e64 v6, s[2:3], v14, v10
	v_addc_co_u32_e64 v7, s[2:3], v15, v11, s[2:3]
	global_load_dwordx2 v[6:7], v[6:7], off offset:128
	s_waitcnt vmcnt(0)
	v_mul_f64 v[6:7], v[6:7], s[40:41]
	v_fmac_f64_e32 v[6:7], s[18:19], v[4:5]
	v_add_co_u32_e64 v4, s[2:3], v16, v10
	v_addc_co_u32_e64 v5, s[2:3], v17, v11, s[2:3]
	global_store_dwordx2 v[4:5], v[6:7], off offset:128
.LBB229_26:
	s_or_b64 exec, exec, s[4:5]
	v_add_co_u32_e64 v4, s[2:3], 16, v8
	v_addc_co_u32_e64 v5, s[2:3], 0, v9, s[2:3]
	v_cmp_gt_i64_e64 s[2:3], s[14:15], v[4:5]
	s_and_b64 exec, exec, s[2:3]
	s_cbranch_execz .LBB229_19
; %bb.27:
	s_lshl_b64 s[2:3], s[44:45], 7
	v_mov_b32_e32 v4, s3
	v_add_co_u32_e64 v5, s[2:3], s2, v14
	v_addc_co_u32_e64 v6, s[2:3], v15, v4, s[2:3]
	s_lshl_b64 s[2:3], s[50:51], 7
	v_mov_b32_e32 v4, s3
	v_add_co_u32_e64 v7, s[2:3], s2, v16
	v_addc_co_u32_e64 v8, s[2:3], v17, v4, s[2:3]
	v_add_co_u32_e64 v4, s[2:3], v5, v10
	v_addc_co_u32_e64 v5, s[2:3], v6, v11, s[2:3]
	;; [unrolled: 2-line block ×3, first 2 shown]
	s_and_saveexec_b64 s[2:3], vcc
	s_cbranch_execz .LBB229_29
; %bb.28:
	global_load_dwordx2 v[8:9], v[4:5], off
	s_waitcnt vmcnt(0)
	v_mul_f64 v[8:9], v[8:9], s[40:41]
	v_fmac_f64_e32 v[8:9], s[18:19], v[2:3]
	global_store_dwordx2 v[6:7], v[8:9], off
.LBB229_29:
	s_or_b64 exec, exec, s[2:3]
	s_and_b64 exec, exec, s[0:1]
	s_cbranch_execz .LBB229_19
; %bb.30:
	global_load_dwordx2 v[2:3], v[4:5], off offset:128
	s_waitcnt vmcnt(0)
	v_mul_f64 v[2:3], v[2:3], s[40:41]
	v_fmac_f64_e32 v[2:3], s[18:19], v[0:1]
	global_store_dwordx2 v[6:7], v[2:3], off offset:128
	s_endpgm
	.section	.rodata,"a",@progbits
	.p2align	6, 0x0
	.amdhsa_kernel _ZN12_GLOBAL__N_135rocblas_gemm_batched_general_kernelIdLi16ELi16ELi32ELi32ELi8ELi32ELi8ELi8ELi32ELc67ELc84EKPKdS3_KPdEEvlllT_PT11_llS8_llS6_PT12_llPT13_lli
		.amdhsa_group_segment_fixed_size 4096
		.amdhsa_private_segment_fixed_size 0
		.amdhsa_kernarg_size 140
		.amdhsa_user_sgpr_count 6
		.amdhsa_user_sgpr_private_segment_buffer 1
		.amdhsa_user_sgpr_dispatch_ptr 0
		.amdhsa_user_sgpr_queue_ptr 0
		.amdhsa_user_sgpr_kernarg_segment_ptr 1
		.amdhsa_user_sgpr_dispatch_id 0
		.amdhsa_user_sgpr_flat_scratch_init 0
		.amdhsa_user_sgpr_kernarg_preload_length 0
		.amdhsa_user_sgpr_kernarg_preload_offset 0
		.amdhsa_user_sgpr_private_segment_size 0
		.amdhsa_uses_dynamic_stack 0
		.amdhsa_system_sgpr_private_segment_wavefront_offset 0
		.amdhsa_system_sgpr_workgroup_id_x 1
		.amdhsa_system_sgpr_workgroup_id_y 1
		.amdhsa_system_sgpr_workgroup_id_z 1
		.amdhsa_system_sgpr_workgroup_info 0
		.amdhsa_system_vgpr_workitem_id 1
		.amdhsa_next_free_vgpr 58
		.amdhsa_next_free_sgpr 52
		.amdhsa_accum_offset 60
		.amdhsa_reserve_vcc 1
		.amdhsa_reserve_flat_scratch 0
		.amdhsa_float_round_mode_32 0
		.amdhsa_float_round_mode_16_64 0
		.amdhsa_float_denorm_mode_32 3
		.amdhsa_float_denorm_mode_16_64 3
		.amdhsa_dx10_clamp 1
		.amdhsa_ieee_mode 1
		.amdhsa_fp16_overflow 0
		.amdhsa_tg_split 0
		.amdhsa_exception_fp_ieee_invalid_op 0
		.amdhsa_exception_fp_denorm_src 0
		.amdhsa_exception_fp_ieee_div_zero 0
		.amdhsa_exception_fp_ieee_overflow 0
		.amdhsa_exception_fp_ieee_underflow 0
		.amdhsa_exception_fp_ieee_inexact 0
		.amdhsa_exception_int_div_zero 0
	.end_amdhsa_kernel
	.section	.text._ZN12_GLOBAL__N_135rocblas_gemm_batched_general_kernelIdLi16ELi16ELi32ELi32ELi8ELi32ELi8ELi8ELi32ELc67ELc84EKPKdS3_KPdEEvlllT_PT11_llS8_llS6_PT12_llPT13_lli,"axG",@progbits,_ZN12_GLOBAL__N_135rocblas_gemm_batched_general_kernelIdLi16ELi16ELi32ELi32ELi8ELi32ELi8ELi8ELi32ELc67ELc84EKPKdS3_KPdEEvlllT_PT11_llS8_llS6_PT12_llPT13_lli,comdat
.Lfunc_end229:
	.size	_ZN12_GLOBAL__N_135rocblas_gemm_batched_general_kernelIdLi16ELi16ELi32ELi32ELi8ELi32ELi8ELi8ELi32ELc67ELc84EKPKdS3_KPdEEvlllT_PT11_llS8_llS6_PT12_llPT13_lli, .Lfunc_end229-_ZN12_GLOBAL__N_135rocblas_gemm_batched_general_kernelIdLi16ELi16ELi32ELi32ELi8ELi32ELi8ELi8ELi32ELc67ELc84EKPKdS3_KPdEEvlllT_PT11_llS8_llS6_PT12_llPT13_lli
                                        ; -- End function
	.section	.AMDGPU.csdata,"",@progbits
; Kernel info:
; codeLenInByte = 1940
; NumSgprs: 56
; NumVgprs: 58
; NumAgprs: 0
; TotalNumVgprs: 58
; ScratchSize: 0
; MemoryBound: 0
; FloatMode: 240
; IeeeMode: 1
; LDSByteSize: 4096 bytes/workgroup (compile time only)
; SGPRBlocks: 6
; VGPRBlocks: 7
; NumSGPRsForWavesPerEU: 56
; NumVGPRsForWavesPerEU: 58
; AccumOffset: 60
; Occupancy: 8
; WaveLimiterHint : 1
; COMPUTE_PGM_RSRC2:SCRATCH_EN: 0
; COMPUTE_PGM_RSRC2:USER_SGPR: 6
; COMPUTE_PGM_RSRC2:TRAP_HANDLER: 0
; COMPUTE_PGM_RSRC2:TGID_X_EN: 1
; COMPUTE_PGM_RSRC2:TGID_Y_EN: 1
; COMPUTE_PGM_RSRC2:TGID_Z_EN: 1
; COMPUTE_PGM_RSRC2:TIDIG_COMP_CNT: 1
; COMPUTE_PGM_RSRC3_GFX90A:ACCUM_OFFSET: 14
; COMPUTE_PGM_RSRC3_GFX90A:TG_SPLIT: 0
	.section	.text._ZN12_GLOBAL__N_135rocblas_gemm_batched_general_kernelIdLi16ELi16ELi32ELi32ELi8ELi32ELi8ELi8ELi32ELc78ELc67EKPKdS3_KPdEEvlllT_PT11_llS8_llS6_PT12_llPT13_lli,"axG",@progbits,_ZN12_GLOBAL__N_135rocblas_gemm_batched_general_kernelIdLi16ELi16ELi32ELi32ELi8ELi32ELi8ELi8ELi32ELc78ELc67EKPKdS3_KPdEEvlllT_PT11_llS8_llS6_PT12_llPT13_lli,comdat
	.globl	_ZN12_GLOBAL__N_135rocblas_gemm_batched_general_kernelIdLi16ELi16ELi32ELi32ELi8ELi32ELi8ELi8ELi32ELc78ELc67EKPKdS3_KPdEEvlllT_PT11_llS8_llS6_PT12_llPT13_lli ; -- Begin function _ZN12_GLOBAL__N_135rocblas_gemm_batched_general_kernelIdLi16ELi16ELi32ELi32ELi8ELi32ELi8ELi8ELi32ELc78ELc67EKPKdS3_KPdEEvlllT_PT11_llS8_llS6_PT12_llPT13_lli
	.p2align	8
	.type	_ZN12_GLOBAL__N_135rocblas_gemm_batched_general_kernelIdLi16ELi16ELi32ELi32ELi8ELi32ELi8ELi8ELi32ELc78ELc67EKPKdS3_KPdEEvlllT_PT11_llS8_llS6_PT12_llPT13_lli,@function
_ZN12_GLOBAL__N_135rocblas_gemm_batched_general_kernelIdLi16ELi16ELi32ELi32ELi8ELi32ELi8ELi8ELi32ELc78ELc67EKPKdS3_KPdEEvlllT_PT11_llS8_llS6_PT12_llPT13_lli: ; @_ZN12_GLOBAL__N_135rocblas_gemm_batched_general_kernelIdLi16ELi16ELi32ELi32ELi8ELi32ELi8ELi8ELi32ELc78ELc67EKPKdS3_KPdEEvlllT_PT11_llS8_llS6_PT12_llPT13_lli
; %bb.0:
	s_load_dwordx16 s[12:27], s[4:5], 0x0
	s_load_dwordx16 s[36:51], s[4:5], 0x40
	s_mov_b32 s9, 0
	s_lshl_b64 s[0:1], s[8:9], 3
	s_mov_b32 s52, s7
	v_pk_mov_b32 v[6:7], 0, 0
	s_waitcnt lgkmcnt(0)
	s_add_u32 s2, s42, s0
	s_addc_u32 s3, s43, s1
	s_load_dwordx2 s[8:9], s[2:3], 0x0
	s_add_u32 s2, s48, s0
	s_addc_u32 s3, s49, s1
	s_load_dwordx2 s[28:29], s[2:3], 0x0
	s_ashr_i32 s7, s6, 31
	s_ashr_i32 s53, s52, 31
	v_cmp_lt_i64_e64 s[2:3], s[16:17], 1
	v_and_b32_e32 v20, 0x3ff, v0
	v_bfe_u32 v9, v0, 10, 10
	s_lshl_b64 s[10:11], s[6:7], 5
	s_lshl_b64 s[30:31], s[52:53], 5
	s_mov_b64 s[34:35], 0
	s_and_b64 vcc, exec, s[2:3]
	v_pk_mov_b32 v[4:5], v[6:7], v[6:7] op_sel:[0,1]
	v_pk_mov_b32 v[2:3], v[6:7], v[6:7] op_sel:[0,1]
	;; [unrolled: 1-line block ×3, first 2 shown]
	s_cbranch_vccnz .LBB230_7
; %bb.1:
	v_lshl_add_u32 v4, v9, 4, v20
	v_lshrrev_b32_e32 v5, 3, v4
	s_add_u32 s2, s26, s0
	v_mov_b32_e32 v1, s31
	v_add_co_u32_e32 v0, vcc, s30, v5
	s_addc_u32 s3, s27, s1
	v_and_b32_e32 v10, 7, v20
	v_addc_co_u32_e32 v1, vcc, 0, v1, vcc
	s_load_dwordx2 s[26:27], s[2:3], 0x0
	v_cmp_gt_i64_e64 s[2:3], s[14:15], v[0:1]
	v_lshlrev_b32_e32 v0, 3, v10
	v_lshl_or_b32 v0, v5, 6, v0
	s_add_u32 s0, s20, s0
	v_and_b32_e32 v6, 31, v4
	v_add_u32_e32 v21, 0x800, v0
	v_mov_b32_e32 v0, 0x800
	s_addc_u32 s1, s21, s1
	v_mov_b32_e32 v3, s11
	v_or_b32_e32 v2, s10, v6
	v_lshl_add_u32 v23, v9, 6, v0
	v_mad_u64_u32 v[0:1], s[20:21], s36, v10, 0
	s_load_dwordx2 s[42:43], s[0:1], 0x0
	v_cmp_gt_i64_e64 s[0:1], s[12:13], v[2:3]
	v_mov_b32_e32 v2, v1
	v_mad_u64_u32 v[2:3], s[20:21], s37, v10, v[2:3]
	s_lshl_b64 s[20:21], s[52:53], 8
	s_lshl_b64 s[38:39], s[38:39], 3
	v_mov_b32_e32 v1, v2
	s_add_u32 s20, s38, s20
	v_lshlrev_b64 v[0:1], 3, v[0:1]
	s_addc_u32 s21, s39, s21
	v_mov_b32_e32 v2, s21
	v_add_co_u32_e32 v0, vcc, s20, v0
	v_addc_co_u32_e32 v1, vcc, v2, v1, vcc
	v_and_b32_e32 v2, 0x7ff8, v4
	v_add_co_u32_e32 v0, vcc, v0, v2
	v_addc_co_u32_e32 v1, vcc, 0, v1, vcc
	v_lshrrev_b32_e32 v8, 5, v4
	s_waitcnt lgkmcnt(0)
	v_mov_b32_e32 v2, s27
	v_add_co_u32_e32 v12, vcc, s26, v0
	v_addc_co_u32_e32 v13, vcc, v2, v1, vcc
	v_mad_u64_u32 v[0:1], s[26:27], s22, v8, 0
	v_mov_b32_e32 v2, v1
	s_lshl_b64 s[20:21], s[36:37], 6
	v_mad_u64_u32 v[2:3], s[26:27], s23, v8, v[2:3]
	s_lshl_b64 s[6:7], s[6:7], 8
	s_lshl_b64 s[24:25], s[24:25], 3
	v_mov_b32_e32 v1, v2
	s_add_u32 s6, s24, s6
	v_lshlrev_b64 v[0:1], 3, v[0:1]
	s_addc_u32 s7, s25, s7
	v_mov_b32_e32 v2, s7
	v_add_co_u32_e32 v0, vcc, s6, v0
	v_lshlrev_b32_e32 v6, 3, v6
	v_addc_co_u32_e32 v1, vcc, v2, v1, vcc
	v_add_co_u32_e32 v0, vcc, v0, v6
	v_addc_co_u32_e32 v1, vcc, 0, v1, vcc
	v_mov_b32_e32 v2, s43
	v_add_co_u32_e32 v14, vcc, s42, v0
	v_pk_mov_b32 v[16:17], 0, 0
	v_lshl_or_b32 v11, v8, 8, v6
	v_lshlrev_b32_e32 v22, 3, v20
	v_addc_co_u32_e32 v15, vcc, v2, v1, vcc
	s_lshl_b64 s[6:7], s[22:23], 6
	v_pk_mov_b32 v[0:1], v[16:17], v[16:17] op_sel:[0,1]
	v_pk_mov_b32 v[2:3], v[16:17], v[16:17] op_sel:[0,1]
	;; [unrolled: 1-line block ×4, first 2 shown]
	s_branch .LBB230_3
.LBB230_2:                              ;   in Loop: Header=BB230_3 Depth=1
	s_or_b64 exec, exec, s[22:23]
	s_waitcnt vmcnt(0)
	ds_write_b64 v21, v[18:19]
	s_waitcnt lgkmcnt(0)
	s_barrier
	ds_read2_b64 v[24:27], v22 offset1:16
	ds_read_b128 v[28:31], v23
	ds_read_b128 v[32:35], v23 offset:16
	ds_read_b128 v[36:39], v23 offset:32
	;; [unrolled: 1-line block ×4, first 2 shown]
	ds_read2_b64 v[48:51], v22 offset0:32 offset1:48
	s_waitcnt lgkmcnt(5)
	v_fmac_f64_e32 v[6:7], v[24:25], v[28:29]
	v_fmac_f64_e32 v[4:5], v[26:27], v[28:29]
	ds_read_b128 v[52:55], v23 offset:1040
	s_waitcnt lgkmcnt(2)
	v_fmac_f64_e32 v[2:3], v[24:25], v[44:45]
	v_fmac_f64_e32 v[0:1], v[26:27], v[44:45]
	ds_read2_b64 v[24:27], v22 offset0:64 offset1:80
	s_waitcnt lgkmcnt(2)
	v_fmac_f64_e32 v[6:7], v[48:49], v[30:31]
	v_fmac_f64_e32 v[4:5], v[50:51], v[30:31]
	ds_read2_b64 v[28:31], v22 offset0:96 offset1:112
	v_fmac_f64_e32 v[2:3], v[48:49], v[46:47]
	v_fmac_f64_e32 v[0:1], v[50:51], v[46:47]
	ds_read_b128 v[44:47], v23 offset:1072
	s_waitcnt lgkmcnt(2)
	v_fmac_f64_e32 v[6:7], v[24:25], v[32:33]
	v_fmac_f64_e32 v[4:5], v[26:27], v[32:33]
	v_fmac_f64_e32 v[2:3], v[24:25], v[52:53]
	v_fmac_f64_e32 v[0:1], v[26:27], v[52:53]
	s_waitcnt lgkmcnt(1)
	v_fmac_f64_e32 v[6:7], v[28:29], v[34:35]
	ds_read2_b64 v[24:27], v22 offset0:128 offset1:144
	v_fmac_f64_e32 v[4:5], v[30:31], v[34:35]
	v_fmac_f64_e32 v[2:3], v[28:29], v[54:55]
	;; [unrolled: 1-line block ×3, first 2 shown]
	ds_read_b128 v[28:31], v23 offset:1056
	ds_read2_b64 v[32:35], v22 offset0:160 offset1:176
	s_waitcnt lgkmcnt(2)
	v_fmac_f64_e32 v[6:7], v[24:25], v[36:37]
	v_fmac_f64_e32 v[4:5], v[26:27], v[36:37]
	v_mov_b32_e32 v18, s21
	s_waitcnt lgkmcnt(1)
	v_fmac_f64_e32 v[2:3], v[24:25], v[28:29]
	v_fmac_f64_e32 v[0:1], v[26:27], v[28:29]
	ds_read2_b64 v[24:27], v22 offset0:192 offset1:208
	s_waitcnt lgkmcnt(1)
	v_fmac_f64_e32 v[2:3], v[32:33], v[30:31]
	v_fmac_f64_e32 v[0:1], v[34:35], v[30:31]
	ds_read2_b64 v[28:31], v22 offset0:224 offset1:240
	v_add_co_u32_e32 v12, vcc, s20, v12
	v_addc_co_u32_e32 v13, vcc, v13, v18, vcc
	s_add_u32 s34, s34, 8
	v_mov_b32_e32 v18, s7
	v_add_co_u32_e32 v14, vcc, s6, v14
	v_fmac_f64_e32 v[6:7], v[32:33], v[38:39]
	v_fmac_f64_e32 v[4:5], v[34:35], v[38:39]
	s_addc_u32 s35, s35, 0
	v_addc_co_u32_e32 v15, vcc, v15, v18, vcc
	v_pk_mov_b32 v[18:19], s[16:17], s[16:17] op_sel:[0,1]
	s_waitcnt lgkmcnt(1)
	v_fmac_f64_e32 v[6:7], v[24:25], v[40:41]
	v_fmac_f64_e32 v[4:5], v[26:27], v[40:41]
	v_fmac_f64_e32 v[2:3], v[24:25], v[44:45]
	v_fmac_f64_e32 v[0:1], v[26:27], v[44:45]
	v_cmp_lt_i64_e32 vcc, s[34:35], v[18:19]
	s_waitcnt lgkmcnt(0)
	v_fmac_f64_e32 v[6:7], v[28:29], v[42:43]
	v_fmac_f64_e32 v[4:5], v[30:31], v[42:43]
	;; [unrolled: 1-line block ×4, first 2 shown]
	s_barrier
	s_cbranch_vccz .LBB230_7
.LBB230_3:                              ; =>This Inner Loop Header: Depth=1
	v_mov_b32_e32 v19, s35
	v_add_co_u32_e32 v18, vcc, s34, v8
	v_addc_co_u32_e32 v19, vcc, 0, v19, vcc
	v_cmp_gt_i64_e32 vcc, s[16:17], v[18:19]
	s_and_b64 s[24:25], s[0:1], vcc
	v_pk_mov_b32 v[18:19], v[16:17], v[16:17] op_sel:[0,1]
	s_and_saveexec_b64 s[22:23], s[24:25]
	s_cbranch_execz .LBB230_5
; %bb.4:                                ;   in Loop: Header=BB230_3 Depth=1
	global_load_dwordx2 v[18:19], v[14:15], off
.LBB230_5:                              ;   in Loop: Header=BB230_3 Depth=1
	s_or_b64 exec, exec, s[22:23]
	s_waitcnt vmcnt(0)
	ds_write_b64 v11, v[18:19]
	v_mov_b32_e32 v19, s35
	v_add_co_u32_e32 v18, vcc, s34, v10
	v_addc_co_u32_e32 v19, vcc, 0, v19, vcc
	v_cmp_gt_i64_e32 vcc, s[16:17], v[18:19]
	s_and_b64 s[24:25], vcc, s[2:3]
	v_pk_mov_b32 v[18:19], v[16:17], v[16:17] op_sel:[0,1]
	s_and_saveexec_b64 s[22:23], s[24:25]
	s_cbranch_execz .LBB230_2
; %bb.6:                                ;   in Loop: Header=BB230_3 Depth=1
	global_load_dwordx2 v[18:19], v[12:13], off
	s_branch .LBB230_2
.LBB230_7:
	s_load_dwordx2 s[0:1], s[4:5], 0x80
	v_mov_b32_e32 v10, s31
	v_add_co_u32_e32 v8, vcc, s30, v9
	v_addc_co_u32_e32 v9, vcc, 0, v10, vcc
	s_waitcnt lgkmcnt(0)
	s_lshl_b64 s[0:1], s[0:1], 3
	s_add_u32 s20, s28, s0
	v_cmp_neq_f64_e64 s[2:3], s[40:41], 0
	s_addc_u32 s21, s29, s1
	v_cmp_gt_i64_e64 s[0:1], s[14:15], v[8:9]
	s_and_b64 vcc, exec, s[2:3]
	s_cbranch_vccnz .LBB230_20
; %bb.8:
	s_and_saveexec_b64 s[6:7], s[0:1]
	s_cbranch_execz .LBB230_18
; %bb.9:
	v_mov_b32_e32 v10, s11
	v_add_co_u32_e32 v12, vcc, s10, v20
	v_addc_co_u32_e32 v13, vcc, 0, v10, vcc
	v_mul_lo_u32 v14, v9, s50
	v_mul_lo_u32 v15, v8, s51
	v_mad_u64_u32 v[10:11], s[2:3], v8, s50, 0
	v_add3_u32 v11, v11, v15, v14
	v_lshlrev_b64 v[10:11], 3, v[10:11]
	v_mov_b32_e32 v15, s21
	v_add_co_u32_e64 v14, s[2:3], s20, v10
	v_cmp_gt_i64_e32 vcc, s[12:13], v[12:13]
	v_addc_co_u32_e64 v15, s[2:3], v15, v11, s[2:3]
	v_lshlrev_b64 v[10:11], 3, v[12:13]
	s_and_saveexec_b64 s[4:5], vcc
	s_cbranch_execz .LBB230_11
; %bb.10:
	v_add_co_u32_e64 v16, s[2:3], v14, v10
	v_addc_co_u32_e64 v17, s[2:3], v15, v11, s[2:3]
	v_mul_f64 v[18:19], v[6:7], s[18:19]
	global_store_dwordx2 v[16:17], v[18:19], off
.LBB230_11:
	s_or_b64 exec, exec, s[4:5]
	v_add_co_u32_e64 v12, s[2:3], 16, v12
	v_addc_co_u32_e64 v13, s[2:3], 0, v13, s[2:3]
	v_cmp_gt_i64_e64 s[2:3], s[12:13], v[12:13]
	s_and_saveexec_b64 s[16:17], s[2:3]
	s_cbranch_execz .LBB230_13
; %bb.12:
	v_add_co_u32_e64 v12, s[4:5], v14, v10
	v_addc_co_u32_e64 v13, s[4:5], v15, v11, s[4:5]
	v_mul_f64 v[16:17], v[4:5], s[18:19]
	global_store_dwordx2 v[12:13], v[16:17], off offset:128
.LBB230_13:
	s_or_b64 exec, exec, s[16:17]
	v_add_co_u32_e64 v12, s[4:5], 16, v8
	v_addc_co_u32_e64 v13, s[4:5], 0, v9, s[4:5]
	v_cmp_gt_i64_e64 s[4:5], s[14:15], v[12:13]
	s_and_b64 exec, exec, s[4:5]
	s_cbranch_execz .LBB230_18
; %bb.14:
	s_lshl_b64 s[4:5], s[50:51], 7
	v_mov_b32_e32 v12, s5
	v_add_co_u32_e64 v13, s[4:5], s4, v14
	v_addc_co_u32_e64 v12, s[4:5], v15, v12, s[4:5]
	v_add_co_u32_e64 v10, s[4:5], v13, v10
	v_addc_co_u32_e64 v11, s[4:5], v12, v11, s[4:5]
	s_and_saveexec_b64 s[4:5], vcc
	s_cbranch_execz .LBB230_16
; %bb.15:
	v_mul_f64 v[12:13], v[2:3], s[18:19]
	global_store_dwordx2 v[10:11], v[12:13], off
.LBB230_16:
	s_or_b64 exec, exec, s[4:5]
	s_and_b64 exec, exec, s[2:3]
	s_cbranch_execz .LBB230_18
; %bb.17:
	v_mul_f64 v[12:13], v[0:1], s[18:19]
	global_store_dwordx2 v[10:11], v[12:13], off offset:128
.LBB230_18:
	s_or_b64 exec, exec, s[6:7]
	s_cbranch_execz .LBB230_21
.LBB230_19:
	s_endpgm
.LBB230_20:
.LBB230_21:
	s_and_saveexec_b64 s[2:3], s[0:1]
	s_cbranch_execz .LBB230_19
; %bb.22:
	s_lshl_b64 s[0:1], s[46:47], 3
	s_add_u32 s2, s8, s0
	v_mov_b32_e32 v10, s11
	v_add_co_u32_e32 v12, vcc, s10, v20
	s_addc_u32 s3, s9, s1
	v_addc_co_u32_e32 v13, vcc, 0, v10, vcc
	v_mul_lo_u32 v14, v9, s44
	v_mul_lo_u32 v15, v8, s45
	v_mad_u64_u32 v[10:11], s[0:1], v8, s44, 0
	v_add3_u32 v11, v11, v15, v14
	v_mul_lo_u32 v14, v9, s50
	v_mul_lo_u32 v15, v8, s51
	v_mad_u64_u32 v[16:17], s[0:1], v8, s50, 0
	v_lshlrev_b64 v[10:11], 3, v[10:11]
	v_add3_u32 v17, v17, v15, v14
	v_mov_b32_e32 v15, s3
	v_add_co_u32_e64 v14, s[0:1], s2, v10
	v_addc_co_u32_e64 v15, s[0:1], v15, v11, s[0:1]
	v_lshlrev_b64 v[10:11], 3, v[16:17]
	v_mov_b32_e32 v17, s21
	v_add_co_u32_e64 v16, s[0:1], s20, v10
	v_cmp_gt_i64_e32 vcc, s[12:13], v[12:13]
	v_addc_co_u32_e64 v17, s[0:1], v17, v11, s[0:1]
	v_lshlrev_b64 v[10:11], 3, v[12:13]
	s_and_saveexec_b64 s[2:3], vcc
	s_cbranch_execz .LBB230_24
; %bb.23:
	v_add_co_u32_e64 v18, s[0:1], v14, v10
	v_addc_co_u32_e64 v19, s[0:1], v15, v11, s[0:1]
	global_load_dwordx2 v[18:19], v[18:19], off
	s_waitcnt vmcnt(0)
	v_mul_f64 v[18:19], v[18:19], s[40:41]
	v_fmac_f64_e32 v[18:19], s[18:19], v[6:7]
	v_add_co_u32_e64 v6, s[0:1], v16, v10
	v_addc_co_u32_e64 v7, s[0:1], v17, v11, s[0:1]
	global_store_dwordx2 v[6:7], v[18:19], off
.LBB230_24:
	s_or_b64 exec, exec, s[2:3]
	v_add_co_u32_e64 v6, s[0:1], 16, v12
	v_addc_co_u32_e64 v7, s[0:1], 0, v13, s[0:1]
	v_cmp_gt_i64_e64 s[0:1], s[12:13], v[6:7]
	s_and_saveexec_b64 s[4:5], s[0:1]
	s_cbranch_execz .LBB230_26
; %bb.25:
	v_add_co_u32_e64 v6, s[2:3], v14, v10
	v_addc_co_u32_e64 v7, s[2:3], v15, v11, s[2:3]
	global_load_dwordx2 v[6:7], v[6:7], off offset:128
	s_waitcnt vmcnt(0)
	v_mul_f64 v[6:7], v[6:7], s[40:41]
	v_fmac_f64_e32 v[6:7], s[18:19], v[4:5]
	v_add_co_u32_e64 v4, s[2:3], v16, v10
	v_addc_co_u32_e64 v5, s[2:3], v17, v11, s[2:3]
	global_store_dwordx2 v[4:5], v[6:7], off offset:128
.LBB230_26:
	s_or_b64 exec, exec, s[4:5]
	v_add_co_u32_e64 v4, s[2:3], 16, v8
	v_addc_co_u32_e64 v5, s[2:3], 0, v9, s[2:3]
	v_cmp_gt_i64_e64 s[2:3], s[14:15], v[4:5]
	s_and_b64 exec, exec, s[2:3]
	s_cbranch_execz .LBB230_19
; %bb.27:
	s_lshl_b64 s[2:3], s[44:45], 7
	v_mov_b32_e32 v4, s3
	v_add_co_u32_e64 v5, s[2:3], s2, v14
	v_addc_co_u32_e64 v6, s[2:3], v15, v4, s[2:3]
	s_lshl_b64 s[2:3], s[50:51], 7
	v_mov_b32_e32 v4, s3
	v_add_co_u32_e64 v7, s[2:3], s2, v16
	v_addc_co_u32_e64 v8, s[2:3], v17, v4, s[2:3]
	v_add_co_u32_e64 v4, s[2:3], v5, v10
	v_addc_co_u32_e64 v5, s[2:3], v6, v11, s[2:3]
	;; [unrolled: 2-line block ×3, first 2 shown]
	s_and_saveexec_b64 s[2:3], vcc
	s_cbranch_execz .LBB230_29
; %bb.28:
	global_load_dwordx2 v[8:9], v[4:5], off
	s_waitcnt vmcnt(0)
	v_mul_f64 v[8:9], v[8:9], s[40:41]
	v_fmac_f64_e32 v[8:9], s[18:19], v[2:3]
	global_store_dwordx2 v[6:7], v[8:9], off
.LBB230_29:
	s_or_b64 exec, exec, s[2:3]
	s_and_b64 exec, exec, s[0:1]
	s_cbranch_execz .LBB230_19
; %bb.30:
	global_load_dwordx2 v[2:3], v[4:5], off offset:128
	s_waitcnt vmcnt(0)
	v_mul_f64 v[2:3], v[2:3], s[40:41]
	v_fmac_f64_e32 v[2:3], s[18:19], v[0:1]
	global_store_dwordx2 v[6:7], v[2:3], off offset:128
	s_endpgm
	.section	.rodata,"a",@progbits
	.p2align	6, 0x0
	.amdhsa_kernel _ZN12_GLOBAL__N_135rocblas_gemm_batched_general_kernelIdLi16ELi16ELi32ELi32ELi8ELi32ELi8ELi8ELi32ELc78ELc67EKPKdS3_KPdEEvlllT_PT11_llS8_llS6_PT12_llPT13_lli
		.amdhsa_group_segment_fixed_size 4096
		.amdhsa_private_segment_fixed_size 0
		.amdhsa_kernarg_size 140
		.amdhsa_user_sgpr_count 6
		.amdhsa_user_sgpr_private_segment_buffer 1
		.amdhsa_user_sgpr_dispatch_ptr 0
		.amdhsa_user_sgpr_queue_ptr 0
		.amdhsa_user_sgpr_kernarg_segment_ptr 1
		.amdhsa_user_sgpr_dispatch_id 0
		.amdhsa_user_sgpr_flat_scratch_init 0
		.amdhsa_user_sgpr_kernarg_preload_length 0
		.amdhsa_user_sgpr_kernarg_preload_offset 0
		.amdhsa_user_sgpr_private_segment_size 0
		.amdhsa_uses_dynamic_stack 0
		.amdhsa_system_sgpr_private_segment_wavefront_offset 0
		.amdhsa_system_sgpr_workgroup_id_x 1
		.amdhsa_system_sgpr_workgroup_id_y 1
		.amdhsa_system_sgpr_workgroup_id_z 1
		.amdhsa_system_sgpr_workgroup_info 0
		.amdhsa_system_vgpr_workitem_id 1
		.amdhsa_next_free_vgpr 56
		.amdhsa_next_free_sgpr 54
		.amdhsa_accum_offset 56
		.amdhsa_reserve_vcc 1
		.amdhsa_reserve_flat_scratch 0
		.amdhsa_float_round_mode_32 0
		.amdhsa_float_round_mode_16_64 0
		.amdhsa_float_denorm_mode_32 3
		.amdhsa_float_denorm_mode_16_64 3
		.amdhsa_dx10_clamp 1
		.amdhsa_ieee_mode 1
		.amdhsa_fp16_overflow 0
		.amdhsa_tg_split 0
		.amdhsa_exception_fp_ieee_invalid_op 0
		.amdhsa_exception_fp_denorm_src 0
		.amdhsa_exception_fp_ieee_div_zero 0
		.amdhsa_exception_fp_ieee_overflow 0
		.amdhsa_exception_fp_ieee_underflow 0
		.amdhsa_exception_fp_ieee_inexact 0
		.amdhsa_exception_int_div_zero 0
	.end_amdhsa_kernel
	.section	.text._ZN12_GLOBAL__N_135rocblas_gemm_batched_general_kernelIdLi16ELi16ELi32ELi32ELi8ELi32ELi8ELi8ELi32ELc78ELc67EKPKdS3_KPdEEvlllT_PT11_llS8_llS6_PT12_llPT13_lli,"axG",@progbits,_ZN12_GLOBAL__N_135rocblas_gemm_batched_general_kernelIdLi16ELi16ELi32ELi32ELi8ELi32ELi8ELi8ELi32ELc78ELc67EKPKdS3_KPdEEvlllT_PT11_llS8_llS6_PT12_llPT13_lli,comdat
.Lfunc_end230:
	.size	_ZN12_GLOBAL__N_135rocblas_gemm_batched_general_kernelIdLi16ELi16ELi32ELi32ELi8ELi32ELi8ELi8ELi32ELc78ELc67EKPKdS3_KPdEEvlllT_PT11_llS8_llS6_PT12_llPT13_lli, .Lfunc_end230-_ZN12_GLOBAL__N_135rocblas_gemm_batched_general_kernelIdLi16ELi16ELi32ELi32ELi8ELi32ELi8ELi8ELi32ELc78ELc67EKPKdS3_KPdEEvlllT_PT11_llS8_llS6_PT12_llPT13_lli
                                        ; -- End function
	.section	.AMDGPU.csdata,"",@progbits
; Kernel info:
; codeLenInByte = 1936
; NumSgprs: 58
; NumVgprs: 56
; NumAgprs: 0
; TotalNumVgprs: 56
; ScratchSize: 0
; MemoryBound: 0
; FloatMode: 240
; IeeeMode: 1
; LDSByteSize: 4096 bytes/workgroup (compile time only)
; SGPRBlocks: 7
; VGPRBlocks: 6
; NumSGPRsForWavesPerEU: 58
; NumVGPRsForWavesPerEU: 56
; AccumOffset: 56
; Occupancy: 8
; WaveLimiterHint : 1
; COMPUTE_PGM_RSRC2:SCRATCH_EN: 0
; COMPUTE_PGM_RSRC2:USER_SGPR: 6
; COMPUTE_PGM_RSRC2:TRAP_HANDLER: 0
; COMPUTE_PGM_RSRC2:TGID_X_EN: 1
; COMPUTE_PGM_RSRC2:TGID_Y_EN: 1
; COMPUTE_PGM_RSRC2:TGID_Z_EN: 1
; COMPUTE_PGM_RSRC2:TIDIG_COMP_CNT: 1
; COMPUTE_PGM_RSRC3_GFX90A:ACCUM_OFFSET: 13
; COMPUTE_PGM_RSRC3_GFX90A:TG_SPLIT: 0
	.section	.text._ZN12_GLOBAL__N_135rocblas_gemm_batched_general_kernelIdLi16ELi16ELi32ELi32ELi8ELi32ELi8ELi8ELi32ELc84ELc67EKPKdS3_KPdEEvlllT_PT11_llS8_llS6_PT12_llPT13_lli,"axG",@progbits,_ZN12_GLOBAL__N_135rocblas_gemm_batched_general_kernelIdLi16ELi16ELi32ELi32ELi8ELi32ELi8ELi8ELi32ELc84ELc67EKPKdS3_KPdEEvlllT_PT11_llS8_llS6_PT12_llPT13_lli,comdat
	.globl	_ZN12_GLOBAL__N_135rocblas_gemm_batched_general_kernelIdLi16ELi16ELi32ELi32ELi8ELi32ELi8ELi8ELi32ELc84ELc67EKPKdS3_KPdEEvlllT_PT11_llS8_llS6_PT12_llPT13_lli ; -- Begin function _ZN12_GLOBAL__N_135rocblas_gemm_batched_general_kernelIdLi16ELi16ELi32ELi32ELi8ELi32ELi8ELi8ELi32ELc84ELc67EKPKdS3_KPdEEvlllT_PT11_llS8_llS6_PT12_llPT13_lli
	.p2align	8
	.type	_ZN12_GLOBAL__N_135rocblas_gemm_batched_general_kernelIdLi16ELi16ELi32ELi32ELi8ELi32ELi8ELi8ELi32ELc84ELc67EKPKdS3_KPdEEvlllT_PT11_llS8_llS6_PT12_llPT13_lli,@function
_ZN12_GLOBAL__N_135rocblas_gemm_batched_general_kernelIdLi16ELi16ELi32ELi32ELi8ELi32ELi8ELi8ELi32ELc84ELc67EKPKdS3_KPdEEvlllT_PT11_llS8_llS6_PT12_llPT13_lli: ; @_ZN12_GLOBAL__N_135rocblas_gemm_batched_general_kernelIdLi16ELi16ELi32ELi32ELi8ELi32ELi8ELi8ELi32ELc84ELc67EKPKdS3_KPdEEvlllT_PT11_llS8_llS6_PT12_llPT13_lli
; %bb.0:
	s_load_dwordx16 s[12:27], s[4:5], 0x0
	s_load_dwordx16 s[36:51], s[4:5], 0x40
	s_mov_b32 s9, 0
	s_lshl_b64 s[0:1], s[8:9], 3
	s_mov_b32 s34, s7
	v_pk_mov_b32 v[6:7], 0, 0
	s_waitcnt lgkmcnt(0)
	s_add_u32 s2, s42, s0
	s_addc_u32 s3, s43, s1
	s_load_dwordx2 s[8:9], s[2:3], 0x0
	s_add_u32 s2, s48, s0
	s_addc_u32 s3, s49, s1
	s_load_dwordx2 s[10:11], s[2:3], 0x0
	s_ashr_i32 s7, s6, 31
	s_ashr_i32 s35, s34, 31
	v_cmp_lt_i64_e64 s[2:3], s[16:17], 1
	v_and_b32_e32 v20, 0x3ff, v0
	v_bfe_u32 v9, v0, 10, 10
	s_lshl_b64 s[6:7], s[6:7], 5
	s_lshl_b64 s[28:29], s[34:35], 5
	s_mov_b64 s[30:31], 0
	s_and_b64 vcc, exec, s[2:3]
	v_pk_mov_b32 v[4:5], v[6:7], v[6:7] op_sel:[0,1]
	v_pk_mov_b32 v[2:3], v[6:7], v[6:7] op_sel:[0,1]
	;; [unrolled: 1-line block ×3, first 2 shown]
	s_cbranch_vccnz .LBB231_7
; %bb.1:
	v_lshl_add_u32 v4, v9, 4, v20
	v_lshrrev_b32_e32 v5, 3, v4
	s_add_u32 s2, s26, s0
	v_mov_b32_e32 v1, s29
	v_add_co_u32_e32 v0, vcc, s28, v5
	s_addc_u32 s3, s27, s1
	v_and_b32_e32 v10, 7, v20
	v_addc_co_u32_e32 v1, vcc, 0, v1, vcc
	s_load_dwordx2 s[26:27], s[2:3], 0x0
	v_cmp_gt_i64_e64 s[2:3], s[14:15], v[0:1]
	v_lshlrev_b32_e32 v0, 3, v10
	s_add_u32 s0, s20, s0
	v_and_b32_e32 v6, 31, v4
	v_lshl_or_b32 v0, v5, 6, v0
	s_addc_u32 s1, s21, s1
	v_mov_b32_e32 v3, s7
	v_or_b32_e32 v2, s6, v6
	v_add_u32_e32 v21, 0x800, v0
	v_mov_b32_e32 v0, 0x800
	v_lshrrev_b32_e32 v8, 5, v4
	s_load_dwordx2 s[42:43], s[0:1], 0x0
	v_cmp_gt_i64_e64 s[0:1], s[12:13], v[2:3]
	v_lshlrev_b32_e32 v2, 3, v6
	v_lshl_add_u32 v23, v9, 6, v0
	v_mad_u64_u32 v[0:1], s[20:21], s36, v10, 0
	v_lshl_or_b32 v11, v8, 8, v2
	v_mov_b32_e32 v2, v1
	v_mad_u64_u32 v[2:3], s[20:21], s37, v10, v[2:3]
	s_lshl_b64 s[20:21], s[34:35], 8
	s_lshl_b64 s[34:35], s[38:39], 3
	v_mov_b32_e32 v1, v2
	s_add_u32 s20, s34, s20
	v_lshlrev_b64 v[0:1], 3, v[0:1]
	s_addc_u32 s21, s35, s21
	v_mov_b32_e32 v2, s21
	v_add_co_u32_e32 v0, vcc, s20, v0
	v_addc_co_u32_e32 v1, vcc, v2, v1, vcc
	v_and_b32_e32 v2, 0x7ff8, v4
	v_add_co_u32_e32 v0, vcc, v0, v2
	v_addc_co_u32_e32 v1, vcc, 0, v1, vcc
	s_waitcnt lgkmcnt(0)
	v_mov_b32_e32 v2, s27
	v_add_co_u32_e32 v12, vcc, s26, v0
	v_addc_co_u32_e32 v13, vcc, v2, v1, vcc
	v_mov_b32_e32 v0, s7
	v_add_co_u32_e32 v1, vcc, s6, v6
	v_addc_co_u32_e32 v0, vcc, 0, v0, vcc
	v_mul_lo_u32 v2, s23, v1
	v_mul_lo_u32 v3, s22, v0
	v_mad_u64_u32 v[0:1], s[22:23], s22, v1, 0
	v_add3_u32 v1, v1, v3, v2
	v_lshlrev_b64 v[0:1], 3, v[0:1]
	s_lshl_b64 s[22:23], s[24:25], 3
	v_mov_b32_e32 v2, s23
	v_add_co_u32_e32 v0, vcc, s22, v0
	v_addc_co_u32_e32 v1, vcc, v1, v2, vcc
	v_lshlrev_b32_e32 v2, 3, v8
	v_add_co_u32_e32 v0, vcc, v0, v2
	v_addc_co_u32_e32 v1, vcc, 0, v1, vcc
	s_lshl_b64 s[20:21], s[36:37], 6
	v_mov_b32_e32 v2, s43
	v_add_co_u32_e32 v14, vcc, s42, v0
	v_pk_mov_b32 v[16:17], 0, 0
	v_lshlrev_b32_e32 v22, 3, v20
	v_addc_co_u32_e32 v15, vcc, v2, v1, vcc
	v_mov_b32_e32 v24, s21
	v_pk_mov_b32 v[0:1], v[16:17], v[16:17] op_sel:[0,1]
	v_pk_mov_b32 v[2:3], v[16:17], v[16:17] op_sel:[0,1]
	;; [unrolled: 1-line block ×4, first 2 shown]
	s_branch .LBB231_3
.LBB231_2:                              ;   in Loop: Header=BB231_3 Depth=1
	s_or_b64 exec, exec, s[22:23]
	s_waitcnt vmcnt(0)
	ds_write_b64 v21, v[18:19]
	s_waitcnt lgkmcnt(0)
	s_barrier
	ds_read2_b64 v[26:29], v22 offset1:16
	ds_read_b128 v[30:33], v23
	ds_read_b128 v[34:37], v23 offset:16
	ds_read_b128 v[38:41], v23 offset:32
	;; [unrolled: 1-line block ×4, first 2 shown]
	ds_read2_b64 v[50:53], v22 offset0:32 offset1:48
	s_waitcnt lgkmcnt(5)
	v_fmac_f64_e32 v[6:7], v[26:27], v[30:31]
	v_fmac_f64_e32 v[4:5], v[28:29], v[30:31]
	ds_read_b128 v[54:57], v23 offset:1040
	s_waitcnt lgkmcnt(2)
	v_fmac_f64_e32 v[2:3], v[26:27], v[46:47]
	v_fmac_f64_e32 v[0:1], v[28:29], v[46:47]
	ds_read2_b64 v[26:29], v22 offset0:64 offset1:80
	s_waitcnt lgkmcnt(2)
	v_fmac_f64_e32 v[6:7], v[50:51], v[32:33]
	v_fmac_f64_e32 v[4:5], v[52:53], v[32:33]
	ds_read2_b64 v[30:33], v22 offset0:96 offset1:112
	v_fmac_f64_e32 v[2:3], v[50:51], v[48:49]
	v_fmac_f64_e32 v[0:1], v[52:53], v[48:49]
	ds_read_b128 v[46:49], v23 offset:1072
	s_waitcnt lgkmcnt(2)
	v_fmac_f64_e32 v[6:7], v[26:27], v[34:35]
	v_fmac_f64_e32 v[4:5], v[28:29], v[34:35]
	;; [unrolled: 1-line block ×4, first 2 shown]
	s_waitcnt lgkmcnt(1)
	v_fmac_f64_e32 v[6:7], v[30:31], v[36:37]
	ds_read2_b64 v[26:29], v22 offset0:128 offset1:144
	v_fmac_f64_e32 v[4:5], v[32:33], v[36:37]
	v_fmac_f64_e32 v[2:3], v[30:31], v[56:57]
	;; [unrolled: 1-line block ×3, first 2 shown]
	ds_read_b128 v[30:33], v23 offset:1056
	ds_read2_b64 v[34:37], v22 offset0:160 offset1:176
	s_waitcnt lgkmcnt(2)
	v_fmac_f64_e32 v[6:7], v[26:27], v[38:39]
	v_fmac_f64_e32 v[4:5], v[28:29], v[38:39]
	v_add_co_u32_e32 v12, vcc, s20, v12
	s_waitcnt lgkmcnt(1)
	v_fmac_f64_e32 v[2:3], v[26:27], v[30:31]
	v_fmac_f64_e32 v[0:1], v[28:29], v[30:31]
	ds_read2_b64 v[26:29], v22 offset0:192 offset1:208
	s_waitcnt lgkmcnt(1)
	v_fmac_f64_e32 v[2:3], v[34:35], v[32:33]
	v_fmac_f64_e32 v[0:1], v[36:37], v[32:33]
	ds_read2_b64 v[30:33], v22 offset0:224 offset1:240
	v_addc_co_u32_e32 v13, vcc, v13, v24, vcc
	s_add_u32 s30, s30, 8
	v_add_co_u32_e32 v14, vcc, 64, v14
	v_fmac_f64_e32 v[6:7], v[34:35], v[40:41]
	v_fmac_f64_e32 v[4:5], v[36:37], v[40:41]
	s_addc_u32 s31, s31, 0
	v_addc_co_u32_e32 v15, vcc, 0, v15, vcc
	v_pk_mov_b32 v[18:19], s[16:17], s[16:17] op_sel:[0,1]
	s_waitcnt lgkmcnt(1)
	v_fmac_f64_e32 v[6:7], v[26:27], v[42:43]
	v_fmac_f64_e32 v[4:5], v[28:29], v[42:43]
	;; [unrolled: 1-line block ×4, first 2 shown]
	v_cmp_lt_i64_e32 vcc, s[30:31], v[18:19]
	s_waitcnt lgkmcnt(0)
	v_fmac_f64_e32 v[6:7], v[30:31], v[44:45]
	v_fmac_f64_e32 v[4:5], v[32:33], v[44:45]
	;; [unrolled: 1-line block ×4, first 2 shown]
	s_barrier
	s_cbranch_vccz .LBB231_7
.LBB231_3:                              ; =>This Inner Loop Header: Depth=1
	v_mov_b32_e32 v19, s31
	v_add_co_u32_e32 v18, vcc, s30, v8
	v_addc_co_u32_e32 v19, vcc, 0, v19, vcc
	v_cmp_gt_i64_e32 vcc, s[16:17], v[18:19]
	s_and_b64 s[24:25], s[0:1], vcc
	v_pk_mov_b32 v[18:19], v[16:17], v[16:17] op_sel:[0,1]
	s_and_saveexec_b64 s[22:23], s[24:25]
	s_cbranch_execz .LBB231_5
; %bb.4:                                ;   in Loop: Header=BB231_3 Depth=1
	global_load_dwordx2 v[18:19], v[14:15], off
.LBB231_5:                              ;   in Loop: Header=BB231_3 Depth=1
	s_or_b64 exec, exec, s[22:23]
	s_waitcnt vmcnt(0)
	ds_write_b64 v11, v[18:19]
	v_mov_b32_e32 v19, s31
	v_add_co_u32_e32 v18, vcc, s30, v10
	v_addc_co_u32_e32 v19, vcc, 0, v19, vcc
	v_cmp_gt_i64_e32 vcc, s[16:17], v[18:19]
	s_and_b64 s[24:25], vcc, s[2:3]
	v_pk_mov_b32 v[18:19], v[16:17], v[16:17] op_sel:[0,1]
	s_and_saveexec_b64 s[22:23], s[24:25]
	s_cbranch_execz .LBB231_2
; %bb.6:                                ;   in Loop: Header=BB231_3 Depth=1
	global_load_dwordx2 v[18:19], v[12:13], off
	s_branch .LBB231_2
.LBB231_7:
	s_load_dwordx2 s[0:1], s[4:5], 0x80
	v_mov_b32_e32 v10, s29
	v_add_co_u32_e32 v8, vcc, s28, v9
	v_addc_co_u32_e32 v9, vcc, 0, v10, vcc
	s_waitcnt lgkmcnt(0)
	s_lshl_b64 s[0:1], s[0:1], 3
	s_add_u32 s20, s10, s0
	v_cmp_neq_f64_e64 s[2:3], s[40:41], 0
	s_addc_u32 s21, s11, s1
	v_cmp_gt_i64_e64 s[0:1], s[14:15], v[8:9]
	s_and_b64 vcc, exec, s[2:3]
	s_cbranch_vccnz .LBB231_20
; %bb.8:
	s_and_saveexec_b64 s[10:11], s[0:1]
	s_cbranch_execz .LBB231_18
; %bb.9:
	v_mov_b32_e32 v10, s7
	v_add_co_u32_e32 v12, vcc, s6, v20
	v_addc_co_u32_e32 v13, vcc, 0, v10, vcc
	v_mul_lo_u32 v14, v9, s50
	v_mul_lo_u32 v15, v8, s51
	v_mad_u64_u32 v[10:11], s[2:3], v8, s50, 0
	v_add3_u32 v11, v11, v15, v14
	v_lshlrev_b64 v[10:11], 3, v[10:11]
	v_mov_b32_e32 v15, s21
	v_add_co_u32_e64 v14, s[2:3], s20, v10
	v_cmp_gt_i64_e32 vcc, s[12:13], v[12:13]
	v_addc_co_u32_e64 v15, s[2:3], v15, v11, s[2:3]
	v_lshlrev_b64 v[10:11], 3, v[12:13]
	s_and_saveexec_b64 s[4:5], vcc
	s_cbranch_execz .LBB231_11
; %bb.10:
	v_add_co_u32_e64 v16, s[2:3], v14, v10
	v_addc_co_u32_e64 v17, s[2:3], v15, v11, s[2:3]
	v_mul_f64 v[18:19], v[6:7], s[18:19]
	global_store_dwordx2 v[16:17], v[18:19], off
.LBB231_11:
	s_or_b64 exec, exec, s[4:5]
	v_add_co_u32_e64 v12, s[2:3], 16, v12
	v_addc_co_u32_e64 v13, s[2:3], 0, v13, s[2:3]
	v_cmp_gt_i64_e64 s[2:3], s[12:13], v[12:13]
	s_and_saveexec_b64 s[16:17], s[2:3]
	s_cbranch_execz .LBB231_13
; %bb.12:
	v_add_co_u32_e64 v12, s[4:5], v14, v10
	v_addc_co_u32_e64 v13, s[4:5], v15, v11, s[4:5]
	v_mul_f64 v[16:17], v[4:5], s[18:19]
	global_store_dwordx2 v[12:13], v[16:17], off offset:128
.LBB231_13:
	s_or_b64 exec, exec, s[16:17]
	v_add_co_u32_e64 v12, s[4:5], 16, v8
	v_addc_co_u32_e64 v13, s[4:5], 0, v9, s[4:5]
	v_cmp_gt_i64_e64 s[4:5], s[14:15], v[12:13]
	s_and_b64 exec, exec, s[4:5]
	s_cbranch_execz .LBB231_18
; %bb.14:
	s_lshl_b64 s[4:5], s[50:51], 7
	v_mov_b32_e32 v12, s5
	v_add_co_u32_e64 v13, s[4:5], s4, v14
	v_addc_co_u32_e64 v12, s[4:5], v15, v12, s[4:5]
	v_add_co_u32_e64 v10, s[4:5], v13, v10
	v_addc_co_u32_e64 v11, s[4:5], v12, v11, s[4:5]
	s_and_saveexec_b64 s[4:5], vcc
	s_cbranch_execz .LBB231_16
; %bb.15:
	v_mul_f64 v[12:13], v[2:3], s[18:19]
	global_store_dwordx2 v[10:11], v[12:13], off
.LBB231_16:
	s_or_b64 exec, exec, s[4:5]
	s_and_b64 exec, exec, s[2:3]
	s_cbranch_execz .LBB231_18
; %bb.17:
	v_mul_f64 v[12:13], v[0:1], s[18:19]
	global_store_dwordx2 v[10:11], v[12:13], off offset:128
.LBB231_18:
	s_or_b64 exec, exec, s[10:11]
	s_cbranch_execz .LBB231_21
.LBB231_19:
	s_endpgm
.LBB231_20:
.LBB231_21:
	s_and_saveexec_b64 s[2:3], s[0:1]
	s_cbranch_execz .LBB231_19
; %bb.22:
	s_lshl_b64 s[0:1], s[46:47], 3
	s_add_u32 s2, s8, s0
	v_mov_b32_e32 v10, s7
	v_add_co_u32_e32 v12, vcc, s6, v20
	s_addc_u32 s3, s9, s1
	v_addc_co_u32_e32 v13, vcc, 0, v10, vcc
	v_mul_lo_u32 v14, v9, s44
	v_mul_lo_u32 v15, v8, s45
	v_mad_u64_u32 v[10:11], s[0:1], v8, s44, 0
	v_add3_u32 v11, v11, v15, v14
	v_mul_lo_u32 v14, v9, s50
	v_mul_lo_u32 v15, v8, s51
	v_mad_u64_u32 v[16:17], s[0:1], v8, s50, 0
	v_lshlrev_b64 v[10:11], 3, v[10:11]
	v_add3_u32 v17, v17, v15, v14
	v_mov_b32_e32 v15, s3
	v_add_co_u32_e64 v14, s[0:1], s2, v10
	v_addc_co_u32_e64 v15, s[0:1], v15, v11, s[0:1]
	v_lshlrev_b64 v[10:11], 3, v[16:17]
	v_mov_b32_e32 v17, s21
	v_add_co_u32_e64 v16, s[0:1], s20, v10
	v_cmp_gt_i64_e32 vcc, s[12:13], v[12:13]
	v_addc_co_u32_e64 v17, s[0:1], v17, v11, s[0:1]
	v_lshlrev_b64 v[10:11], 3, v[12:13]
	s_and_saveexec_b64 s[2:3], vcc
	s_cbranch_execz .LBB231_24
; %bb.23:
	v_add_co_u32_e64 v18, s[0:1], v14, v10
	v_addc_co_u32_e64 v19, s[0:1], v15, v11, s[0:1]
	global_load_dwordx2 v[18:19], v[18:19], off
	s_waitcnt vmcnt(0)
	v_mul_f64 v[18:19], v[18:19], s[40:41]
	v_fmac_f64_e32 v[18:19], s[18:19], v[6:7]
	v_add_co_u32_e64 v6, s[0:1], v16, v10
	v_addc_co_u32_e64 v7, s[0:1], v17, v11, s[0:1]
	global_store_dwordx2 v[6:7], v[18:19], off
.LBB231_24:
	s_or_b64 exec, exec, s[2:3]
	v_add_co_u32_e64 v6, s[0:1], 16, v12
	v_addc_co_u32_e64 v7, s[0:1], 0, v13, s[0:1]
	v_cmp_gt_i64_e64 s[0:1], s[12:13], v[6:7]
	s_and_saveexec_b64 s[4:5], s[0:1]
	s_cbranch_execz .LBB231_26
; %bb.25:
	v_add_co_u32_e64 v6, s[2:3], v14, v10
	v_addc_co_u32_e64 v7, s[2:3], v15, v11, s[2:3]
	global_load_dwordx2 v[6:7], v[6:7], off offset:128
	s_waitcnt vmcnt(0)
	v_mul_f64 v[6:7], v[6:7], s[40:41]
	v_fmac_f64_e32 v[6:7], s[18:19], v[4:5]
	v_add_co_u32_e64 v4, s[2:3], v16, v10
	v_addc_co_u32_e64 v5, s[2:3], v17, v11, s[2:3]
	global_store_dwordx2 v[4:5], v[6:7], off offset:128
.LBB231_26:
	s_or_b64 exec, exec, s[4:5]
	v_add_co_u32_e64 v4, s[2:3], 16, v8
	v_addc_co_u32_e64 v5, s[2:3], 0, v9, s[2:3]
	v_cmp_gt_i64_e64 s[2:3], s[14:15], v[4:5]
	s_and_b64 exec, exec, s[2:3]
	s_cbranch_execz .LBB231_19
; %bb.27:
	s_lshl_b64 s[2:3], s[44:45], 7
	v_mov_b32_e32 v4, s3
	v_add_co_u32_e64 v5, s[2:3], s2, v14
	v_addc_co_u32_e64 v6, s[2:3], v15, v4, s[2:3]
	s_lshl_b64 s[2:3], s[50:51], 7
	v_mov_b32_e32 v4, s3
	v_add_co_u32_e64 v7, s[2:3], s2, v16
	v_addc_co_u32_e64 v8, s[2:3], v17, v4, s[2:3]
	v_add_co_u32_e64 v4, s[2:3], v5, v10
	v_addc_co_u32_e64 v5, s[2:3], v6, v11, s[2:3]
	;; [unrolled: 2-line block ×3, first 2 shown]
	s_and_saveexec_b64 s[2:3], vcc
	s_cbranch_execz .LBB231_29
; %bb.28:
	global_load_dwordx2 v[8:9], v[4:5], off
	s_waitcnt vmcnt(0)
	v_mul_f64 v[8:9], v[8:9], s[40:41]
	v_fmac_f64_e32 v[8:9], s[18:19], v[2:3]
	global_store_dwordx2 v[6:7], v[8:9], off
.LBB231_29:
	s_or_b64 exec, exec, s[2:3]
	s_and_b64 exec, exec, s[0:1]
	s_cbranch_execz .LBB231_19
; %bb.30:
	global_load_dwordx2 v[2:3], v[4:5], off offset:128
	s_waitcnt vmcnt(0)
	v_mul_f64 v[2:3], v[2:3], s[40:41]
	v_fmac_f64_e32 v[2:3], s[18:19], v[0:1]
	global_store_dwordx2 v[6:7], v[2:3], off offset:128
	s_endpgm
	.section	.rodata,"a",@progbits
	.p2align	6, 0x0
	.amdhsa_kernel _ZN12_GLOBAL__N_135rocblas_gemm_batched_general_kernelIdLi16ELi16ELi32ELi32ELi8ELi32ELi8ELi8ELi32ELc84ELc67EKPKdS3_KPdEEvlllT_PT11_llS8_llS6_PT12_llPT13_lli
		.amdhsa_group_segment_fixed_size 4096
		.amdhsa_private_segment_fixed_size 0
		.amdhsa_kernarg_size 140
		.amdhsa_user_sgpr_count 6
		.amdhsa_user_sgpr_private_segment_buffer 1
		.amdhsa_user_sgpr_dispatch_ptr 0
		.amdhsa_user_sgpr_queue_ptr 0
		.amdhsa_user_sgpr_kernarg_segment_ptr 1
		.amdhsa_user_sgpr_dispatch_id 0
		.amdhsa_user_sgpr_flat_scratch_init 0
		.amdhsa_user_sgpr_kernarg_preload_length 0
		.amdhsa_user_sgpr_kernarg_preload_offset 0
		.amdhsa_user_sgpr_private_segment_size 0
		.amdhsa_uses_dynamic_stack 0
		.amdhsa_system_sgpr_private_segment_wavefront_offset 0
		.amdhsa_system_sgpr_workgroup_id_x 1
		.amdhsa_system_sgpr_workgroup_id_y 1
		.amdhsa_system_sgpr_workgroup_id_z 1
		.amdhsa_system_sgpr_workgroup_info 0
		.amdhsa_system_vgpr_workitem_id 1
		.amdhsa_next_free_vgpr 58
		.amdhsa_next_free_sgpr 52
		.amdhsa_accum_offset 60
		.amdhsa_reserve_vcc 1
		.amdhsa_reserve_flat_scratch 0
		.amdhsa_float_round_mode_32 0
		.amdhsa_float_round_mode_16_64 0
		.amdhsa_float_denorm_mode_32 3
		.amdhsa_float_denorm_mode_16_64 3
		.amdhsa_dx10_clamp 1
		.amdhsa_ieee_mode 1
		.amdhsa_fp16_overflow 0
		.amdhsa_tg_split 0
		.amdhsa_exception_fp_ieee_invalid_op 0
		.amdhsa_exception_fp_denorm_src 0
		.amdhsa_exception_fp_ieee_div_zero 0
		.amdhsa_exception_fp_ieee_overflow 0
		.amdhsa_exception_fp_ieee_underflow 0
		.amdhsa_exception_fp_ieee_inexact 0
		.amdhsa_exception_int_div_zero 0
	.end_amdhsa_kernel
	.section	.text._ZN12_GLOBAL__N_135rocblas_gemm_batched_general_kernelIdLi16ELi16ELi32ELi32ELi8ELi32ELi8ELi8ELi32ELc84ELc67EKPKdS3_KPdEEvlllT_PT11_llS8_llS6_PT12_llPT13_lli,"axG",@progbits,_ZN12_GLOBAL__N_135rocblas_gemm_batched_general_kernelIdLi16ELi16ELi32ELi32ELi8ELi32ELi8ELi8ELi32ELc84ELc67EKPKdS3_KPdEEvlllT_PT11_llS8_llS6_PT12_llPT13_lli,comdat
.Lfunc_end231:
	.size	_ZN12_GLOBAL__N_135rocblas_gemm_batched_general_kernelIdLi16ELi16ELi32ELi32ELi8ELi32ELi8ELi8ELi32ELc84ELc67EKPKdS3_KPdEEvlllT_PT11_llS8_llS6_PT12_llPT13_lli, .Lfunc_end231-_ZN12_GLOBAL__N_135rocblas_gemm_batched_general_kernelIdLi16ELi16ELi32ELi32ELi8ELi32ELi8ELi8ELi32ELc84ELc67EKPKdS3_KPdEEvlllT_PT11_llS8_llS6_PT12_llPT13_lli
                                        ; -- End function
	.section	.AMDGPU.csdata,"",@progbits
; Kernel info:
; codeLenInByte = 1940
; NumSgprs: 56
; NumVgprs: 58
; NumAgprs: 0
; TotalNumVgprs: 58
; ScratchSize: 0
; MemoryBound: 0
; FloatMode: 240
; IeeeMode: 1
; LDSByteSize: 4096 bytes/workgroup (compile time only)
; SGPRBlocks: 6
; VGPRBlocks: 7
; NumSGPRsForWavesPerEU: 56
; NumVGPRsForWavesPerEU: 58
; AccumOffset: 60
; Occupancy: 8
; WaveLimiterHint : 1
; COMPUTE_PGM_RSRC2:SCRATCH_EN: 0
; COMPUTE_PGM_RSRC2:USER_SGPR: 6
; COMPUTE_PGM_RSRC2:TRAP_HANDLER: 0
; COMPUTE_PGM_RSRC2:TGID_X_EN: 1
; COMPUTE_PGM_RSRC2:TGID_Y_EN: 1
; COMPUTE_PGM_RSRC2:TGID_Z_EN: 1
; COMPUTE_PGM_RSRC2:TIDIG_COMP_CNT: 1
; COMPUTE_PGM_RSRC3_GFX90A:ACCUM_OFFSET: 14
; COMPUTE_PGM_RSRC3_GFX90A:TG_SPLIT: 0
	.section	.text._ZN12_GLOBAL__N_125rocblas_gemm_scale_kernelILi32ELi32E19rocblas_complex_numIfEPKPS2_EEviiT1_T2_llli,"axG",@progbits,_ZN12_GLOBAL__N_125rocblas_gemm_scale_kernelILi32ELi32E19rocblas_complex_numIfEPKPS2_EEviiT1_T2_llli,comdat
	.globl	_ZN12_GLOBAL__N_125rocblas_gemm_scale_kernelILi32ELi32E19rocblas_complex_numIfEPKPS2_EEviiT1_T2_llli ; -- Begin function _ZN12_GLOBAL__N_125rocblas_gemm_scale_kernelILi32ELi32E19rocblas_complex_numIfEPKPS2_EEviiT1_T2_llli
	.p2align	8
	.type	_ZN12_GLOBAL__N_125rocblas_gemm_scale_kernelILi32ELi32E19rocblas_complex_numIfEPKPS2_EEviiT1_T2_llli,@function
_ZN12_GLOBAL__N_125rocblas_gemm_scale_kernelILi32ELi32E19rocblas_complex_numIfEPKPS2_EEviiT1_T2_llli: ; @_ZN12_GLOBAL__N_125rocblas_gemm_scale_kernelILi32ELi32E19rocblas_complex_numIfEPKPS2_EEviiT1_T2_llli
; %bb.0:
	s_load_dwordx4 s[0:3], s[4:5], 0x0
	v_and_b32_e32 v1, 0x3ff, v0
	v_bfe_u32 v0, v0, 10, 10
	v_lshl_add_u32 v2, s6, 5, v1
	v_lshl_add_u32 v0, s7, 5, v0
	s_waitcnt lgkmcnt(0)
	v_cmp_gt_u32_e32 vcc, s0, v2
	v_cmp_gt_u32_e64 s[0:1], s1, v0
	s_and_b64 s[0:1], vcc, s[0:1]
	s_and_saveexec_b64 s[6:7], s[0:1]
	s_cbranch_execz .LBB232_4
; %bb.1:
	s_load_dwordx4 s[12:15], s[4:5], 0x10
	s_load_dwordx2 s[6:7], s[4:5], 0x20
	s_mov_b32 s9, 0
	s_lshl_b64 s[0:1], s[8:9], 3
	v_mov_b32_e32 v3, 0
	s_waitcnt lgkmcnt(0)
	s_add_u32 s0, s12, s0
	s_addc_u32 s1, s13, s1
	s_load_dwordx2 s[0:1], s[0:1], 0x0
	v_mad_u64_u32 v[4:5], s[4:5], v0, s6, 0
	s_lshl_b64 s[4:5], s[14:15], 3
	v_mov_b32_e32 v6, v5
	s_waitcnt lgkmcnt(0)
	s_add_u32 s0, s0, s4
	s_addc_u32 s1, s1, s5
	s_or_b32 s4, s2, s3
	s_and_b32 s6, s4, 0x7fffffff
	v_mad_u64_u32 v[0:1], s[4:5], v0, s7, v[6:7]
	v_mov_b32_e32 v5, v0
	s_cmp_eq_u32 s6, 0
	v_lshlrev_b64 v[4:5], 3, v[4:5]
	v_lshlrev_b64 v[0:1], 3, v[2:3]
	v_mov_b32_e32 v7, v3
	s_cbranch_scc1 .LBB232_3
; %bb.2:
	v_mov_b32_e32 v2, s1
	v_add_co_u32_e32 v3, vcc, s0, v4
	v_addc_co_u32_e32 v6, vcc, v2, v5, vcc
	v_add_co_u32_e32 v2, vcc, v3, v0
	v_addc_co_u32_e32 v3, vcc, v6, v1, vcc
	global_load_dwordx2 v[2:3], v[2:3], off
	s_mov_b32 s4, s3
	s_waitcnt vmcnt(0)
	v_pk_mul_f32 v[6:7], v[2:3], s[4:5] op_sel_hi:[1,0]
	v_pk_fma_f32 v[8:9], v[2:3], s[2:3], v[6:7] op_sel:[0,0,1] op_sel_hi:[1,1,0] neg_lo:[0,0,1] neg_hi:[0,0,1]
	v_pk_fma_f32 v[6:7], v[2:3], s[2:3], v[6:7] op_sel:[0,0,1] op_sel_hi:[1,0,0]
	v_mov_b32_e32 v3, v8
.LBB232_3:
	v_mov_b32_e32 v6, v3
	v_mov_b32_e32 v2, s1
	v_add_co_u32_e32 v3, vcc, s0, v4
	v_addc_co_u32_e32 v2, vcc, v2, v5, vcc
	v_add_co_u32_e32 v0, vcc, v3, v0
	v_addc_co_u32_e32 v1, vcc, v2, v1, vcc
	global_store_dwordx2 v[0:1], v[6:7], off
.LBB232_4:
	s_endpgm
	.section	.rodata,"a",@progbits
	.p2align	6, 0x0
	.amdhsa_kernel _ZN12_GLOBAL__N_125rocblas_gemm_scale_kernelILi32ELi32E19rocblas_complex_numIfEPKPS2_EEviiT1_T2_llli
		.amdhsa_group_segment_fixed_size 0
		.amdhsa_private_segment_fixed_size 0
		.amdhsa_kernarg_size 52
		.amdhsa_user_sgpr_count 6
		.amdhsa_user_sgpr_private_segment_buffer 1
		.amdhsa_user_sgpr_dispatch_ptr 0
		.amdhsa_user_sgpr_queue_ptr 0
		.amdhsa_user_sgpr_kernarg_segment_ptr 1
		.amdhsa_user_sgpr_dispatch_id 0
		.amdhsa_user_sgpr_flat_scratch_init 0
		.amdhsa_user_sgpr_kernarg_preload_length 0
		.amdhsa_user_sgpr_kernarg_preload_offset 0
		.amdhsa_user_sgpr_private_segment_size 0
		.amdhsa_uses_dynamic_stack 0
		.amdhsa_system_sgpr_private_segment_wavefront_offset 0
		.amdhsa_system_sgpr_workgroup_id_x 1
		.amdhsa_system_sgpr_workgroup_id_y 1
		.amdhsa_system_sgpr_workgroup_id_z 1
		.amdhsa_system_sgpr_workgroup_info 0
		.amdhsa_system_vgpr_workitem_id 1
		.amdhsa_next_free_vgpr 10
		.amdhsa_next_free_sgpr 16
		.amdhsa_accum_offset 12
		.amdhsa_reserve_vcc 1
		.amdhsa_reserve_flat_scratch 0
		.amdhsa_float_round_mode_32 0
		.amdhsa_float_round_mode_16_64 0
		.amdhsa_float_denorm_mode_32 3
		.amdhsa_float_denorm_mode_16_64 3
		.amdhsa_dx10_clamp 1
		.amdhsa_ieee_mode 1
		.amdhsa_fp16_overflow 0
		.amdhsa_tg_split 0
		.amdhsa_exception_fp_ieee_invalid_op 0
		.amdhsa_exception_fp_denorm_src 0
		.amdhsa_exception_fp_ieee_div_zero 0
		.amdhsa_exception_fp_ieee_overflow 0
		.amdhsa_exception_fp_ieee_underflow 0
		.amdhsa_exception_fp_ieee_inexact 0
		.amdhsa_exception_int_div_zero 0
	.end_amdhsa_kernel
	.section	.text._ZN12_GLOBAL__N_125rocblas_gemm_scale_kernelILi32ELi32E19rocblas_complex_numIfEPKPS2_EEviiT1_T2_llli,"axG",@progbits,_ZN12_GLOBAL__N_125rocblas_gemm_scale_kernelILi32ELi32E19rocblas_complex_numIfEPKPS2_EEviiT1_T2_llli,comdat
.Lfunc_end232:
	.size	_ZN12_GLOBAL__N_125rocblas_gemm_scale_kernelILi32ELi32E19rocblas_complex_numIfEPKPS2_EEviiT1_T2_llli, .Lfunc_end232-_ZN12_GLOBAL__N_125rocblas_gemm_scale_kernelILi32ELi32E19rocblas_complex_numIfEPKPS2_EEviiT1_T2_llli
                                        ; -- End function
	.section	.AMDGPU.csdata,"",@progbits
; Kernel info:
; codeLenInByte = 296
; NumSgprs: 20
; NumVgprs: 10
; NumAgprs: 0
; TotalNumVgprs: 10
; ScratchSize: 0
; MemoryBound: 0
; FloatMode: 240
; IeeeMode: 1
; LDSByteSize: 0 bytes/workgroup (compile time only)
; SGPRBlocks: 2
; VGPRBlocks: 1
; NumSGPRsForWavesPerEU: 20
; NumVGPRsForWavesPerEU: 10
; AccumOffset: 12
; Occupancy: 8
; WaveLimiterHint : 1
; COMPUTE_PGM_RSRC2:SCRATCH_EN: 0
; COMPUTE_PGM_RSRC2:USER_SGPR: 6
; COMPUTE_PGM_RSRC2:TRAP_HANDLER: 0
; COMPUTE_PGM_RSRC2:TGID_X_EN: 1
; COMPUTE_PGM_RSRC2:TGID_Y_EN: 1
; COMPUTE_PGM_RSRC2:TGID_Z_EN: 1
; COMPUTE_PGM_RSRC2:TIDIG_COMP_CNT: 1
; COMPUTE_PGM_RSRC3_GFX90A:ACCUM_OFFSET: 2
; COMPUTE_PGM_RSRC3_GFX90A:TG_SPLIT: 0
	.section	.text._ZN12_GLOBAL__N_120gemm_ex_scale_kernelILi32ELi32E19rocblas_complex_numIfEPKPKS2_PKPS2_EEviiT1_T2_lllT3_llli,"axG",@progbits,_ZN12_GLOBAL__N_120gemm_ex_scale_kernelILi32ELi32E19rocblas_complex_numIfEPKPKS2_PKPS2_EEviiT1_T2_lllT3_llli,comdat
	.globl	_ZN12_GLOBAL__N_120gemm_ex_scale_kernelILi32ELi32E19rocblas_complex_numIfEPKPKS2_PKPS2_EEviiT1_T2_lllT3_llli ; -- Begin function _ZN12_GLOBAL__N_120gemm_ex_scale_kernelILi32ELi32E19rocblas_complex_numIfEPKPKS2_PKPS2_EEviiT1_T2_lllT3_llli
	.p2align	8
	.type	_ZN12_GLOBAL__N_120gemm_ex_scale_kernelILi32ELi32E19rocblas_complex_numIfEPKPKS2_PKPS2_EEviiT1_T2_lllT3_llli,@function
_ZN12_GLOBAL__N_120gemm_ex_scale_kernelILi32ELi32E19rocblas_complex_numIfEPKPKS2_PKPS2_EEviiT1_T2_lllT3_llli: ; @_ZN12_GLOBAL__N_120gemm_ex_scale_kernelILi32ELi32E19rocblas_complex_numIfEPKPKS2_PKPS2_EEviiT1_T2_lllT3_llli
; %bb.0:
	s_load_dwordx8 s[12:19], s[4:5], 0x0
	s_load_dwordx2 s[10:11], s[4:5], 0x20
	s_mov_b32 s9, 0
	s_mov_b64 s[20:21], 0
	s_waitcnt lgkmcnt(0)
	v_cmp_neq_f32_e64 s[0:1], s14, 0
	v_cmp_neq_f32_e64 s[2:3], s15, 0
	s_or_b64 s[0:1], s[0:1], s[2:3]
	s_andn2_b64 vcc, exec, s[0:1]
	s_cbranch_vccnz .LBB233_2
; %bb.1:
	s_lshl_b64 s[0:1], s[8:9], 3
	s_add_u32 s0, s16, s0
	s_addc_u32 s1, s17, s1
	s_load_dwordx2 s[0:1], s[0:1], 0x0
	s_lshl_b64 s[2:3], s[18:19], 3
	s_waitcnt lgkmcnt(0)
	s_add_u32 s20, s0, s2
	s_addc_u32 s21, s1, s3
.LBB233_2:
	v_and_b32_e32 v1, 0x3ff, v0
	v_bfe_u32 v0, v0, 10, 10
	v_lshl_add_u32 v2, s6, 5, v1
	v_lshl_add_u32 v4, s7, 5, v0
	v_cmp_gt_u32_e32 vcc, s12, v2
	v_cmp_gt_u32_e64 s[0:1], s13, v4
	s_and_b64 s[0:1], vcc, s[0:1]
	s_and_saveexec_b64 s[2:3], s[0:1]
	s_cbranch_execz .LBB233_8
; %bb.3:
	s_load_dwordx4 s[0:3], s[4:5], 0x30
	s_load_dwordx2 s[6:7], s[4:5], 0x40
	s_lshl_b64 s[4:5], s[8:9], 3
	s_mov_b32 s8, 0
	v_mov_b32_e32 v3, 0
	s_waitcnt lgkmcnt(0)
	s_add_u32 s0, s0, s4
	s_addc_u32 s1, s1, s5
	s_load_dwordx2 s[0:1], s[0:1], 0x0
	s_or_b32 s4, s14, s15
	s_bitset0_b32 s4, 31
	s_cmp_lg_u32 s4, 0
	s_cbranch_scc1 .LBB233_5
; %bb.4:
	v_mov_b32_e32 v0, s8
	v_mov_b32_e32 v1, s8
	s_cbranch_execz .LBB233_6
	s_branch .LBB233_7
.LBB233_5:
                                        ; implicit-def: $sgpr8
	v_mov_b32_e32 v0, s8
	v_mov_b32_e32 v1, s8
.LBB233_6:
	v_mad_u64_u32 v[0:1], s[4:5], v4, s10, 0
	v_mov_b32_e32 v6, v1
	v_mad_u64_u32 v[6:7], s[4:5], v4, s11, v[6:7]
	v_mov_b32_e32 v1, v6
	v_lshlrev_b64 v[0:1], 3, v[0:1]
	v_mov_b32_e32 v3, 0
	v_mov_b32_e32 v5, s21
	v_add_co_u32_e32 v6, vcc, s20, v0
	v_addc_co_u32_e32 v5, vcc, v5, v1, vcc
	v_lshlrev_b64 v[0:1], 3, v[2:3]
	v_add_co_u32_e32 v0, vcc, v6, v0
	v_addc_co_u32_e32 v1, vcc, v5, v1, vcc
	flat_load_dwordx2 v[6:7], v[0:1]
	s_mov_b32 s4, s15
	s_waitcnt vmcnt(0) lgkmcnt(0)
	v_pk_mul_f32 v[8:9], v[6:7], s[4:5] op_sel_hi:[1,0]
	v_pk_fma_f32 v[0:1], v[6:7], s[14:15], v[8:9] op_sel:[0,0,1] op_sel_hi:[1,1,0] neg_lo:[0,0,1] neg_hi:[0,0,1]
	v_pk_fma_f32 v[6:7], v[6:7], s[14:15], v[8:9] op_sel:[0,0,1] op_sel_hi:[1,0,0]
	v_mov_b32_e32 v1, v7
.LBB233_7:
	s_lshl_b64 s[2:3], s[2:3], 3
	s_waitcnt lgkmcnt(0)
	s_add_u32 s2, s0, s2
	s_addc_u32 s3, s1, s3
	v_mad_u64_u32 v[6:7], s[0:1], v4, s6, 0
	v_mov_b32_e32 v8, v7
	v_mad_u64_u32 v[4:5], s[0:1], v4, s7, v[8:9]
	v_mov_b32_e32 v7, v4
	v_lshlrev_b64 v[4:5], 3, v[6:7]
	v_mov_b32_e32 v6, s3
	v_add_co_u32_e32 v4, vcc, s2, v4
	v_addc_co_u32_e32 v5, vcc, v6, v5, vcc
	v_lshlrev_b64 v[2:3], 3, v[2:3]
	v_add_co_u32_e32 v2, vcc, v4, v2
	v_addc_co_u32_e32 v3, vcc, v5, v3, vcc
	global_store_dwordx2 v[2:3], v[0:1], off
.LBB233_8:
	s_endpgm
	.section	.rodata,"a",@progbits
	.p2align	6, 0x0
	.amdhsa_kernel _ZN12_GLOBAL__N_120gemm_ex_scale_kernelILi32ELi32E19rocblas_complex_numIfEPKPKS2_PKPS2_EEviiT1_T2_lllT3_llli
		.amdhsa_group_segment_fixed_size 0
		.amdhsa_private_segment_fixed_size 0
		.amdhsa_kernarg_size 84
		.amdhsa_user_sgpr_count 6
		.amdhsa_user_sgpr_private_segment_buffer 1
		.amdhsa_user_sgpr_dispatch_ptr 0
		.amdhsa_user_sgpr_queue_ptr 0
		.amdhsa_user_sgpr_kernarg_segment_ptr 1
		.amdhsa_user_sgpr_dispatch_id 0
		.amdhsa_user_sgpr_flat_scratch_init 0
		.amdhsa_user_sgpr_kernarg_preload_length 0
		.amdhsa_user_sgpr_kernarg_preload_offset 0
		.amdhsa_user_sgpr_private_segment_size 0
		.amdhsa_uses_dynamic_stack 0
		.amdhsa_system_sgpr_private_segment_wavefront_offset 0
		.amdhsa_system_sgpr_workgroup_id_x 1
		.amdhsa_system_sgpr_workgroup_id_y 1
		.amdhsa_system_sgpr_workgroup_id_z 1
		.amdhsa_system_sgpr_workgroup_info 0
		.amdhsa_system_vgpr_workitem_id 1
		.amdhsa_next_free_vgpr 10
		.amdhsa_next_free_sgpr 22
		.amdhsa_accum_offset 12
		.amdhsa_reserve_vcc 1
		.amdhsa_reserve_flat_scratch 0
		.amdhsa_float_round_mode_32 0
		.amdhsa_float_round_mode_16_64 0
		.amdhsa_float_denorm_mode_32 3
		.amdhsa_float_denorm_mode_16_64 3
		.amdhsa_dx10_clamp 1
		.amdhsa_ieee_mode 1
		.amdhsa_fp16_overflow 0
		.amdhsa_tg_split 0
		.amdhsa_exception_fp_ieee_invalid_op 0
		.amdhsa_exception_fp_denorm_src 0
		.amdhsa_exception_fp_ieee_div_zero 0
		.amdhsa_exception_fp_ieee_overflow 0
		.amdhsa_exception_fp_ieee_underflow 0
		.amdhsa_exception_fp_ieee_inexact 0
		.amdhsa_exception_int_div_zero 0
	.end_amdhsa_kernel
	.section	.text._ZN12_GLOBAL__N_120gemm_ex_scale_kernelILi32ELi32E19rocblas_complex_numIfEPKPKS2_PKPS2_EEviiT1_T2_lllT3_llli,"axG",@progbits,_ZN12_GLOBAL__N_120gemm_ex_scale_kernelILi32ELi32E19rocblas_complex_numIfEPKPKS2_PKPS2_EEviiT1_T2_lllT3_llli,comdat
.Lfunc_end233:
	.size	_ZN12_GLOBAL__N_120gemm_ex_scale_kernelILi32ELi32E19rocblas_complex_numIfEPKPKS2_PKPS2_EEviiT1_T2_lllT3_llli, .Lfunc_end233-_ZN12_GLOBAL__N_120gemm_ex_scale_kernelILi32ELi32E19rocblas_complex_numIfEPKPKS2_PKPS2_EEviiT1_T2_lllT3_llli
                                        ; -- End function
	.section	.AMDGPU.csdata,"",@progbits
; Kernel info:
; codeLenInByte = 432
; NumSgprs: 26
; NumVgprs: 10
; NumAgprs: 0
; TotalNumVgprs: 10
; ScratchSize: 0
; MemoryBound: 0
; FloatMode: 240
; IeeeMode: 1
; LDSByteSize: 0 bytes/workgroup (compile time only)
; SGPRBlocks: 3
; VGPRBlocks: 1
; NumSGPRsForWavesPerEU: 26
; NumVGPRsForWavesPerEU: 10
; AccumOffset: 12
; Occupancy: 8
; WaveLimiterHint : 1
; COMPUTE_PGM_RSRC2:SCRATCH_EN: 0
; COMPUTE_PGM_RSRC2:USER_SGPR: 6
; COMPUTE_PGM_RSRC2:TRAP_HANDLER: 0
; COMPUTE_PGM_RSRC2:TGID_X_EN: 1
; COMPUTE_PGM_RSRC2:TGID_Y_EN: 1
; COMPUTE_PGM_RSRC2:TGID_Z_EN: 1
; COMPUTE_PGM_RSRC2:TIDIG_COMP_CNT: 1
; COMPUTE_PGM_RSRC3_GFX90A:ACCUM_OFFSET: 2
; COMPUTE_PGM_RSRC3_GFX90A:TG_SPLIT: 0
	.section	.text._ZN12_GLOBAL__N_127rocblas_gemm_batched_kernelI19rocblas_complex_numIfELi16ELi16ELi64ELi64ELi4ELi64ELi4ELi4ELi64ELc78ELc78EKPKS2_S5_KPS2_EEvlllT_PT11_llSA_llS8_PT12_llPT13_lli,"axG",@progbits,_ZN12_GLOBAL__N_127rocblas_gemm_batched_kernelI19rocblas_complex_numIfELi16ELi16ELi64ELi64ELi4ELi64ELi4ELi4ELi64ELc78ELc78EKPKS2_S5_KPS2_EEvlllT_PT11_llSA_llS8_PT12_llPT13_lli,comdat
	.globl	_ZN12_GLOBAL__N_127rocblas_gemm_batched_kernelI19rocblas_complex_numIfELi16ELi16ELi64ELi64ELi4ELi64ELi4ELi4ELi64ELc78ELc78EKPKS2_S5_KPS2_EEvlllT_PT11_llSA_llS8_PT12_llPT13_lli ; -- Begin function _ZN12_GLOBAL__N_127rocblas_gemm_batched_kernelI19rocblas_complex_numIfELi16ELi16ELi64ELi64ELi4ELi64ELi4ELi4ELi64ELc78ELc78EKPKS2_S5_KPS2_EEvlllT_PT11_llSA_llS8_PT12_llPT13_lli
	.p2align	8
	.type	_ZN12_GLOBAL__N_127rocblas_gemm_batched_kernelI19rocblas_complex_numIfELi16ELi16ELi64ELi64ELi4ELi64ELi4ELi4ELi64ELc78ELc78EKPKS2_S5_KPS2_EEvlllT_PT11_llSA_llS8_PT12_llPT13_lli,@function
_ZN12_GLOBAL__N_127rocblas_gemm_batched_kernelI19rocblas_complex_numIfELi16ELi16ELi64ELi64ELi4ELi64ELi4ELi4ELi64ELc78ELc78EKPKS2_S5_KPS2_EEvlllT_PT11_llSA_llS8_PT12_llPT13_lli: ; @_ZN12_GLOBAL__N_127rocblas_gemm_batched_kernelI19rocblas_complex_numIfELi16ELi16ELi64ELi64ELi4ELi64ELi4ELi4ELi64ELc78ELc78EKPKS2_S5_KPS2_EEvlllT_PT11_llSA_llS8_PT12_llPT13_lli
; %bb.0:
	s_load_dwordx16 s[12:27], s[4:5], 0x10
	s_load_dwordx4 s[0:3], s[4:5], 0x78
	s_load_dwordx8 s[36:43], s[4:5], 0x58
	s_load_dwordx2 s[10:11], s[4:5], 0x50
	s_mov_b32 s9, 0
	s_lshl_b64 s[30:31], s[8:9], 3
	s_mov_b32 s28, s7
	s_waitcnt lgkmcnt(0)
	s_add_u32 s4, s36, s30
	s_addc_u32 s5, s37, s31
	s_add_u32 s8, s42, s30
	s_addc_u32 s9, s43, s31
	s_load_dwordx2 s[4:5], s[4:5], 0x0
	s_ashr_i32 s7, s6, 31
	s_load_dwordx2 s[8:9], s[8:9], 0x0
	s_ashr_i32 s29, s28, 31
	v_cmp_lt_i64_e64 s[34:35], s[12:13], 1
	v_bfe_u32 v45, v0, 10, 10
	v_and_b32_e32 v44, 0x3ff, v0
	s_lshl_b64 s[6:7], s[6:7], 6
	s_lshl_b64 s[28:29], s[28:29], 6
	s_and_b64 vcc, exec, s[34:35]
	s_cbranch_vccnz .LBB234_3
; %bb.1:
	v_lshl_add_u32 v0, v45, 4, v44
	v_lshrrev_b32_e32 v1, 2, v0
	v_mov_b32_e32 v2, s29
	v_add_co_u32_e32 v4, vcc, s28, v1
	v_addc_co_u32_e32 v5, vcc, 0, v2, vcc
	v_and_b32_e32 v2, 3, v44
	v_and_b32_e32 v6, 63, v0
	v_lshrrev_b32_e32 v3, 6, v0
	v_lshlrev_b32_e32 v0, 3, v6
	v_lshlrev_b32_e32 v7, 3, v2
	s_add_u32 s16, s16, s30
	v_lshl_or_b32 v52, v3, 9, v0
	v_lshl_or_b32 v0, v1, 5, v7
	s_addc_u32 s17, s17, s31
	v_add_u32_e32 v53, 0x800, v0
	v_mov_b32_e32 v0, 0x800
	s_load_dwordx2 s[16:17], s[16:17], 0x0
	s_add_u32 s22, s22, s30
	v_lshl_add_u32 v55, v45, 5, v0
	v_pk_mov_b32 v[0:1], s[6:7], s[6:7] op_sel:[0,1]
	s_addc_u32 s23, s23, s31
	v_mad_u64_u32 v[0:1], s[30:31], v3, s18, v[0:1]
	v_mov_b32_e32 v2, v1
	v_mad_u64_u32 v[2:3], s[30:31], v3, s19, v[2:3]
	s_lshl_b64 s[20:21], s[20:21], 3
	v_mov_b32_e32 v1, v2
	v_add_co_u32_e32 v0, vcc, v0, v6
	v_addc_co_u32_e32 v1, vcc, 0, v1, vcc
	s_waitcnt lgkmcnt(0)
	s_add_u32 s16, s16, s20
	v_lshlrev_b64 v[0:1], 3, v[0:1]
	s_addc_u32 s17, s17, s21
	v_mov_b32_e32 v2, s17
	v_add_co_u32_e32 v38, vcc, s16, v0
	v_addc_co_u32_e32 v39, vcc, v2, v1, vcc
	s_lshl_b64 s[16:17], s[18:19], 5
	v_mul_lo_u32 v2, s25, v4
	v_mul_lo_u32 v3, s24, v5
	v_mad_u64_u32 v[0:1], s[18:19], s24, v4, 0
	v_add3_u32 v1, v1, v3, v2
	s_load_dwordx2 s[22:23], s[22:23], 0x0
	v_lshlrev_b64 v[0:1], 3, v[0:1]
	s_lshl_b64 s[18:19], s[26:27], 3
	v_mov_b32_e32 v2, s19
	v_add_co_u32_e32 v0, vcc, s18, v0
	v_addc_co_u32_e32 v1, vcc, v1, v2, vcc
	v_add_co_u32_e32 v0, vcc, v0, v7
	v_addc_co_u32_e32 v1, vcc, 0, v1, vcc
	s_waitcnt lgkmcnt(0)
	v_mov_b32_e32 v2, s23
	v_add_co_u32_e32 v40, vcc, s22, v0
	v_mov_b32_e32 v46, 0
	v_lshlrev_b32_e32 v54, 3, v44
	v_addc_co_u32_e32 v41, vcc, v2, v1, vcc
	s_mov_b64 s[18:19], 0
	v_mov_b32_e32 v56, s17
	v_pk_mov_b32 v[42:43], s[12:13], s[12:13] op_sel:[0,1]
	v_mov_b32_e32 v47, 0
	v_mov_b32_e32 v49, 0
	;; [unrolled: 1-line block ×31, first 2 shown]
.LBB234_2:                              ; =>This Inner Loop Header: Depth=1
	global_load_dwordx2 v[0:1], v[38:39], off
	v_add_co_u32_e32 v38, vcc, s16, v38
	v_addc_co_u32_e32 v39, vcc, v39, v56, vcc
	s_add_u32 s18, s18, 4
	s_addc_u32 s19, s19, 0
	s_waitcnt vmcnt(0)
	ds_write_b64 v52, v[0:1]
	global_load_dwordx2 v[0:1], v[40:41], off
	v_add_co_u32_e32 v40, vcc, 32, v40
	v_addc_co_u32_e32 v41, vcc, 0, v41, vcc
	v_cmp_lt_i64_e32 vcc, s[18:19], v[42:43]
	s_and_b64 vcc, exec, vcc
	s_waitcnt vmcnt(0)
	ds_write_b64 v53, v[0:1]
	s_waitcnt lgkmcnt(0)
	s_barrier
	ds_read_b128 v[0:3], v55
	ds_read_b128 v[32:35], v55 offset:16
	ds_read2_b64 v[8:11], v54 offset1:16
	ds_read2_b64 v[12:15], v54 offset0:32 offset1:48
	s_waitcnt lgkmcnt(1)
	v_mul_f32_e32 v4, v1, v9
	v_fma_f32 v4, v0, v8, -v4
	v_mul_f32_e32 v5, v0, v9
	v_add_f32_e32 v20, v79, v4
	v_mul_f32_e32 v4, v1, v11
	v_fmac_f32_e32 v5, v1, v8
	v_fma_f32 v4, v0, v10, -v4
	v_add_f32_e32 v21, v80, v5
	v_mul_f32_e32 v5, v0, v11
	v_add_f32_e32 v22, v77, v4
	s_waitcnt lgkmcnt(0)
	v_mul_f32_e32 v4, v1, v13
	v_fmac_f32_e32 v5, v1, v10
	v_fma_f32 v4, v0, v12, -v4
	v_add_f32_e32 v23, v78, v5
	v_mul_f32_e32 v5, v0, v13
	v_add_f32_e32 v75, v75, v4
	v_mul_f32_e32 v4, v1, v15
	v_fmac_f32_e32 v5, v1, v12
	v_fma_f32 v4, v0, v14, -v4
	v_mul_f32_e32 v0, v0, v15
	v_add_f32_e32 v76, v76, v5
	v_fmac_f32_e32 v0, v1, v14
	v_add_f32_e32 v1, v73, v4
	ds_read_b128 v[4:7], v55 offset:512
	ds_read_b128 v[80:83], v55 offset:1040
	v_add_f32_e32 v0, v74, v0
	s_waitcnt lgkmcnt(1)
	v_mul_f32_e32 v16, v5, v9
	v_fma_f32 v16, v4, v8, -v16
	v_mul_f32_e32 v17, v4, v9
	v_add_f32_e32 v71, v71, v16
	v_mul_f32_e32 v16, v5, v11
	v_fmac_f32_e32 v17, v5, v8
	v_fma_f32 v16, v4, v10, -v16
	v_add_f32_e32 v72, v72, v17
	v_mul_f32_e32 v17, v4, v11
	v_add_f32_e32 v69, v69, v16
	v_mul_f32_e32 v16, v5, v13
	v_fmac_f32_e32 v17, v5, v10
	v_fma_f32 v16, v4, v12, -v16
	v_add_f32_e32 v70, v70, v17
	v_mul_f32_e32 v17, v4, v13
	v_add_f32_e32 v67, v67, v16
	v_mul_f32_e32 v16, v5, v15
	v_fmac_f32_e32 v17, v5, v12
	v_fma_f32 v16, v4, v14, -v16
	v_mul_f32_e32 v4, v4, v15
	v_add_f32_e32 v68, v68, v17
	v_fmac_f32_e32 v4, v5, v14
	v_add_f32_e32 v5, v65, v16
	ds_read_b128 v[16:19], v55 offset:1024
	v_add_f32_e32 v4, v66, v4
	s_waitcnt lgkmcnt(0)
	v_mul_f32_e32 v24, v17, v9
	v_fma_f32 v24, v16, v8, -v24
	v_mul_f32_e32 v25, v16, v9
	v_add_f32_e32 v63, v63, v24
	v_mul_f32_e32 v24, v17, v11
	v_fmac_f32_e32 v25, v17, v8
	v_fma_f32 v24, v16, v10, -v24
	v_add_f32_e32 v64, v64, v25
	v_mul_f32_e32 v25, v16, v11
	v_add_f32_e32 v61, v61, v24
	v_mul_f32_e32 v24, v17, v13
	v_fmac_f32_e32 v25, v17, v10
	v_fma_f32 v24, v16, v12, -v24
	v_add_f32_e32 v62, v62, v25
	v_mul_f32_e32 v25, v16, v13
	v_add_f32_e32 v59, v59, v24
	v_mul_f32_e32 v24, v17, v15
	v_fmac_f32_e32 v25, v17, v12
	v_fma_f32 v24, v16, v14, -v24
	v_mul_f32_e32 v16, v16, v15
	v_add_f32_e32 v60, v60, v25
	v_fmac_f32_e32 v16, v17, v14
	v_add_f32_e32 v17, v57, v24
	ds_read2_b64 v[24:27], v54 offset0:64 offset1:80
	v_add_f32_e32 v16, v58, v16
	s_waitcnt lgkmcnt(0)
	v_mul_f32_e32 v28, v3, v25
	v_mul_f32_e32 v29, v2, v25
	v_fma_f32 v28, v2, v24, -v28
	v_fmac_f32_e32 v29, v3, v24
	v_add_f32_e32 v20, v20, v28
	v_add_f32_e32 v21, v21, v29
	v_mul_f32_e32 v28, v3, v27
	v_mul_f32_e32 v29, v2, v27
	v_fma_f32 v28, v2, v26, -v28
	v_fmac_f32_e32 v29, v3, v26
	v_add_f32_e32 v22, v22, v28
	v_add_f32_e32 v23, v23, v29
	ds_read2_b64 v[28:31], v54 offset0:96 offset1:112
	s_waitcnt lgkmcnt(0)
	v_mul_f32_e32 v57, v3, v29
	v_mul_f32_e32 v65, v3, v31
	v_fma_f32 v57, v2, v28, -v57
	v_mul_f32_e32 v58, v2, v29
	v_fma_f32 v65, v2, v30, -v65
	v_mul_f32_e32 v2, v2, v31
	v_fmac_f32_e32 v2, v3, v30
	v_add_f32_e32 v65, v1, v65
	v_add_f32_e32 v66, v0, v2
	v_mul_f32_e32 v0, v7, v25
	v_mul_f32_e32 v1, v6, v25
	v_fma_f32 v0, v6, v24, -v0
	v_fmac_f32_e32 v1, v7, v24
	v_add_f32_e32 v71, v71, v0
	v_add_f32_e32 v72, v72, v1
	v_mul_f32_e32 v0, v7, v27
	v_mul_f32_e32 v1, v6, v27
	v_fma_f32 v0, v6, v26, -v0
	v_fmac_f32_e32 v1, v7, v26
	v_add_f32_e32 v69, v69, v0
	v_add_f32_e32 v70, v70, v1
	v_mul_f32_e32 v0, v7, v29
	v_mul_f32_e32 v1, v6, v29
	v_fma_f32 v0, v6, v28, -v0
	v_fmac_f32_e32 v1, v7, v28
	v_add_f32_e32 v67, v67, v0
	v_add_f32_e32 v68, v68, v1
	v_mul_f32_e32 v0, v7, v31
	v_mul_f32_e32 v1, v6, v31
	v_fma_f32 v0, v6, v30, -v0
	v_fmac_f32_e32 v1, v7, v30
	v_add_f32_e32 v73, v5, v0
	v_add_f32_e32 v74, v4, v1
	v_mul_f32_e32 v0, v19, v25
	v_mul_f32_e32 v1, v18, v25
	v_fma_f32 v0, v18, v24, -v0
	v_fmac_f32_e32 v1, v19, v24
	v_add_f32_e32 v63, v63, v0
	v_add_f32_e32 v64, v64, v1
	v_mul_f32_e32 v0, v19, v27
	v_mul_f32_e32 v1, v18, v27
	v_fma_f32 v0, v18, v26, -v0
	v_fmac_f32_e32 v1, v19, v26
	ds_read2_b64 v[4:7], v54 offset0:128 offset1:144
	v_add_f32_e32 v57, v75, v57
	v_add_f32_e32 v75, v61, v0
	;; [unrolled: 1-line block ×3, first 2 shown]
	v_mul_f32_e32 v0, v19, v29
	v_mul_f32_e32 v1, v18, v29
	v_fmac_f32_e32 v58, v3, v28
	v_fma_f32 v0, v18, v28, -v0
	v_fmac_f32_e32 v1, v19, v28
	v_add_f32_e32 v58, v76, v58
	v_add_f32_e32 v76, v59, v0
	;; [unrolled: 1-line block ×3, first 2 shown]
	v_mul_f32_e32 v0, v19, v31
	v_mul_f32_e32 v1, v18, v31
	v_fma_f32 v0, v18, v30, -v0
	v_fmac_f32_e32 v1, v19, v30
	v_add_f32_e32 v17, v17, v0
	v_add_f32_e32 v16, v16, v1
	s_waitcnt lgkmcnt(0)
	v_mul_f32_e32 v0, v33, v5
	v_mul_f32_e32 v1, v32, v5
	v_fma_f32 v0, v32, v4, -v0
	v_fmac_f32_e32 v1, v33, v4
	v_add_f32_e32 v18, v20, v0
	v_add_f32_e32 v19, v21, v1
	v_mul_f32_e32 v0, v33, v7
	v_mul_f32_e32 v1, v32, v7
	v_fma_f32 v0, v32, v6, -v0
	v_fmac_f32_e32 v1, v33, v6
	v_add_f32_e32 v78, v22, v0
	v_add_f32_e32 v84, v23, v1
	ds_read2_b64 v[0:3], v54 offset0:160 offset1:176
	s_waitcnt lgkmcnt(0)
	v_mul_f32_e32 v21, v32, v1
	v_fmac_f32_e32 v21, v33, v0
	v_add_f32_e32 v85, v58, v21
	ds_read_b128 v[58:61], v55 offset:528
	v_mul_f32_e32 v20, v33, v1
	v_fma_f32 v20, v32, v0, -v20
	v_add_f32_e32 v57, v57, v20
	v_mul_f32_e32 v20, v33, v3
	v_mul_f32_e32 v21, v32, v3
	v_fma_f32 v20, v32, v2, -v20
	v_fmac_f32_e32 v21, v33, v2
	v_add_f32_e32 v32, v65, v20
	v_add_f32_e32 v33, v66, v21
	s_waitcnt lgkmcnt(0)
	v_mul_f32_e32 v20, v59, v5
	v_mul_f32_e32 v21, v58, v5
	v_fma_f32 v20, v58, v4, -v20
	v_fmac_f32_e32 v21, v59, v4
	v_add_f32_e32 v65, v71, v20
	v_add_f32_e32 v66, v72, v21
	v_mul_f32_e32 v20, v59, v7
	v_mul_f32_e32 v21, v58, v7
	v_fma_f32 v20, v58, v6, -v20
	v_fmac_f32_e32 v21, v59, v6
	v_add_f32_e32 v69, v69, v20
	v_add_f32_e32 v70, v70, v21
	;; [unrolled: 6-line block ×8, first 2 shown]
	ds_read2_b64 v[20:23], v54 offset0:192 offset1:208
	s_waitcnt lgkmcnt(0)
	v_mul_f32_e32 v16, v35, v21
	v_mul_f32_e32 v17, v34, v21
	v_fma_f32 v16, v34, v20, -v16
	v_fmac_f32_e32 v17, v35, v20
	v_add_f32_e32 v79, v18, v16
	v_add_f32_e32 v80, v19, v17
	v_mul_f32_e32 v16, v35, v23
	v_mul_f32_e32 v17, v34, v23
	v_fma_f32 v16, v34, v22, -v16
	v_fmac_f32_e32 v17, v35, v22
	v_add_f32_e32 v77, v78, v16
	v_add_f32_e32 v78, v84, v17
	ds_read2_b64 v[16:19], v54 offset0:224 offset1:240
	s_waitcnt lgkmcnt(0)
	v_mul_f32_e32 v71, v35, v17
	v_fma_f32 v71, v34, v16, -v71
	v_add_f32_e32 v75, v57, v71
	v_mul_f32_e32 v57, v35, v19
	v_mul_f32_e32 v72, v34, v17
	v_fma_f32 v57, v34, v18, -v57
	v_mul_f32_e32 v34, v34, v19
	v_fmac_f32_e32 v34, v35, v18
	v_add_f32_e32 v73, v32, v57
	v_add_f32_e32 v74, v33, v34
	v_mul_f32_e32 v32, v61, v21
	v_mul_f32_e32 v33, v60, v21
	v_fmac_f32_e32 v72, v35, v16
	v_fma_f32 v32, v60, v20, -v32
	v_fmac_f32_e32 v33, v61, v20
	v_add_f32_e32 v76, v85, v72
	v_add_f32_e32 v71, v65, v32
	;; [unrolled: 1-line block ×3, first 2 shown]
	v_mul_f32_e32 v32, v61, v23
	v_mul_f32_e32 v33, v60, v23
	v_fma_f32 v32, v60, v22, -v32
	v_fmac_f32_e32 v33, v61, v22
	v_add_f32_e32 v69, v69, v32
	v_add_f32_e32 v70, v70, v33
	v_mul_f32_e32 v32, v61, v17
	v_mul_f32_e32 v33, v60, v17
	v_fma_f32 v32, v60, v16, -v32
	v_fmac_f32_e32 v33, v61, v16
	v_add_f32_e32 v67, v67, v32
	v_add_f32_e32 v68, v68, v33
	;; [unrolled: 6-line block ×7, first 2 shown]
	ds_read_b128 v[32:35], v55 offset:1536
	s_waitcnt lgkmcnt(0)
	v_mul_f32_e32 v81, v33, v9
	v_mul_f32_e32 v9, v32, v9
	v_fmac_f32_e32 v9, v33, v8
	v_fma_f32 v81, v32, v8, -v81
	v_add_f32_e32 v51, v51, v9
	v_mul_f32_e32 v8, v33, v11
	v_mul_f32_e32 v9, v32, v11
	v_fma_f32 v8, v32, v10, -v8
	v_fmac_f32_e32 v9, v33, v10
	v_add_f32_e32 v48, v48, v8
	v_add_f32_e32 v49, v49, v9
	v_mul_f32_e32 v8, v33, v13
	v_mul_f32_e32 v9, v32, v13
	v_fma_f32 v8, v32, v12, -v8
	v_fmac_f32_e32 v9, v33, v12
	v_add_f32_e32 v12, v47, v8
	v_add_f32_e32 v13, v46, v9
	v_pk_mul_f32 v[8:9], v[32:33], v[14:15] op_sel:[0,1]
	v_pk_fma_f32 v[10:11], v[32:33], v[14:15], v[8:9] op_sel:[0,0,1] op_sel_hi:[1,1,0] neg_lo:[0,0,1] neg_hi:[0,0,1]
	v_pk_fma_f32 v[8:9], v[32:33], v[14:15], v[8:9] op_sel:[0,0,1] op_sel_hi:[1,0,0]
	v_mov_b32_e32 v11, v9
	v_pk_add_f32 v[8:9], v[36:37], v[10:11]
	v_mul_f32_e32 v10, v35, v25
	v_mul_f32_e32 v11, v34, v25
	v_add_f32_e32 v50, v50, v81
	v_fma_f32 v10, v34, v24, -v10
	v_fmac_f32_e32 v11, v35, v24
	v_add_f32_e32 v32, v50, v10
	v_add_f32_e32 v33, v51, v11
	v_mul_f32_e32 v10, v35, v27
	v_mul_f32_e32 v11, v34, v27
	v_fma_f32 v10, v34, v26, -v10
	v_fmac_f32_e32 v11, v35, v26
	v_add_f32_e32 v24, v48, v10
	v_add_f32_e32 v25, v49, v11
	v_mul_f32_e32 v10, v35, v29
	v_mul_f32_e32 v11, v34, v29
	v_fma_f32 v10, v34, v28, -v10
	v_fmac_f32_e32 v11, v35, v28
	v_add_f32_e32 v14, v12, v10
	v_add_f32_e32 v15, v13, v11
	v_pk_mul_f32 v[10:11], v[34:35], v[30:31] op_sel:[0,1]
	v_pk_fma_f32 v[12:13], v[34:35], v[30:31], v[10:11] op_sel:[0,0,1] op_sel_hi:[1,1,0] neg_lo:[0,0,1] neg_hi:[0,0,1]
	v_pk_fma_f32 v[10:11], v[34:35], v[30:31], v[10:11] op_sel:[0,0,1] op_sel_hi:[1,0,0]
	v_mov_b32_e32 v13, v11
	v_pk_add_f32 v[12:13], v[8:9], v[12:13]
	ds_read_b128 v[8:11], v55 offset:1552
	s_waitcnt lgkmcnt(0)
	s_barrier
	v_mul_f32_e32 v26, v9, v5
	v_mul_f32_e32 v5, v8, v5
	v_fma_f32 v26, v8, v4, -v26
	v_fmac_f32_e32 v5, v9, v4
	v_mul_f32_e32 v4, v9, v7
	v_add_f32_e32 v27, v33, v5
	v_fma_f32 v4, v8, v6, -v4
	v_mul_f32_e32 v5, v8, v7
	v_fmac_f32_e32 v5, v9, v6
	v_add_f32_e32 v6, v24, v4
	v_mul_f32_e32 v4, v9, v1
	v_mul_f32_e32 v1, v8, v1
	v_fmac_f32_e32 v1, v9, v0
	v_fma_f32 v4, v8, v0, -v4
	v_add_f32_e32 v15, v15, v1
	v_pk_mul_f32 v[0:1], v[8:9], v[2:3] op_sel:[0,1]
	v_add_f32_e32 v7, v25, v5
	v_add_f32_e32 v14, v14, v4
	v_pk_fma_f32 v[4:5], v[8:9], v[2:3], v[0:1] op_sel:[0,0,1] op_sel_hi:[1,1,0] neg_lo:[0,0,1] neg_hi:[0,0,1]
	v_pk_fma_f32 v[0:1], v[8:9], v[2:3], v[0:1] op_sel:[0,0,1] op_sel_hi:[1,0,0]
	v_mul_f32_e32 v2, v11, v21
	v_mul_f32_e32 v3, v10, v21
	v_add_f32_e32 v26, v32, v26
	v_fma_f32 v2, v10, v20, -v2
	v_fmac_f32_e32 v3, v11, v20
	v_add_f32_e32 v50, v26, v2
	v_add_f32_e32 v51, v27, v3
	v_mul_f32_e32 v2, v11, v23
	v_mul_f32_e32 v3, v10, v23
	v_fma_f32 v2, v10, v22, -v2
	v_fmac_f32_e32 v3, v11, v22
	v_add_f32_e32 v48, v6, v2
	v_add_f32_e32 v49, v7, v3
	v_mul_f32_e32 v2, v11, v17
	v_mul_f32_e32 v3, v10, v17
	v_fma_f32 v2, v10, v16, -v2
	v_fmac_f32_e32 v3, v11, v16
	v_mov_b32_e32 v5, v1
	v_add_f32_e32 v47, v14, v2
	v_add_f32_e32 v46, v15, v3
	v_pk_mul_f32 v[2:3], v[10:11], v[18:19] op_sel:[0,1]
	v_pk_add_f32 v[0:1], v[12:13], v[4:5]
	v_pk_fma_f32 v[4:5], v[10:11], v[18:19], v[2:3] op_sel:[0,0,1] op_sel_hi:[1,1,0] neg_lo:[0,0,1] neg_hi:[0,0,1]
	v_pk_fma_f32 v[2:3], v[10:11], v[18:19], v[2:3] op_sel:[0,0,1] op_sel_hi:[1,0,0]
	v_mov_b32_e32 v5, v3
	v_pk_add_f32 v[36:37], v[0:1], v[4:5]
	s_cbranch_vccnz .LBB234_2
	s_branch .LBB234_4
.LBB234_3:
	v_mov_b32_e32 v37, 0
	v_mov_b32_e32 v36, v37
	;; [unrolled: 1-line block ×32, first 2 shown]
.LBB234_4:
	s_lshl_b64 s[2:3], s[2:3], 3
	s_waitcnt lgkmcnt(0)
	s_add_u32 s8, s8, s2
	v_mov_b32_e32 v0, s29
	v_add_co_u32_e32 v4, vcc, s28, v45
	s_addc_u32 s9, s9, s3
	v_addc_co_u32_e32 v5, vcc, 0, v0, vcc
	s_or_b32 s2, s10, s11
	s_bitset0_b32 s2, 31
	v_mov_b32_e32 v1, s7
	v_add_co_u32_e32 v0, vcc, s6, v44
	s_cmp_lg_u32 s2, 0
	v_addc_co_u32_e32 v1, vcc, 0, v1, vcc
	s_mov_b32 s2, s15
	s_mov_b32 s3, s14
	s_cbranch_scc1 .LBB234_6
; %bb.5:
	v_mul_lo_u32 v6, v5, s0
	v_mul_lo_u32 v7, v4, s1
	v_mad_u64_u32 v[2:3], s[6:7], v4, s0, 0
	v_add3_u32 v3, v3, v7, v6
	v_lshlrev_b64 v[2:3], 3, v[2:3]
	v_mov_b32_e32 v6, s9
	v_add_co_u32_e32 v8, vcc, s8, v2
	v_addc_co_u32_e32 v9, vcc, v6, v3, vcc
	v_lshlrev_b64 v[6:7], 3, v[0:1]
	v_mul_f32_e32 v2, s15, v80
	v_mul_f32_e32 v3, s14, v80
	v_add_co_u32_e32 v6, vcc, v8, v6
	v_fma_f32 v2, v79, s14, -v2
	v_fmac_f32_e32 v3, s15, v79
	v_addc_co_u32_e32 v7, vcc, v9, v7, vcc
	global_store_dwordx2 v[6:7], v[2:3], off
	v_mul_f32_e32 v2, s15, v78
	v_mul_f32_e32 v3, s14, v78
	v_fma_f32 v2, v77, s14, -v2
	v_fmac_f32_e32 v3, s15, v77
	global_store_dwordx2 v[6:7], v[2:3], off offset:128
	v_mul_f32_e32 v2, s15, v76
	v_mul_f32_e32 v3, s14, v76
	v_fma_f32 v2, v75, s14, -v2
	v_fmac_f32_e32 v3, s15, v75
	global_store_dwordx2 v[6:7], v[2:3], off offset:256
	v_mul_f32_e32 v2, s15, v74
	v_mul_f32_e32 v3, s14, v74
	v_fma_f32 v2, v73, s14, -v2
	v_fmac_f32_e32 v3, s15, v73
	s_lshl_b64 s[6:7], s[0:1], 7
	global_store_dwordx2 v[6:7], v[2:3], off offset:384
	v_mul_f32_e32 v2, s15, v72
	v_mul_f32_e32 v3, s14, v72
	v_mov_b32_e32 v9, s7
	v_add_co_u32_e32 v6, vcc, s6, v6
	v_fma_f32 v2, v71, s14, -v2
	v_fmac_f32_e32 v3, s15, v71
	v_addc_co_u32_e32 v7, vcc, v7, v9, vcc
	global_store_dwordx2 v[6:7], v[2:3], off
	v_mul_f32_e32 v2, s15, v70
	v_mul_f32_e32 v3, s14, v70
	v_fma_f32 v2, v69, s14, -v2
	v_fmac_f32_e32 v3, s15, v69
	global_store_dwordx2 v[6:7], v[2:3], off offset:128
	v_mul_f32_e32 v2, s15, v68
	v_mul_f32_e32 v3, s14, v68
	v_fma_f32 v2, v67, s14, -v2
	v_fmac_f32_e32 v3, s15, v67
	global_store_dwordx2 v[6:7], v[2:3], off offset:256
	;; [unrolled: 5-line block ×3, first 2 shown]
	v_mul_f32_e32 v2, s15, v64
	v_mul_f32_e32 v3, s14, v64
	v_add_co_u32_e32 v6, vcc, s6, v6
	v_fma_f32 v2, v63, s14, -v2
	v_fmac_f32_e32 v3, s15, v63
	v_addc_co_u32_e32 v7, vcc, v7, v9, vcc
	global_store_dwordx2 v[6:7], v[2:3], off
	v_mul_f32_e32 v2, s15, v62
	v_mul_f32_e32 v3, s14, v62
	v_fma_f32 v2, v61, s14, -v2
	v_fmac_f32_e32 v3, s15, v61
	global_store_dwordx2 v[6:7], v[2:3], off offset:128
	v_mul_f32_e32 v2, s15, v60
	v_mul_f32_e32 v3, s14, v60
	v_fma_f32 v2, v59, s14, -v2
	v_fmac_f32_e32 v3, s15, v59
	global_store_dwordx2 v[6:7], v[2:3], off offset:256
	;; [unrolled: 5-line block ×3, first 2 shown]
	v_mul_f32_e32 v2, s15, v51
	v_mul_f32_e32 v3, s14, v51
	v_add_co_u32_e32 v8, vcc, s6, v6
	v_fma_f32 v2, v50, s14, -v2
	v_fmac_f32_e32 v3, s15, v50
	v_addc_co_u32_e32 v9, vcc, v7, v9, vcc
	global_store_dwordx2 v[8:9], v[2:3], off
	v_mul_f32_e32 v2, s15, v49
	v_mul_f32_e32 v3, s14, v49
	v_fma_f32 v2, v48, s14, -v2
	v_fmac_f32_e32 v3, s15, v48
	global_store_dwordx2 v[8:9], v[2:3], off offset:128
	v_mul_f32_e32 v2, s15, v46
	v_mul_f32_e32 v3, s14, v46
	v_fma_f32 v2, v47, s14, -v2
	v_fmac_f32_e32 v3, s15, v47
	global_store_dwordx2 v[8:9], v[2:3], off offset:256
	v_mul_f32_e32 v2, s3, v36
	v_fma_f32 v7, -v37, s2, v2
	v_pk_mul_f32 v[2:3], v[36:37], s[2:3]
	v_add_f32_e32 v6, v2, v3
	v_add_co_u32_e32 v2, vcc, 0x180, v8
	v_addc_co_u32_e32 v3, vcc, 0, v9, vcc
	global_store_dword v[8:9], v7, off offset:384
	s_cbranch_execz .LBB234_7
	s_branch .LBB234_8
.LBB234_6:
                                        ; implicit-def: $vgpr6
                                        ; implicit-def: $vgpr2_vgpr3
.LBB234_7:
	s_lshl_b64 s[6:7], s[40:41], 3
	s_add_u32 s6, s4, s6
	s_addc_u32 s7, s5, s7
	v_mul_lo_u32 v6, v5, s38
	v_mul_lo_u32 v7, v4, s39
	v_mad_u64_u32 v[2:3], s[4:5], v4, s38, 0
	v_add3_u32 v3, v3, v7, v6
	v_lshlrev_b64 v[2:3], 3, v[2:3]
	v_mov_b32_e32 v6, s7
	v_add_co_u32_e32 v2, vcc, s6, v2
	v_addc_co_u32_e32 v3, vcc, v6, v3, vcc
	v_lshlrev_b64 v[0:1], 3, v[0:1]
	v_add_co_u32_e32 v2, vcc, v2, v0
	v_addc_co_u32_e32 v3, vcc, v3, v1, vcc
	global_load_dwordx2 v[6:7], v[2:3], off
	v_mul_lo_u32 v8, v5, s0
	v_mul_lo_u32 v9, v4, s1
	v_mad_u64_u32 v[4:5], s[4:5], v4, s0, 0
	v_add3_u32 v5, v5, v9, v8
	v_lshlrev_b64 v[4:5], 3, v[4:5]
	v_mov_b32_e32 v10, s9
	v_add_co_u32_e32 v4, vcc, s8, v4
	v_addc_co_u32_e32 v5, vcc, v10, v5, vcc
	v_add_co_u32_e32 v0, vcc, v4, v0
	v_mul_f32_e32 v11, s15, v80
	v_mul_f32_e32 v12, s14, v80
	v_addc_co_u32_e32 v1, vcc, v5, v1, vcc
	v_fma_f32 v8, v79, s14, -v11
	v_fmac_f32_e32 v12, s15, v79
	s_lshl_b64 s[4:5], s[38:39], 7
	s_lshl_b64 s[0:1], s[0:1], 7
	s_waitcnt vmcnt(0)
	v_mul_f32_e32 v4, s11, v7
	v_mul_f32_e32 v5, s10, v7
	v_fma_f32 v4, v6, s10, -v4
	v_fmac_f32_e32 v5, s11, v6
	v_add_f32_e32 v4, v8, v4
	v_add_f32_e32 v5, v12, v5
	global_store_dwordx2 v[0:1], v[4:5], off
	global_load_dwordx2 v[4:5], v[2:3], off offset:128
	v_mul_f32_e32 v6, s15, v78
	v_mul_f32_e32 v7, s14, v78
	v_fma_f32 v6, v77, s14, -v6
	v_fmac_f32_e32 v7, s15, v77
	s_waitcnt vmcnt(0)
	v_mul_f32_e32 v8, s11, v5
	v_mul_f32_e32 v5, s10, v5
	v_fma_f32 v8, v4, s10, -v8
	v_fmac_f32_e32 v5, s11, v4
	v_add_f32_e32 v4, v6, v8
	v_add_f32_e32 v5, v7, v5
	global_store_dwordx2 v[0:1], v[4:5], off offset:128
	global_load_dwordx2 v[4:5], v[2:3], off offset:256
	v_mul_f32_e32 v6, s15, v76
	v_mul_f32_e32 v7, s14, v76
	v_fma_f32 v6, v75, s14, -v6
	v_fmac_f32_e32 v7, s15, v75
	s_waitcnt vmcnt(0)
	v_mul_f32_e32 v8, s11, v5
	v_mul_f32_e32 v5, s10, v5
	v_fma_f32 v8, v4, s10, -v8
	v_fmac_f32_e32 v5, s11, v4
	v_add_f32_e32 v4, v6, v8
	v_add_f32_e32 v5, v7, v5
	global_store_dwordx2 v[0:1], v[4:5], off offset:256
	global_load_dwordx2 v[4:5], v[2:3], off offset:384
	v_mul_f32_e32 v6, s15, v74
	v_mul_f32_e32 v7, s14, v74
	v_fma_f32 v6, v73, s14, -v6
	v_fmac_f32_e32 v7, s15, v73
	v_mov_b32_e32 v8, s5
	v_add_co_u32_e32 v2, vcc, s4, v2
	v_addc_co_u32_e32 v3, vcc, v3, v8, vcc
	s_waitcnt vmcnt(0)
	v_mul_f32_e32 v9, s11, v5
	v_mul_f32_e32 v5, s10, v5
	v_fma_f32 v9, v4, s10, -v9
	v_fmac_f32_e32 v5, s11, v4
	v_add_f32_e32 v4, v6, v9
	v_add_f32_e32 v5, v7, v5
	global_store_dwordx2 v[0:1], v[4:5], off offset:384
	global_load_dwordx2 v[4:5], v[2:3], off
	v_mul_f32_e32 v6, s15, v72
	v_mul_f32_e32 v7, s14, v72
	v_fma_f32 v6, v71, s14, -v6
	v_fmac_f32_e32 v7, s15, v71
	v_mov_b32_e32 v9, s1
	v_add_co_u32_e32 v0, vcc, s0, v0
	v_addc_co_u32_e32 v1, vcc, v1, v9, vcc
	s_waitcnt vmcnt(0)
	v_mul_f32_e32 v10, s11, v5
	v_mul_f32_e32 v5, s10, v5
	v_fma_f32 v10, v4, s10, -v10
	v_fmac_f32_e32 v5, s11, v4
	v_add_f32_e32 v4, v6, v10
	v_add_f32_e32 v5, v7, v5
	global_store_dwordx2 v[0:1], v[4:5], off
	global_load_dwordx2 v[4:5], v[2:3], off offset:128
	v_mul_f32_e32 v6, s15, v70
	v_mul_f32_e32 v7, s14, v70
	v_fma_f32 v6, v69, s14, -v6
	v_fmac_f32_e32 v7, s15, v69
	s_waitcnt vmcnt(0)
	v_mul_f32_e32 v10, s11, v5
	v_mul_f32_e32 v5, s10, v5
	v_fma_f32 v10, v4, s10, -v10
	v_fmac_f32_e32 v5, s11, v4
	v_add_f32_e32 v4, v6, v10
	v_add_f32_e32 v5, v7, v5
	global_store_dwordx2 v[0:1], v[4:5], off offset:128
	global_load_dwordx2 v[4:5], v[2:3], off offset:256
	v_mul_f32_e32 v6, s15, v68
	v_mul_f32_e32 v7, s14, v68
	v_fma_f32 v6, v67, s14, -v6
	v_fmac_f32_e32 v7, s15, v67
	s_waitcnt vmcnt(0)
	v_mul_f32_e32 v10, s11, v5
	v_mul_f32_e32 v5, s10, v5
	v_fma_f32 v10, v4, s10, -v10
	v_fmac_f32_e32 v5, s11, v4
	v_add_f32_e32 v4, v6, v10
	v_add_f32_e32 v5, v7, v5
	global_store_dwordx2 v[0:1], v[4:5], off offset:256
	global_load_dwordx2 v[4:5], v[2:3], off offset:384
	v_mul_f32_e32 v6, s15, v66
	v_mul_f32_e32 v7, s14, v66
	v_fma_f32 v6, v65, s14, -v6
	v_fmac_f32_e32 v7, s15, v65
	v_add_co_u32_e32 v2, vcc, s4, v2
	v_addc_co_u32_e32 v3, vcc, v3, v8, vcc
	s_waitcnt vmcnt(0)
	v_mul_f32_e32 v10, s11, v5
	v_mul_f32_e32 v5, s10, v5
	v_fma_f32 v10, v4, s10, -v10
	v_fmac_f32_e32 v5, s11, v4
	v_add_f32_e32 v4, v6, v10
	v_add_f32_e32 v5, v7, v5
	global_store_dwordx2 v[0:1], v[4:5], off offset:384
	global_load_dwordx2 v[4:5], v[2:3], off
	v_mul_f32_e32 v6, s15, v64
	v_mul_f32_e32 v7, s14, v64
	v_fma_f32 v6, v63, s14, -v6
	v_fmac_f32_e32 v7, s15, v63
	v_add_co_u32_e32 v0, vcc, s0, v0
	v_addc_co_u32_e32 v1, vcc, v1, v9, vcc
	s_waitcnt vmcnt(0)
	v_mul_f32_e32 v10, s11, v5
	v_mul_f32_e32 v5, s10, v5
	v_fma_f32 v10, v4, s10, -v10
	v_fmac_f32_e32 v5, s11, v4
	v_add_f32_e32 v4, v6, v10
	v_add_f32_e32 v5, v7, v5
	global_store_dwordx2 v[0:1], v[4:5], off
	global_load_dwordx2 v[4:5], v[2:3], off offset:128
	v_mul_f32_e32 v6, s15, v62
	v_mul_f32_e32 v7, s14, v62
	v_fma_f32 v6, v61, s14, -v6
	v_fmac_f32_e32 v7, s15, v61
	s_waitcnt vmcnt(0)
	v_mul_f32_e32 v10, s11, v5
	v_mul_f32_e32 v5, s10, v5
	v_fma_f32 v10, v4, s10, -v10
	v_fmac_f32_e32 v5, s11, v4
	v_add_f32_e32 v4, v6, v10
	v_add_f32_e32 v5, v7, v5
	global_store_dwordx2 v[0:1], v[4:5], off offset:128
	global_load_dwordx2 v[4:5], v[2:3], off offset:256
	v_mul_f32_e32 v6, s15, v60
	v_mul_f32_e32 v7, s14, v60
	v_fma_f32 v6, v59, s14, -v6
	v_fmac_f32_e32 v7, s15, v59
	s_waitcnt vmcnt(0)
	v_mul_f32_e32 v10, s11, v5
	v_mul_f32_e32 v5, s10, v5
	v_fma_f32 v10, v4, s10, -v10
	v_fmac_f32_e32 v5, s11, v4
	v_add_f32_e32 v4, v6, v10
	v_add_f32_e32 v5, v7, v5
	global_store_dwordx2 v[0:1], v[4:5], off offset:256
	global_load_dwordx2 v[4:5], v[2:3], off offset:384
	v_add_co_u32_e32 v2, vcc, s4, v2
	v_mul_f32_e32 v6, s15, v58
	v_mul_f32_e32 v7, s14, v58
	v_addc_co_u32_e32 v3, vcc, v3, v8, vcc
	v_fma_f32 v6, v57, s14, -v6
	v_fmac_f32_e32 v7, s15, v57
	s_waitcnt vmcnt(0)
	v_mul_f32_e32 v8, s11, v5
	v_mul_f32_e32 v5, s10, v5
	v_fma_f32 v8, v4, s10, -v8
	v_fmac_f32_e32 v5, s11, v4
	v_add_f32_e32 v4, v6, v8
	v_add_f32_e32 v5, v7, v5
	global_store_dwordx2 v[0:1], v[4:5], off offset:384
	global_load_dwordx2 v[4:5], v[2:3], off
	v_mul_f32_e32 v6, s15, v51
	v_mul_f32_e32 v7, s14, v51
	v_fma_f32 v6, v50, s14, -v6
	v_fmac_f32_e32 v7, s15, v50
	v_add_co_u32_e32 v0, vcc, s0, v0
	v_addc_co_u32_e32 v1, vcc, v1, v9, vcc
	s_waitcnt vmcnt(0)
	v_mul_f32_e32 v8, s11, v5
	v_mul_f32_e32 v5, s10, v5
	v_fma_f32 v8, v4, s10, -v8
	v_fmac_f32_e32 v5, s11, v4
	v_add_f32_e32 v4, v6, v8
	v_add_f32_e32 v5, v7, v5
	global_store_dwordx2 v[0:1], v[4:5], off
	global_load_dwordx2 v[4:5], v[2:3], off offset:128
	v_mul_f32_e32 v6, s15, v49
	v_mul_f32_e32 v7, s14, v49
	v_fma_f32 v6, v48, s14, -v6
	v_fmac_f32_e32 v7, s15, v48
	s_waitcnt vmcnt(0)
	v_mul_f32_e32 v8, s11, v5
	v_mul_f32_e32 v5, s10, v5
	v_fma_f32 v8, v4, s10, -v8
	v_fmac_f32_e32 v5, s11, v4
	v_add_f32_e32 v4, v6, v8
	v_add_f32_e32 v5, v7, v5
	global_store_dwordx2 v[0:1], v[4:5], off offset:128
	global_load_dwordx2 v[4:5], v[2:3], off offset:256
	v_mul_f32_e32 v6, s15, v46
	v_mul_f32_e32 v7, s14, v46
	v_fma_f32 v6, v47, s14, -v6
	v_fmac_f32_e32 v7, s15, v47
	s_waitcnt vmcnt(0)
	v_mul_f32_e32 v8, s11, v5
	v_mul_f32_e32 v5, s10, v5
	v_fma_f32 v8, v4, s10, -v8
	v_fmac_f32_e32 v5, s11, v4
	v_add_f32_e32 v4, v6, v8
	v_add_f32_e32 v5, v7, v5
	global_store_dwordx2 v[0:1], v[4:5], off offset:256
	global_load_dwordx2 v[4:5], v[2:3], off offset:384
	v_mul_f32_e32 v6, s3, v36
	v_pk_mul_f32 v[2:3], v[36:37], s[2:3]
	v_fma_f32 v8, -v37, s2, v6
	v_add_f32_e32 v3, v2, v3
	v_add_co_u32_e32 v2, vcc, 0x180, v0
	s_waitcnt vmcnt(0)
	v_pk_mul_f32 v[6:7], v[4:5], s[10:11] op_sel:[0,1] op_sel_hi:[1,0]
	v_mul_f32_e32 v4, s10, v4
	v_fma_f32 v4, -v5, s11, v4
	v_add_f32_e32 v5, v6, v7
	v_add_f32_e32 v4, v8, v4
	;; [unrolled: 1-line block ×3, first 2 shown]
	v_addc_co_u32_e32 v3, vcc, 0, v1, vcc
	global_store_dword v[0:1], v4, off offset:384
.LBB234_8:
	global_store_dword v[2:3], v6, off offset:4
	s_endpgm
	.section	.rodata,"a",@progbits
	.p2align	6, 0x0
	.amdhsa_kernel _ZN12_GLOBAL__N_127rocblas_gemm_batched_kernelI19rocblas_complex_numIfELi16ELi16ELi64ELi64ELi4ELi64ELi4ELi4ELi64ELc78ELc78EKPKS2_S5_KPS2_EEvlllT_PT11_llSA_llS8_PT12_llPT13_lli
		.amdhsa_group_segment_fixed_size 4096
		.amdhsa_private_segment_fixed_size 0
		.amdhsa_kernarg_size 140
		.amdhsa_user_sgpr_count 6
		.amdhsa_user_sgpr_private_segment_buffer 1
		.amdhsa_user_sgpr_dispatch_ptr 0
		.amdhsa_user_sgpr_queue_ptr 0
		.amdhsa_user_sgpr_kernarg_segment_ptr 1
		.amdhsa_user_sgpr_dispatch_id 0
		.amdhsa_user_sgpr_flat_scratch_init 0
		.amdhsa_user_sgpr_kernarg_preload_length 0
		.amdhsa_user_sgpr_kernarg_preload_offset 0
		.amdhsa_user_sgpr_private_segment_size 0
		.amdhsa_uses_dynamic_stack 0
		.amdhsa_system_sgpr_private_segment_wavefront_offset 0
		.amdhsa_system_sgpr_workgroup_id_x 1
		.amdhsa_system_sgpr_workgroup_id_y 1
		.amdhsa_system_sgpr_workgroup_id_z 1
		.amdhsa_system_sgpr_workgroup_info 0
		.amdhsa_system_vgpr_workitem_id 1
		.amdhsa_next_free_vgpr 90
		.amdhsa_next_free_sgpr 44
		.amdhsa_accum_offset 92
		.amdhsa_reserve_vcc 1
		.amdhsa_reserve_flat_scratch 0
		.amdhsa_float_round_mode_32 0
		.amdhsa_float_round_mode_16_64 0
		.amdhsa_float_denorm_mode_32 3
		.amdhsa_float_denorm_mode_16_64 3
		.amdhsa_dx10_clamp 1
		.amdhsa_ieee_mode 1
		.amdhsa_fp16_overflow 0
		.amdhsa_tg_split 0
		.amdhsa_exception_fp_ieee_invalid_op 0
		.amdhsa_exception_fp_denorm_src 0
		.amdhsa_exception_fp_ieee_div_zero 0
		.amdhsa_exception_fp_ieee_overflow 0
		.amdhsa_exception_fp_ieee_underflow 0
		.amdhsa_exception_fp_ieee_inexact 0
		.amdhsa_exception_int_div_zero 0
	.end_amdhsa_kernel
	.section	.text._ZN12_GLOBAL__N_127rocblas_gemm_batched_kernelI19rocblas_complex_numIfELi16ELi16ELi64ELi64ELi4ELi64ELi4ELi4ELi64ELc78ELc78EKPKS2_S5_KPS2_EEvlllT_PT11_llSA_llS8_PT12_llPT13_lli,"axG",@progbits,_ZN12_GLOBAL__N_127rocblas_gemm_batched_kernelI19rocblas_complex_numIfELi16ELi16ELi64ELi64ELi4ELi64ELi4ELi4ELi64ELc78ELc78EKPKS2_S5_KPS2_EEvlllT_PT11_llSA_llS8_PT12_llPT13_lli,comdat
.Lfunc_end234:
	.size	_ZN12_GLOBAL__N_127rocblas_gemm_batched_kernelI19rocblas_complex_numIfELi16ELi16ELi64ELi64ELi4ELi64ELi4ELi4ELi64ELc78ELc78EKPKS2_S5_KPS2_EEvlllT_PT11_llSA_llS8_PT12_llPT13_lli, .Lfunc_end234-_ZN12_GLOBAL__N_127rocblas_gemm_batched_kernelI19rocblas_complex_numIfELi16ELi16ELi64ELi64ELi4ELi64ELi4ELi4ELi64ELc78ELc78EKPKS2_S5_KPS2_EEvlllT_PT11_llSA_llS8_PT12_llPT13_lli
                                        ; -- End function
	.section	.AMDGPU.csdata,"",@progbits
; Kernel info:
; codeLenInByte = 4736
; NumSgprs: 48
; NumVgprs: 90
; NumAgprs: 0
; TotalNumVgprs: 90
; ScratchSize: 0
; MemoryBound: 0
; FloatMode: 240
; IeeeMode: 1
; LDSByteSize: 4096 bytes/workgroup (compile time only)
; SGPRBlocks: 5
; VGPRBlocks: 11
; NumSGPRsForWavesPerEU: 48
; NumVGPRsForWavesPerEU: 90
; AccumOffset: 92
; Occupancy: 5
; WaveLimiterHint : 1
; COMPUTE_PGM_RSRC2:SCRATCH_EN: 0
; COMPUTE_PGM_RSRC2:USER_SGPR: 6
; COMPUTE_PGM_RSRC2:TRAP_HANDLER: 0
; COMPUTE_PGM_RSRC2:TGID_X_EN: 1
; COMPUTE_PGM_RSRC2:TGID_Y_EN: 1
; COMPUTE_PGM_RSRC2:TGID_Z_EN: 1
; COMPUTE_PGM_RSRC2:TIDIG_COMP_CNT: 1
; COMPUTE_PGM_RSRC3_GFX90A:ACCUM_OFFSET: 22
; COMPUTE_PGM_RSRC3_GFX90A:TG_SPLIT: 0
	.section	.text._ZN12_GLOBAL__N_127rocblas_gemm_batched_kernelI19rocblas_complex_numIfELi16ELi16ELi64ELi64ELi4ELi64ELi4ELi4ELi64ELc84ELc78EKPKS2_S5_KPS2_EEvlllT_PT11_llSA_llS8_PT12_llPT13_lli,"axG",@progbits,_ZN12_GLOBAL__N_127rocblas_gemm_batched_kernelI19rocblas_complex_numIfELi16ELi16ELi64ELi64ELi4ELi64ELi4ELi4ELi64ELc84ELc78EKPKS2_S5_KPS2_EEvlllT_PT11_llSA_llS8_PT12_llPT13_lli,comdat
	.globl	_ZN12_GLOBAL__N_127rocblas_gemm_batched_kernelI19rocblas_complex_numIfELi16ELi16ELi64ELi64ELi4ELi64ELi4ELi4ELi64ELc84ELc78EKPKS2_S5_KPS2_EEvlllT_PT11_llSA_llS8_PT12_llPT13_lli ; -- Begin function _ZN12_GLOBAL__N_127rocblas_gemm_batched_kernelI19rocblas_complex_numIfELi16ELi16ELi64ELi64ELi4ELi64ELi4ELi4ELi64ELc84ELc78EKPKS2_S5_KPS2_EEvlllT_PT11_llSA_llS8_PT12_llPT13_lli
	.p2align	8
	.type	_ZN12_GLOBAL__N_127rocblas_gemm_batched_kernelI19rocblas_complex_numIfELi16ELi16ELi64ELi64ELi4ELi64ELi4ELi4ELi64ELc84ELc78EKPKS2_S5_KPS2_EEvlllT_PT11_llSA_llS8_PT12_llPT13_lli,@function
_ZN12_GLOBAL__N_127rocblas_gemm_batched_kernelI19rocblas_complex_numIfELi16ELi16ELi64ELi64ELi4ELi64ELi4ELi4ELi64ELc84ELc78EKPKS2_S5_KPS2_EEvlllT_PT11_llSA_llS8_PT12_llPT13_lli: ; @_ZN12_GLOBAL__N_127rocblas_gemm_batched_kernelI19rocblas_complex_numIfELi16ELi16ELi64ELi64ELi4ELi64ELi4ELi4ELi64ELc84ELc78EKPKS2_S5_KPS2_EEvlllT_PT11_llSA_llS8_PT12_llPT13_lli
; %bb.0:
	s_load_dwordx16 s[12:27], s[4:5], 0x10
	s_load_dwordx4 s[0:3], s[4:5], 0x78
	s_load_dwordx8 s[36:43], s[4:5], 0x58
	s_load_dwordx2 s[10:11], s[4:5], 0x50
	s_mov_b32 s9, 0
	s_lshl_b64 s[30:31], s[8:9], 3
	s_mov_b32 s28, s7
	s_waitcnt lgkmcnt(0)
	s_add_u32 s4, s36, s30
	s_addc_u32 s5, s37, s31
	s_add_u32 s8, s42, s30
	s_addc_u32 s9, s43, s31
	s_load_dwordx2 s[4:5], s[4:5], 0x0
	s_ashr_i32 s7, s6, 31
	s_load_dwordx2 s[8:9], s[8:9], 0x0
	s_ashr_i32 s29, s28, 31
	v_cmp_lt_i64_e64 s[34:35], s[12:13], 1
	v_bfe_u32 v45, v0, 10, 10
	v_and_b32_e32 v44, 0x3ff, v0
	s_lshl_b64 s[6:7], s[6:7], 6
	s_lshl_b64 s[28:29], s[28:29], 6
	s_and_b64 vcc, exec, s[34:35]
	s_cbranch_vccnz .LBB235_3
; %bb.1:
	v_lshl_add_u32 v0, v45, 4, v44
	v_and_b32_e32 v4, 3, v44
	v_and_b32_e32 v5, 63, v0
	v_lshrrev_b32_e32 v1, 2, v0
	v_lshrrev_b32_e32 v6, 6, v0
	v_lshlrev_b32_e32 v0, 3, v5
	v_lshlrev_b32_e32 v4, 3, v4
	v_mov_b32_e32 v2, s29
	v_add_co_u32_e32 v3, vcc, s28, v1
	v_lshl_or_b32 v52, v6, 9, v0
	v_lshl_or_b32 v0, v1, 5, v4
	v_addc_co_u32_e32 v2, vcc, 0, v2, vcc
	v_add_u32_e32 v53, 0x800, v0
	v_mov_b32_e32 v0, 0x800
	v_lshl_add_u32 v55, v45, 5, v0
	v_mov_b32_e32 v0, s7
	v_add_co_u32_e32 v1, vcc, s6, v5
	s_add_u32 s16, s16, s30
	v_addc_co_u32_e32 v0, vcc, 0, v0, vcc
	s_addc_u32 s17, s17, s31
	v_mul_lo_u32 v5, s19, v1
	v_mul_lo_u32 v7, s18, v0
	v_mad_u64_u32 v[0:1], s[18:19], s18, v1, 0
	s_add_u32 s22, s22, s30
	v_add3_u32 v1, v1, v7, v5
	s_load_dwordx2 s[16:17], s[16:17], 0x0
	s_addc_u32 s23, s23, s31
	v_lshlrev_b64 v[0:1], 3, v[0:1]
	s_lshl_b64 s[18:19], s[20:21], 3
	v_mov_b32_e32 v5, s19
	v_add_co_u32_e32 v0, vcc, s18, v0
	v_addc_co_u32_e32 v1, vcc, v1, v5, vcc
	v_lshlrev_b32_e32 v5, 3, v6
	v_add_co_u32_e32 v0, vcc, v0, v5
	v_addc_co_u32_e32 v1, vcc, 0, v1, vcc
	s_waitcnt lgkmcnt(0)
	v_mov_b32_e32 v5, s17
	v_add_co_u32_e32 v38, vcc, s16, v0
	v_addc_co_u32_e32 v39, vcc, v5, v1, vcc
	v_mul_lo_u32 v5, s25, v3
	v_mul_lo_u32 v2, s24, v2
	v_mad_u64_u32 v[0:1], s[16:17], s24, v3, 0
	v_add3_u32 v1, v1, v2, v5
	s_load_dwordx2 s[22:23], s[22:23], 0x0
	v_lshlrev_b64 v[0:1], 3, v[0:1]
	s_lshl_b64 s[16:17], s[26:27], 3
	v_mov_b32_e32 v2, s17
	v_add_co_u32_e32 v0, vcc, s16, v0
	v_addc_co_u32_e32 v1, vcc, v1, v2, vcc
	v_add_co_u32_e32 v0, vcc, v0, v4
	v_addc_co_u32_e32 v1, vcc, 0, v1, vcc
	s_waitcnt lgkmcnt(0)
	v_mov_b32_e32 v2, s23
	v_add_co_u32_e32 v40, vcc, s22, v0
	v_mov_b32_e32 v46, 0
	v_lshlrev_b32_e32 v54, 3, v44
	v_addc_co_u32_e32 v41, vcc, v2, v1, vcc
	s_mov_b64 s[16:17], 0
	v_pk_mov_b32 v[42:43], s[12:13], s[12:13] op_sel:[0,1]
	v_mov_b32_e32 v47, 0
	v_mov_b32_e32 v49, 0
	;; [unrolled: 1-line block ×31, first 2 shown]
.LBB235_2:                              ; =>This Inner Loop Header: Depth=1
	global_load_dwordx2 v[0:1], v[38:39], off
	v_add_co_u32_e32 v38, vcc, 32, v38
	v_addc_co_u32_e32 v39, vcc, 0, v39, vcc
	s_add_u32 s16, s16, 4
	s_addc_u32 s17, s17, 0
	s_waitcnt vmcnt(0)
	ds_write_b64 v52, v[0:1]
	global_load_dwordx2 v[0:1], v[40:41], off
	v_add_co_u32_e32 v40, vcc, 32, v40
	v_addc_co_u32_e32 v41, vcc, 0, v41, vcc
	v_cmp_lt_i64_e32 vcc, s[16:17], v[42:43]
	s_and_b64 vcc, exec, vcc
	s_waitcnt vmcnt(0)
	ds_write_b64 v53, v[0:1]
	s_waitcnt lgkmcnt(0)
	s_barrier
	ds_read_b128 v[0:3], v55
	ds_read_b128 v[32:35], v55 offset:16
	ds_read2_b64 v[8:11], v54 offset1:16
	ds_read2_b64 v[12:15], v54 offset0:32 offset1:48
	s_waitcnt lgkmcnt(1)
	v_mul_f32_e32 v4, v1, v9
	v_fma_f32 v4, v0, v8, -v4
	v_mul_f32_e32 v5, v0, v9
	v_add_f32_e32 v20, v78, v4
	v_mul_f32_e32 v4, v1, v11
	v_fmac_f32_e32 v5, v1, v8
	v_fma_f32 v4, v0, v10, -v4
	v_add_f32_e32 v21, v79, v5
	v_mul_f32_e32 v5, v0, v11
	v_add_f32_e32 v22, v76, v4
	s_waitcnt lgkmcnt(0)
	v_mul_f32_e32 v4, v1, v13
	v_fmac_f32_e32 v5, v1, v10
	v_fma_f32 v4, v0, v12, -v4
	v_add_f32_e32 v23, v77, v5
	v_mul_f32_e32 v5, v0, v13
	v_add_f32_e32 v74, v74, v4
	v_mul_f32_e32 v4, v1, v15
	v_fmac_f32_e32 v5, v1, v12
	v_fma_f32 v4, v0, v14, -v4
	v_mul_f32_e32 v0, v0, v15
	v_add_f32_e32 v75, v75, v5
	v_fmac_f32_e32 v0, v1, v14
	v_add_f32_e32 v1, v72, v4
	ds_read_b128 v[4:7], v55 offset:512
	ds_read_b128 v[78:81], v55 offset:1040
	v_add_f32_e32 v0, v73, v0
	s_waitcnt lgkmcnt(1)
	v_mul_f32_e32 v16, v5, v9
	v_fma_f32 v16, v4, v8, -v16
	v_mul_f32_e32 v17, v4, v9
	v_add_f32_e32 v70, v70, v16
	v_mul_f32_e32 v16, v5, v11
	v_fmac_f32_e32 v17, v5, v8
	v_fma_f32 v16, v4, v10, -v16
	v_add_f32_e32 v71, v71, v17
	v_mul_f32_e32 v17, v4, v11
	v_add_f32_e32 v68, v68, v16
	v_mul_f32_e32 v16, v5, v13
	v_fmac_f32_e32 v17, v5, v10
	v_fma_f32 v16, v4, v12, -v16
	v_add_f32_e32 v69, v69, v17
	v_mul_f32_e32 v17, v4, v13
	v_add_f32_e32 v66, v66, v16
	v_mul_f32_e32 v16, v5, v15
	v_fmac_f32_e32 v17, v5, v12
	v_fma_f32 v16, v4, v14, -v16
	v_mul_f32_e32 v4, v4, v15
	v_add_f32_e32 v67, v67, v17
	v_fmac_f32_e32 v4, v5, v14
	v_add_f32_e32 v5, v64, v16
	ds_read_b128 v[16:19], v55 offset:1024
	v_add_f32_e32 v4, v65, v4
	s_waitcnt lgkmcnt(0)
	v_mul_f32_e32 v24, v17, v9
	v_fma_f32 v24, v16, v8, -v24
	v_mul_f32_e32 v25, v16, v9
	v_add_f32_e32 v62, v62, v24
	v_mul_f32_e32 v24, v17, v11
	v_fmac_f32_e32 v25, v17, v8
	v_fma_f32 v24, v16, v10, -v24
	v_add_f32_e32 v63, v63, v25
	v_mul_f32_e32 v25, v16, v11
	v_add_f32_e32 v60, v60, v24
	v_mul_f32_e32 v24, v17, v13
	v_fmac_f32_e32 v25, v17, v10
	v_fma_f32 v24, v16, v12, -v24
	v_add_f32_e32 v61, v61, v25
	v_mul_f32_e32 v25, v16, v13
	v_add_f32_e32 v58, v58, v24
	v_mul_f32_e32 v24, v17, v15
	v_fmac_f32_e32 v25, v17, v12
	v_fma_f32 v24, v16, v14, -v24
	v_mul_f32_e32 v16, v16, v15
	v_add_f32_e32 v59, v59, v25
	v_fmac_f32_e32 v16, v17, v14
	v_add_f32_e32 v17, v56, v24
	ds_read2_b64 v[24:27], v54 offset0:64 offset1:80
	v_add_f32_e32 v16, v57, v16
	s_waitcnt lgkmcnt(0)
	v_mul_f32_e32 v28, v3, v25
	v_mul_f32_e32 v29, v2, v25
	v_fma_f32 v28, v2, v24, -v28
	v_fmac_f32_e32 v29, v3, v24
	v_add_f32_e32 v20, v20, v28
	v_add_f32_e32 v21, v21, v29
	v_mul_f32_e32 v28, v3, v27
	v_mul_f32_e32 v29, v2, v27
	v_fma_f32 v28, v2, v26, -v28
	v_fmac_f32_e32 v29, v3, v26
	v_add_f32_e32 v22, v22, v28
	v_add_f32_e32 v23, v23, v29
	ds_read2_b64 v[28:31], v54 offset0:96 offset1:112
	s_waitcnt lgkmcnt(0)
	v_mul_f32_e32 v56, v3, v29
	v_mul_f32_e32 v64, v3, v31
	v_fma_f32 v56, v2, v28, -v56
	v_mul_f32_e32 v57, v2, v29
	v_fma_f32 v64, v2, v30, -v64
	v_mul_f32_e32 v2, v2, v31
	v_fmac_f32_e32 v2, v3, v30
	v_add_f32_e32 v64, v1, v64
	v_add_f32_e32 v65, v0, v2
	v_mul_f32_e32 v0, v7, v25
	v_mul_f32_e32 v1, v6, v25
	v_fma_f32 v0, v6, v24, -v0
	v_fmac_f32_e32 v1, v7, v24
	v_add_f32_e32 v70, v70, v0
	v_add_f32_e32 v71, v71, v1
	v_mul_f32_e32 v0, v7, v27
	v_mul_f32_e32 v1, v6, v27
	v_fma_f32 v0, v6, v26, -v0
	;; [unrolled: 6-line block ×6, first 2 shown]
	v_fmac_f32_e32 v1, v19, v26
	ds_read2_b64 v[4:7], v54 offset0:128 offset1:144
	v_add_f32_e32 v60, v60, v0
	v_add_f32_e32 v61, v61, v1
	v_mul_f32_e32 v0, v19, v29
	v_mul_f32_e32 v1, v18, v29
	v_fmac_f32_e32 v57, v3, v28
	v_fma_f32 v0, v18, v28, -v0
	v_fmac_f32_e32 v1, v19, v28
	v_add_f32_e32 v56, v74, v56
	v_add_f32_e32 v57, v75, v57
	;; [unrolled: 1-line block ×4, first 2 shown]
	v_mul_f32_e32 v0, v19, v31
	v_mul_f32_e32 v1, v18, v31
	v_fma_f32 v0, v18, v30, -v0
	v_fmac_f32_e32 v1, v19, v30
	v_add_f32_e32 v17, v17, v0
	v_add_f32_e32 v16, v16, v1
	s_waitcnt lgkmcnt(0)
	v_mul_f32_e32 v0, v33, v5
	v_mul_f32_e32 v1, v32, v5
	v_fma_f32 v0, v32, v4, -v0
	v_fmac_f32_e32 v1, v33, v4
	v_add_f32_e32 v18, v20, v0
	v_add_f32_e32 v19, v21, v1
	v_mul_f32_e32 v0, v33, v7
	v_mul_f32_e32 v1, v32, v7
	v_fma_f32 v0, v32, v6, -v0
	v_fmac_f32_e32 v1, v33, v6
	v_add_f32_e32 v76, v22, v0
	v_add_f32_e32 v77, v23, v1
	ds_read2_b64 v[0:3], v54 offset0:160 offset1:176
	s_waitcnt lgkmcnt(0)
	v_mul_f32_e32 v20, v33, v1
	v_mul_f32_e32 v21, v32, v1
	v_fma_f32 v20, v32, v0, -v20
	v_fmac_f32_e32 v21, v33, v0
	v_add_f32_e32 v82, v56, v20
	v_add_f32_e32 v83, v57, v21
	ds_read_b128 v[56:59], v55 offset:528
	v_mul_f32_e32 v20, v33, v3
	v_mul_f32_e32 v21, v32, v3
	v_fma_f32 v20, v32, v2, -v20
	v_fmac_f32_e32 v21, v33, v2
	v_add_f32_e32 v32, v64, v20
	v_add_f32_e32 v33, v65, v21
	s_waitcnt lgkmcnt(0)
	v_mul_f32_e32 v20, v57, v5
	v_mul_f32_e32 v21, v56, v5
	v_fma_f32 v20, v56, v4, -v20
	v_fmac_f32_e32 v21, v57, v4
	v_add_f32_e32 v64, v70, v20
	v_add_f32_e32 v65, v71, v21
	v_mul_f32_e32 v20, v57, v7
	v_mul_f32_e32 v21, v56, v7
	v_fma_f32 v20, v56, v6, -v20
	v_fmac_f32_e32 v21, v57, v6
	v_add_f32_e32 v68, v68, v20
	v_add_f32_e32 v69, v69, v21
	v_mul_f32_e32 v20, v57, v1
	v_mul_f32_e32 v21, v56, v1
	v_fma_f32 v20, v56, v0, -v20
	v_fmac_f32_e32 v21, v57, v0
	v_add_f32_e32 v66, v66, v20
	v_add_f32_e32 v67, v67, v21
	v_mul_f32_e32 v20, v57, v3
	v_mul_f32_e32 v21, v56, v3
	v_fma_f32 v20, v56, v2, -v20
	v_fmac_f32_e32 v21, v57, v2
	v_add_f32_e32 v56, v72, v20
	v_add_f32_e32 v57, v73, v21
	v_mul_f32_e32 v20, v79, v5
	v_mul_f32_e32 v21, v78, v5
	v_fma_f32 v20, v78, v4, -v20
	v_fmac_f32_e32 v21, v79, v4
	v_add_f32_e32 v62, v62, v20
	v_add_f32_e32 v63, v63, v21
	v_mul_f32_e32 v20, v79, v7
	v_mul_f32_e32 v21, v78, v7
	v_fma_f32 v20, v78, v6, -v20
	v_fmac_f32_e32 v21, v79, v6
	v_add_f32_e32 v60, v60, v20
	v_add_f32_e32 v61, v61, v21
	v_mul_f32_e32 v20, v79, v1
	v_mul_f32_e32 v21, v78, v1
	v_fma_f32 v20, v78, v0, -v20
	v_fmac_f32_e32 v21, v79, v0
	v_add_f32_e32 v84, v74, v20
	v_add_f32_e32 v85, v75, v21
	v_mul_f32_e32 v20, v79, v3
	v_mul_f32_e32 v21, v78, v3
	v_fma_f32 v20, v78, v2, -v20
	v_fmac_f32_e32 v21, v79, v2
	v_add_f32_e32 v86, v17, v20
	v_add_f32_e32 v87, v16, v21
	ds_read2_b64 v[20:23], v54 offset0:192 offset1:208
	s_waitcnt lgkmcnt(0)
	v_mul_f32_e32 v16, v35, v21
	v_mul_f32_e32 v17, v34, v21
	v_fma_f32 v16, v34, v20, -v16
	v_fmac_f32_e32 v17, v35, v20
	v_add_f32_e32 v78, v18, v16
	v_add_f32_e32 v79, v19, v17
	v_mul_f32_e32 v16, v35, v23
	v_mul_f32_e32 v17, v34, v23
	v_fma_f32 v16, v34, v22, -v16
	v_fmac_f32_e32 v17, v35, v22
	v_add_f32_e32 v76, v76, v16
	v_add_f32_e32 v77, v77, v17
	ds_read2_b64 v[16:19], v54 offset0:224 offset1:240
	s_waitcnt lgkmcnt(0)
	v_mul_f32_e32 v70, v35, v17
	v_fma_f32 v70, v34, v16, -v70
	v_add_f32_e32 v74, v82, v70
	v_mul_f32_e32 v70, v35, v19
	v_mul_f32_e32 v71, v34, v17
	v_fma_f32 v70, v34, v18, -v70
	v_mul_f32_e32 v34, v34, v19
	v_fmac_f32_e32 v34, v35, v18
	v_add_f32_e32 v72, v32, v70
	v_add_f32_e32 v73, v33, v34
	v_mul_f32_e32 v32, v59, v21
	v_mul_f32_e32 v33, v58, v21
	v_fmac_f32_e32 v71, v35, v16
	v_fma_f32 v32, v58, v20, -v32
	v_fmac_f32_e32 v33, v59, v20
	v_add_f32_e32 v75, v83, v71
	v_add_f32_e32 v70, v64, v32
	;; [unrolled: 1-line block ×3, first 2 shown]
	v_mul_f32_e32 v32, v59, v23
	v_mul_f32_e32 v33, v58, v23
	v_fma_f32 v32, v58, v22, -v32
	v_fmac_f32_e32 v33, v59, v22
	v_add_f32_e32 v68, v68, v32
	v_add_f32_e32 v69, v69, v33
	v_mul_f32_e32 v32, v59, v17
	v_mul_f32_e32 v33, v58, v17
	v_fma_f32 v32, v58, v16, -v32
	v_fmac_f32_e32 v33, v59, v16
	v_add_f32_e32 v66, v66, v32
	v_add_f32_e32 v67, v67, v33
	;; [unrolled: 6-line block ×7, first 2 shown]
	ds_read_b128 v[32:35], v55 offset:1536
	s_waitcnt lgkmcnt(0)
	v_mul_f32_e32 v80, v33, v9
	v_mul_f32_e32 v9, v32, v9
	v_fmac_f32_e32 v9, v33, v8
	v_fma_f32 v80, v32, v8, -v80
	v_add_f32_e32 v51, v51, v9
	v_mul_f32_e32 v8, v33, v11
	v_mul_f32_e32 v9, v32, v11
	v_fma_f32 v8, v32, v10, -v8
	v_fmac_f32_e32 v9, v33, v10
	v_add_f32_e32 v48, v48, v8
	v_add_f32_e32 v49, v49, v9
	v_mul_f32_e32 v8, v33, v13
	v_mul_f32_e32 v9, v32, v13
	v_fma_f32 v8, v32, v12, -v8
	v_fmac_f32_e32 v9, v33, v12
	v_add_f32_e32 v12, v47, v8
	v_add_f32_e32 v13, v46, v9
	v_pk_mul_f32 v[8:9], v[32:33], v[14:15] op_sel:[0,1]
	v_pk_fma_f32 v[10:11], v[32:33], v[14:15], v[8:9] op_sel:[0,0,1] op_sel_hi:[1,1,0] neg_lo:[0,0,1] neg_hi:[0,0,1]
	v_pk_fma_f32 v[8:9], v[32:33], v[14:15], v[8:9] op_sel:[0,0,1] op_sel_hi:[1,0,0]
	v_mov_b32_e32 v11, v9
	v_pk_add_f32 v[8:9], v[36:37], v[10:11]
	v_mul_f32_e32 v10, v35, v25
	v_mul_f32_e32 v11, v34, v25
	v_add_f32_e32 v50, v50, v80
	v_fma_f32 v10, v34, v24, -v10
	v_fmac_f32_e32 v11, v35, v24
	v_add_f32_e32 v32, v50, v10
	v_add_f32_e32 v33, v51, v11
	v_mul_f32_e32 v10, v35, v27
	v_mul_f32_e32 v11, v34, v27
	v_fma_f32 v10, v34, v26, -v10
	v_fmac_f32_e32 v11, v35, v26
	v_add_f32_e32 v24, v48, v10
	v_add_f32_e32 v25, v49, v11
	v_mul_f32_e32 v10, v35, v29
	v_mul_f32_e32 v11, v34, v29
	v_fma_f32 v10, v34, v28, -v10
	v_fmac_f32_e32 v11, v35, v28
	v_add_f32_e32 v14, v12, v10
	v_add_f32_e32 v15, v13, v11
	v_pk_mul_f32 v[10:11], v[34:35], v[30:31] op_sel:[0,1]
	v_pk_fma_f32 v[12:13], v[34:35], v[30:31], v[10:11] op_sel:[0,0,1] op_sel_hi:[1,1,0] neg_lo:[0,0,1] neg_hi:[0,0,1]
	v_pk_fma_f32 v[10:11], v[34:35], v[30:31], v[10:11] op_sel:[0,0,1] op_sel_hi:[1,0,0]
	v_mov_b32_e32 v13, v11
	v_pk_add_f32 v[12:13], v[8:9], v[12:13]
	ds_read_b128 v[8:11], v55 offset:1552
	s_waitcnt lgkmcnt(0)
	s_barrier
	v_mul_f32_e32 v26, v9, v5
	v_mul_f32_e32 v5, v8, v5
	v_fma_f32 v26, v8, v4, -v26
	v_fmac_f32_e32 v5, v9, v4
	v_mul_f32_e32 v4, v9, v7
	v_add_f32_e32 v27, v33, v5
	v_fma_f32 v4, v8, v6, -v4
	v_mul_f32_e32 v5, v8, v7
	v_fmac_f32_e32 v5, v9, v6
	v_add_f32_e32 v6, v24, v4
	v_mul_f32_e32 v4, v9, v1
	v_mul_f32_e32 v1, v8, v1
	v_fmac_f32_e32 v1, v9, v0
	v_fma_f32 v4, v8, v0, -v4
	v_add_f32_e32 v15, v15, v1
	v_pk_mul_f32 v[0:1], v[8:9], v[2:3] op_sel:[0,1]
	v_add_f32_e32 v7, v25, v5
	v_add_f32_e32 v14, v14, v4
	v_pk_fma_f32 v[4:5], v[8:9], v[2:3], v[0:1] op_sel:[0,0,1] op_sel_hi:[1,1,0] neg_lo:[0,0,1] neg_hi:[0,0,1]
	v_pk_fma_f32 v[0:1], v[8:9], v[2:3], v[0:1] op_sel:[0,0,1] op_sel_hi:[1,0,0]
	v_mul_f32_e32 v2, v11, v21
	v_mul_f32_e32 v3, v10, v21
	v_add_f32_e32 v26, v32, v26
	v_fma_f32 v2, v10, v20, -v2
	v_fmac_f32_e32 v3, v11, v20
	v_add_f32_e32 v50, v26, v2
	v_add_f32_e32 v51, v27, v3
	v_mul_f32_e32 v2, v11, v23
	v_mul_f32_e32 v3, v10, v23
	v_fma_f32 v2, v10, v22, -v2
	v_fmac_f32_e32 v3, v11, v22
	v_add_f32_e32 v48, v6, v2
	v_add_f32_e32 v49, v7, v3
	v_mul_f32_e32 v2, v11, v17
	v_mul_f32_e32 v3, v10, v17
	v_fma_f32 v2, v10, v16, -v2
	v_fmac_f32_e32 v3, v11, v16
	v_mov_b32_e32 v5, v1
	v_add_f32_e32 v47, v14, v2
	v_add_f32_e32 v46, v15, v3
	v_pk_mul_f32 v[2:3], v[10:11], v[18:19] op_sel:[0,1]
	v_pk_add_f32 v[0:1], v[12:13], v[4:5]
	v_pk_fma_f32 v[4:5], v[10:11], v[18:19], v[2:3] op_sel:[0,0,1] op_sel_hi:[1,1,0] neg_lo:[0,0,1] neg_hi:[0,0,1]
	v_pk_fma_f32 v[2:3], v[10:11], v[18:19], v[2:3] op_sel:[0,0,1] op_sel_hi:[1,0,0]
	v_mov_b32_e32 v5, v3
	v_pk_add_f32 v[36:37], v[0:1], v[4:5]
	s_cbranch_vccnz .LBB235_2
	s_branch .LBB235_4
.LBB235_3:
	v_mov_b32_e32 v37, 0
	v_mov_b32_e32 v36, v37
	;; [unrolled: 1-line block ×32, first 2 shown]
.LBB235_4:
	s_lshl_b64 s[2:3], s[2:3], 3
	s_waitcnt lgkmcnt(0)
	s_add_u32 s8, s8, s2
	v_mov_b32_e32 v0, s29
	v_add_co_u32_e32 v4, vcc, s28, v45
	s_addc_u32 s9, s9, s3
	v_addc_co_u32_e32 v5, vcc, 0, v0, vcc
	s_or_b32 s2, s10, s11
	s_bitset0_b32 s2, 31
	v_mov_b32_e32 v1, s7
	v_add_co_u32_e32 v0, vcc, s6, v44
	s_cmp_lg_u32 s2, 0
	v_addc_co_u32_e32 v1, vcc, 0, v1, vcc
	s_mov_b32 s2, s15
	s_mov_b32 s3, s14
	s_cbranch_scc1 .LBB235_6
; %bb.5:
	v_mul_lo_u32 v6, v5, s0
	v_mul_lo_u32 v7, v4, s1
	v_mad_u64_u32 v[2:3], s[6:7], v4, s0, 0
	v_add3_u32 v3, v3, v7, v6
	v_lshlrev_b64 v[2:3], 3, v[2:3]
	v_mov_b32_e32 v6, s9
	v_add_co_u32_e32 v8, vcc, s8, v2
	v_addc_co_u32_e32 v9, vcc, v6, v3, vcc
	v_lshlrev_b64 v[6:7], 3, v[0:1]
	v_mul_f32_e32 v2, s15, v79
	v_mul_f32_e32 v3, s14, v79
	v_add_co_u32_e32 v6, vcc, v8, v6
	v_fma_f32 v2, v78, s14, -v2
	v_fmac_f32_e32 v3, s15, v78
	v_addc_co_u32_e32 v7, vcc, v9, v7, vcc
	global_store_dwordx2 v[6:7], v[2:3], off
	v_mul_f32_e32 v2, s15, v77
	v_mul_f32_e32 v3, s14, v77
	v_fma_f32 v2, v76, s14, -v2
	v_fmac_f32_e32 v3, s15, v76
	global_store_dwordx2 v[6:7], v[2:3], off offset:128
	v_mul_f32_e32 v2, s15, v75
	v_mul_f32_e32 v3, s14, v75
	v_fma_f32 v2, v74, s14, -v2
	v_fmac_f32_e32 v3, s15, v74
	global_store_dwordx2 v[6:7], v[2:3], off offset:256
	v_mul_f32_e32 v2, s15, v73
	v_mul_f32_e32 v3, s14, v73
	v_fma_f32 v2, v72, s14, -v2
	v_fmac_f32_e32 v3, s15, v72
	s_lshl_b64 s[6:7], s[0:1], 7
	global_store_dwordx2 v[6:7], v[2:3], off offset:384
	v_mul_f32_e32 v2, s15, v71
	v_mul_f32_e32 v3, s14, v71
	v_mov_b32_e32 v9, s7
	v_add_co_u32_e32 v6, vcc, s6, v6
	v_fma_f32 v2, v70, s14, -v2
	v_fmac_f32_e32 v3, s15, v70
	v_addc_co_u32_e32 v7, vcc, v7, v9, vcc
	global_store_dwordx2 v[6:7], v[2:3], off
	v_mul_f32_e32 v2, s15, v69
	v_mul_f32_e32 v3, s14, v69
	v_fma_f32 v2, v68, s14, -v2
	v_fmac_f32_e32 v3, s15, v68
	global_store_dwordx2 v[6:7], v[2:3], off offset:128
	v_mul_f32_e32 v2, s15, v67
	v_mul_f32_e32 v3, s14, v67
	v_fma_f32 v2, v66, s14, -v2
	v_fmac_f32_e32 v3, s15, v66
	global_store_dwordx2 v[6:7], v[2:3], off offset:256
	;; [unrolled: 5-line block ×3, first 2 shown]
	v_mul_f32_e32 v2, s15, v63
	v_mul_f32_e32 v3, s14, v63
	v_add_co_u32_e32 v6, vcc, s6, v6
	v_fma_f32 v2, v62, s14, -v2
	v_fmac_f32_e32 v3, s15, v62
	v_addc_co_u32_e32 v7, vcc, v7, v9, vcc
	global_store_dwordx2 v[6:7], v[2:3], off
	v_mul_f32_e32 v2, s15, v61
	v_mul_f32_e32 v3, s14, v61
	v_fma_f32 v2, v60, s14, -v2
	v_fmac_f32_e32 v3, s15, v60
	global_store_dwordx2 v[6:7], v[2:3], off offset:128
	v_mul_f32_e32 v2, s15, v59
	v_mul_f32_e32 v3, s14, v59
	v_fma_f32 v2, v58, s14, -v2
	v_fmac_f32_e32 v3, s15, v58
	global_store_dwordx2 v[6:7], v[2:3], off offset:256
	;; [unrolled: 5-line block ×3, first 2 shown]
	v_mul_f32_e32 v2, s15, v51
	v_mul_f32_e32 v3, s14, v51
	v_add_co_u32_e32 v8, vcc, s6, v6
	v_fma_f32 v2, v50, s14, -v2
	v_fmac_f32_e32 v3, s15, v50
	v_addc_co_u32_e32 v9, vcc, v7, v9, vcc
	global_store_dwordx2 v[8:9], v[2:3], off
	v_mul_f32_e32 v2, s15, v49
	v_mul_f32_e32 v3, s14, v49
	v_fma_f32 v2, v48, s14, -v2
	v_fmac_f32_e32 v3, s15, v48
	global_store_dwordx2 v[8:9], v[2:3], off offset:128
	v_mul_f32_e32 v2, s15, v46
	v_mul_f32_e32 v3, s14, v46
	v_fma_f32 v2, v47, s14, -v2
	v_fmac_f32_e32 v3, s15, v47
	global_store_dwordx2 v[8:9], v[2:3], off offset:256
	v_mul_f32_e32 v2, s3, v36
	v_fma_f32 v7, -v37, s2, v2
	v_pk_mul_f32 v[2:3], v[36:37], s[2:3]
	v_add_f32_e32 v6, v2, v3
	v_add_co_u32_e32 v2, vcc, 0x180, v8
	v_addc_co_u32_e32 v3, vcc, 0, v9, vcc
	global_store_dword v[8:9], v7, off offset:384
	s_cbranch_execz .LBB235_7
	s_branch .LBB235_8
.LBB235_6:
                                        ; implicit-def: $vgpr6
                                        ; implicit-def: $vgpr2_vgpr3
.LBB235_7:
	s_lshl_b64 s[6:7], s[40:41], 3
	s_add_u32 s6, s4, s6
	s_addc_u32 s7, s5, s7
	v_mul_lo_u32 v6, v5, s38
	v_mul_lo_u32 v7, v4, s39
	v_mad_u64_u32 v[2:3], s[4:5], v4, s38, 0
	v_add3_u32 v3, v3, v7, v6
	v_lshlrev_b64 v[2:3], 3, v[2:3]
	v_mov_b32_e32 v6, s7
	v_add_co_u32_e32 v2, vcc, s6, v2
	v_addc_co_u32_e32 v3, vcc, v6, v3, vcc
	v_lshlrev_b64 v[0:1], 3, v[0:1]
	v_add_co_u32_e32 v2, vcc, v2, v0
	v_addc_co_u32_e32 v3, vcc, v3, v1, vcc
	global_load_dwordx2 v[6:7], v[2:3], off
	v_mul_lo_u32 v8, v5, s0
	v_mul_lo_u32 v9, v4, s1
	v_mad_u64_u32 v[4:5], s[4:5], v4, s0, 0
	v_add3_u32 v5, v5, v9, v8
	v_lshlrev_b64 v[4:5], 3, v[4:5]
	v_mov_b32_e32 v10, s9
	v_add_co_u32_e32 v4, vcc, s8, v4
	v_addc_co_u32_e32 v5, vcc, v10, v5, vcc
	v_add_co_u32_e32 v0, vcc, v4, v0
	v_mul_f32_e32 v11, s15, v79
	v_mul_f32_e32 v12, s14, v79
	v_addc_co_u32_e32 v1, vcc, v5, v1, vcc
	v_fma_f32 v8, v78, s14, -v11
	v_fmac_f32_e32 v12, s15, v78
	s_lshl_b64 s[4:5], s[38:39], 7
	s_lshl_b64 s[0:1], s[0:1], 7
	s_waitcnt vmcnt(0)
	v_mul_f32_e32 v4, s11, v7
	v_mul_f32_e32 v5, s10, v7
	v_fma_f32 v4, v6, s10, -v4
	v_fmac_f32_e32 v5, s11, v6
	v_add_f32_e32 v4, v8, v4
	v_add_f32_e32 v5, v12, v5
	global_store_dwordx2 v[0:1], v[4:5], off
	global_load_dwordx2 v[4:5], v[2:3], off offset:128
	v_mul_f32_e32 v6, s15, v77
	v_mul_f32_e32 v7, s14, v77
	v_fma_f32 v6, v76, s14, -v6
	v_fmac_f32_e32 v7, s15, v76
	s_waitcnt vmcnt(0)
	v_mul_f32_e32 v8, s11, v5
	v_mul_f32_e32 v5, s10, v5
	v_fma_f32 v8, v4, s10, -v8
	v_fmac_f32_e32 v5, s11, v4
	v_add_f32_e32 v4, v6, v8
	v_add_f32_e32 v5, v7, v5
	global_store_dwordx2 v[0:1], v[4:5], off offset:128
	global_load_dwordx2 v[4:5], v[2:3], off offset:256
	v_mul_f32_e32 v6, s15, v75
	v_mul_f32_e32 v7, s14, v75
	v_fma_f32 v6, v74, s14, -v6
	v_fmac_f32_e32 v7, s15, v74
	s_waitcnt vmcnt(0)
	v_mul_f32_e32 v8, s11, v5
	v_mul_f32_e32 v5, s10, v5
	v_fma_f32 v8, v4, s10, -v8
	v_fmac_f32_e32 v5, s11, v4
	v_add_f32_e32 v4, v6, v8
	v_add_f32_e32 v5, v7, v5
	global_store_dwordx2 v[0:1], v[4:5], off offset:256
	global_load_dwordx2 v[4:5], v[2:3], off offset:384
	v_mul_f32_e32 v6, s15, v73
	v_mul_f32_e32 v7, s14, v73
	v_fma_f32 v6, v72, s14, -v6
	v_fmac_f32_e32 v7, s15, v72
	v_mov_b32_e32 v8, s5
	v_add_co_u32_e32 v2, vcc, s4, v2
	v_addc_co_u32_e32 v3, vcc, v3, v8, vcc
	s_waitcnt vmcnt(0)
	v_mul_f32_e32 v9, s11, v5
	v_mul_f32_e32 v5, s10, v5
	v_fma_f32 v9, v4, s10, -v9
	v_fmac_f32_e32 v5, s11, v4
	v_add_f32_e32 v4, v6, v9
	v_add_f32_e32 v5, v7, v5
	global_store_dwordx2 v[0:1], v[4:5], off offset:384
	global_load_dwordx2 v[4:5], v[2:3], off
	v_mul_f32_e32 v6, s15, v71
	v_mul_f32_e32 v7, s14, v71
	v_fma_f32 v6, v70, s14, -v6
	v_fmac_f32_e32 v7, s15, v70
	v_mov_b32_e32 v9, s1
	v_add_co_u32_e32 v0, vcc, s0, v0
	v_addc_co_u32_e32 v1, vcc, v1, v9, vcc
	s_waitcnt vmcnt(0)
	v_mul_f32_e32 v10, s11, v5
	v_mul_f32_e32 v5, s10, v5
	v_fma_f32 v10, v4, s10, -v10
	v_fmac_f32_e32 v5, s11, v4
	v_add_f32_e32 v4, v6, v10
	v_add_f32_e32 v5, v7, v5
	global_store_dwordx2 v[0:1], v[4:5], off
	global_load_dwordx2 v[4:5], v[2:3], off offset:128
	v_mul_f32_e32 v6, s15, v69
	v_mul_f32_e32 v7, s14, v69
	v_fma_f32 v6, v68, s14, -v6
	v_fmac_f32_e32 v7, s15, v68
	s_waitcnt vmcnt(0)
	v_mul_f32_e32 v10, s11, v5
	v_mul_f32_e32 v5, s10, v5
	v_fma_f32 v10, v4, s10, -v10
	v_fmac_f32_e32 v5, s11, v4
	v_add_f32_e32 v4, v6, v10
	v_add_f32_e32 v5, v7, v5
	global_store_dwordx2 v[0:1], v[4:5], off offset:128
	global_load_dwordx2 v[4:5], v[2:3], off offset:256
	v_mul_f32_e32 v6, s15, v67
	v_mul_f32_e32 v7, s14, v67
	v_fma_f32 v6, v66, s14, -v6
	v_fmac_f32_e32 v7, s15, v66
	s_waitcnt vmcnt(0)
	v_mul_f32_e32 v10, s11, v5
	v_mul_f32_e32 v5, s10, v5
	v_fma_f32 v10, v4, s10, -v10
	v_fmac_f32_e32 v5, s11, v4
	v_add_f32_e32 v4, v6, v10
	v_add_f32_e32 v5, v7, v5
	global_store_dwordx2 v[0:1], v[4:5], off offset:256
	global_load_dwordx2 v[4:5], v[2:3], off offset:384
	v_mul_f32_e32 v6, s15, v65
	v_mul_f32_e32 v7, s14, v65
	v_fma_f32 v6, v64, s14, -v6
	v_fmac_f32_e32 v7, s15, v64
	v_add_co_u32_e32 v2, vcc, s4, v2
	v_addc_co_u32_e32 v3, vcc, v3, v8, vcc
	s_waitcnt vmcnt(0)
	v_mul_f32_e32 v10, s11, v5
	v_mul_f32_e32 v5, s10, v5
	v_fma_f32 v10, v4, s10, -v10
	v_fmac_f32_e32 v5, s11, v4
	v_add_f32_e32 v4, v6, v10
	v_add_f32_e32 v5, v7, v5
	global_store_dwordx2 v[0:1], v[4:5], off offset:384
	global_load_dwordx2 v[4:5], v[2:3], off
	v_mul_f32_e32 v6, s15, v63
	v_mul_f32_e32 v7, s14, v63
	v_fma_f32 v6, v62, s14, -v6
	v_fmac_f32_e32 v7, s15, v62
	v_add_co_u32_e32 v0, vcc, s0, v0
	v_addc_co_u32_e32 v1, vcc, v1, v9, vcc
	s_waitcnt vmcnt(0)
	v_mul_f32_e32 v10, s11, v5
	v_mul_f32_e32 v5, s10, v5
	v_fma_f32 v10, v4, s10, -v10
	v_fmac_f32_e32 v5, s11, v4
	v_add_f32_e32 v4, v6, v10
	v_add_f32_e32 v5, v7, v5
	global_store_dwordx2 v[0:1], v[4:5], off
	global_load_dwordx2 v[4:5], v[2:3], off offset:128
	v_mul_f32_e32 v6, s15, v61
	v_mul_f32_e32 v7, s14, v61
	v_fma_f32 v6, v60, s14, -v6
	v_fmac_f32_e32 v7, s15, v60
	s_waitcnt vmcnt(0)
	v_mul_f32_e32 v10, s11, v5
	v_mul_f32_e32 v5, s10, v5
	v_fma_f32 v10, v4, s10, -v10
	v_fmac_f32_e32 v5, s11, v4
	v_add_f32_e32 v4, v6, v10
	v_add_f32_e32 v5, v7, v5
	global_store_dwordx2 v[0:1], v[4:5], off offset:128
	global_load_dwordx2 v[4:5], v[2:3], off offset:256
	v_mul_f32_e32 v6, s15, v59
	v_mul_f32_e32 v7, s14, v59
	v_fma_f32 v6, v58, s14, -v6
	v_fmac_f32_e32 v7, s15, v58
	s_waitcnt vmcnt(0)
	v_mul_f32_e32 v10, s11, v5
	v_mul_f32_e32 v5, s10, v5
	v_fma_f32 v10, v4, s10, -v10
	v_fmac_f32_e32 v5, s11, v4
	v_add_f32_e32 v4, v6, v10
	v_add_f32_e32 v5, v7, v5
	global_store_dwordx2 v[0:1], v[4:5], off offset:256
	global_load_dwordx2 v[4:5], v[2:3], off offset:384
	v_add_co_u32_e32 v2, vcc, s4, v2
	v_mul_f32_e32 v6, s15, v57
	v_mul_f32_e32 v7, s14, v57
	v_addc_co_u32_e32 v3, vcc, v3, v8, vcc
	v_fma_f32 v6, v56, s14, -v6
	v_fmac_f32_e32 v7, s15, v56
	s_waitcnt vmcnt(0)
	v_mul_f32_e32 v8, s11, v5
	v_mul_f32_e32 v5, s10, v5
	v_fma_f32 v8, v4, s10, -v8
	v_fmac_f32_e32 v5, s11, v4
	v_add_f32_e32 v4, v6, v8
	v_add_f32_e32 v5, v7, v5
	global_store_dwordx2 v[0:1], v[4:5], off offset:384
	global_load_dwordx2 v[4:5], v[2:3], off
	v_mul_f32_e32 v6, s15, v51
	v_mul_f32_e32 v7, s14, v51
	v_fma_f32 v6, v50, s14, -v6
	v_fmac_f32_e32 v7, s15, v50
	v_add_co_u32_e32 v0, vcc, s0, v0
	v_addc_co_u32_e32 v1, vcc, v1, v9, vcc
	s_waitcnt vmcnt(0)
	v_mul_f32_e32 v8, s11, v5
	v_mul_f32_e32 v5, s10, v5
	v_fma_f32 v8, v4, s10, -v8
	v_fmac_f32_e32 v5, s11, v4
	v_add_f32_e32 v4, v6, v8
	v_add_f32_e32 v5, v7, v5
	global_store_dwordx2 v[0:1], v[4:5], off
	global_load_dwordx2 v[4:5], v[2:3], off offset:128
	v_mul_f32_e32 v6, s15, v49
	v_mul_f32_e32 v7, s14, v49
	v_fma_f32 v6, v48, s14, -v6
	v_fmac_f32_e32 v7, s15, v48
	s_waitcnt vmcnt(0)
	v_mul_f32_e32 v8, s11, v5
	v_mul_f32_e32 v5, s10, v5
	v_fma_f32 v8, v4, s10, -v8
	v_fmac_f32_e32 v5, s11, v4
	v_add_f32_e32 v4, v6, v8
	v_add_f32_e32 v5, v7, v5
	global_store_dwordx2 v[0:1], v[4:5], off offset:128
	global_load_dwordx2 v[4:5], v[2:3], off offset:256
	v_mul_f32_e32 v6, s15, v46
	v_mul_f32_e32 v7, s14, v46
	v_fma_f32 v6, v47, s14, -v6
	v_fmac_f32_e32 v7, s15, v47
	s_waitcnt vmcnt(0)
	v_mul_f32_e32 v8, s11, v5
	v_mul_f32_e32 v5, s10, v5
	v_fma_f32 v8, v4, s10, -v8
	v_fmac_f32_e32 v5, s11, v4
	v_add_f32_e32 v4, v6, v8
	v_add_f32_e32 v5, v7, v5
	global_store_dwordx2 v[0:1], v[4:5], off offset:256
	global_load_dwordx2 v[4:5], v[2:3], off offset:384
	v_mul_f32_e32 v6, s3, v36
	v_pk_mul_f32 v[2:3], v[36:37], s[2:3]
	v_fma_f32 v8, -v37, s2, v6
	v_add_f32_e32 v3, v2, v3
	v_add_co_u32_e32 v2, vcc, 0x180, v0
	s_waitcnt vmcnt(0)
	v_pk_mul_f32 v[6:7], v[4:5], s[10:11] op_sel:[0,1] op_sel_hi:[1,0]
	v_mul_f32_e32 v4, s10, v4
	v_fma_f32 v4, -v5, s11, v4
	v_add_f32_e32 v5, v6, v7
	v_add_f32_e32 v4, v8, v4
	;; [unrolled: 1-line block ×3, first 2 shown]
	v_addc_co_u32_e32 v3, vcc, 0, v1, vcc
	global_store_dword v[0:1], v4, off offset:384
.LBB235_8:
	global_store_dword v[2:3], v6, off offset:4
	s_endpgm
	.section	.rodata,"a",@progbits
	.p2align	6, 0x0
	.amdhsa_kernel _ZN12_GLOBAL__N_127rocblas_gemm_batched_kernelI19rocblas_complex_numIfELi16ELi16ELi64ELi64ELi4ELi64ELi4ELi4ELi64ELc84ELc78EKPKS2_S5_KPS2_EEvlllT_PT11_llSA_llS8_PT12_llPT13_lli
		.amdhsa_group_segment_fixed_size 4096
		.amdhsa_private_segment_fixed_size 0
		.amdhsa_kernarg_size 140
		.amdhsa_user_sgpr_count 6
		.amdhsa_user_sgpr_private_segment_buffer 1
		.amdhsa_user_sgpr_dispatch_ptr 0
		.amdhsa_user_sgpr_queue_ptr 0
		.amdhsa_user_sgpr_kernarg_segment_ptr 1
		.amdhsa_user_sgpr_dispatch_id 0
		.amdhsa_user_sgpr_flat_scratch_init 0
		.amdhsa_user_sgpr_kernarg_preload_length 0
		.amdhsa_user_sgpr_kernarg_preload_offset 0
		.amdhsa_user_sgpr_private_segment_size 0
		.amdhsa_uses_dynamic_stack 0
		.amdhsa_system_sgpr_private_segment_wavefront_offset 0
		.amdhsa_system_sgpr_workgroup_id_x 1
		.amdhsa_system_sgpr_workgroup_id_y 1
		.amdhsa_system_sgpr_workgroup_id_z 1
		.amdhsa_system_sgpr_workgroup_info 0
		.amdhsa_system_vgpr_workitem_id 1
		.amdhsa_next_free_vgpr 88
		.amdhsa_next_free_sgpr 44
		.amdhsa_accum_offset 88
		.amdhsa_reserve_vcc 1
		.amdhsa_reserve_flat_scratch 0
		.amdhsa_float_round_mode_32 0
		.amdhsa_float_round_mode_16_64 0
		.amdhsa_float_denorm_mode_32 3
		.amdhsa_float_denorm_mode_16_64 3
		.amdhsa_dx10_clamp 1
		.amdhsa_ieee_mode 1
		.amdhsa_fp16_overflow 0
		.amdhsa_tg_split 0
		.amdhsa_exception_fp_ieee_invalid_op 0
		.amdhsa_exception_fp_denorm_src 0
		.amdhsa_exception_fp_ieee_div_zero 0
		.amdhsa_exception_fp_ieee_overflow 0
		.amdhsa_exception_fp_ieee_underflow 0
		.amdhsa_exception_fp_ieee_inexact 0
		.amdhsa_exception_int_div_zero 0
	.end_amdhsa_kernel
	.section	.text._ZN12_GLOBAL__N_127rocblas_gemm_batched_kernelI19rocblas_complex_numIfELi16ELi16ELi64ELi64ELi4ELi64ELi4ELi4ELi64ELc84ELc78EKPKS2_S5_KPS2_EEvlllT_PT11_llSA_llS8_PT12_llPT13_lli,"axG",@progbits,_ZN12_GLOBAL__N_127rocblas_gemm_batched_kernelI19rocblas_complex_numIfELi16ELi16ELi64ELi64ELi4ELi64ELi4ELi4ELi64ELc84ELc78EKPKS2_S5_KPS2_EEvlllT_PT11_llSA_llS8_PT12_llPT13_lli,comdat
.Lfunc_end235:
	.size	_ZN12_GLOBAL__N_127rocblas_gemm_batched_kernelI19rocblas_complex_numIfELi16ELi16ELi64ELi64ELi4ELi64ELi4ELi4ELi64ELc84ELc78EKPKS2_S5_KPS2_EEvlllT_PT11_llSA_llS8_PT12_llPT13_lli, .Lfunc_end235-_ZN12_GLOBAL__N_127rocblas_gemm_batched_kernelI19rocblas_complex_numIfELi16ELi16ELi64ELi64ELi4ELi64ELi4ELi4ELi64ELc84ELc78EKPKS2_S5_KPS2_EEvlllT_PT11_llSA_llS8_PT12_llPT13_lli
                                        ; -- End function
	.section	.AMDGPU.csdata,"",@progbits
; Kernel info:
; codeLenInByte = 4748
; NumSgprs: 48
; NumVgprs: 88
; NumAgprs: 0
; TotalNumVgprs: 88
; ScratchSize: 0
; MemoryBound: 0
; FloatMode: 240
; IeeeMode: 1
; LDSByteSize: 4096 bytes/workgroup (compile time only)
; SGPRBlocks: 5
; VGPRBlocks: 10
; NumSGPRsForWavesPerEU: 48
; NumVGPRsForWavesPerEU: 88
; AccumOffset: 88
; Occupancy: 5
; WaveLimiterHint : 1
; COMPUTE_PGM_RSRC2:SCRATCH_EN: 0
; COMPUTE_PGM_RSRC2:USER_SGPR: 6
; COMPUTE_PGM_RSRC2:TRAP_HANDLER: 0
; COMPUTE_PGM_RSRC2:TGID_X_EN: 1
; COMPUTE_PGM_RSRC2:TGID_Y_EN: 1
; COMPUTE_PGM_RSRC2:TGID_Z_EN: 1
; COMPUTE_PGM_RSRC2:TIDIG_COMP_CNT: 1
; COMPUTE_PGM_RSRC3_GFX90A:ACCUM_OFFSET: 21
; COMPUTE_PGM_RSRC3_GFX90A:TG_SPLIT: 0
	.section	.text._ZN12_GLOBAL__N_127rocblas_gemm_batched_kernelI19rocblas_complex_numIfELi16ELi16ELi64ELi64ELi4ELi64ELi4ELi4ELi64ELc78ELc84EKPKS2_S5_KPS2_EEvlllT_PT11_llSA_llS8_PT12_llPT13_lli,"axG",@progbits,_ZN12_GLOBAL__N_127rocblas_gemm_batched_kernelI19rocblas_complex_numIfELi16ELi16ELi64ELi64ELi4ELi64ELi4ELi4ELi64ELc78ELc84EKPKS2_S5_KPS2_EEvlllT_PT11_llSA_llS8_PT12_llPT13_lli,comdat
	.globl	_ZN12_GLOBAL__N_127rocblas_gemm_batched_kernelI19rocblas_complex_numIfELi16ELi16ELi64ELi64ELi4ELi64ELi4ELi4ELi64ELc78ELc84EKPKS2_S5_KPS2_EEvlllT_PT11_llSA_llS8_PT12_llPT13_lli ; -- Begin function _ZN12_GLOBAL__N_127rocblas_gemm_batched_kernelI19rocblas_complex_numIfELi16ELi16ELi64ELi64ELi4ELi64ELi4ELi4ELi64ELc78ELc84EKPKS2_S5_KPS2_EEvlllT_PT11_llSA_llS8_PT12_llPT13_lli
	.p2align	8
	.type	_ZN12_GLOBAL__N_127rocblas_gemm_batched_kernelI19rocblas_complex_numIfELi16ELi16ELi64ELi64ELi4ELi64ELi4ELi4ELi64ELc78ELc84EKPKS2_S5_KPS2_EEvlllT_PT11_llSA_llS8_PT12_llPT13_lli,@function
_ZN12_GLOBAL__N_127rocblas_gemm_batched_kernelI19rocblas_complex_numIfELi16ELi16ELi64ELi64ELi4ELi64ELi4ELi4ELi64ELc78ELc84EKPKS2_S5_KPS2_EEvlllT_PT11_llSA_llS8_PT12_llPT13_lli: ; @_ZN12_GLOBAL__N_127rocblas_gemm_batched_kernelI19rocblas_complex_numIfELi16ELi16ELi64ELi64ELi4ELi64ELi4ELi4ELi64ELc78ELc84EKPKS2_S5_KPS2_EEvlllT_PT11_llSA_llS8_PT12_llPT13_lli
; %bb.0:
	s_load_dwordx16 s[12:27], s[4:5], 0x10
	s_load_dwordx4 s[0:3], s[4:5], 0x78
	s_load_dwordx8 s[36:43], s[4:5], 0x58
	s_load_dwordx2 s[10:11], s[4:5], 0x50
	s_mov_b32 s9, 0
	s_lshl_b64 s[30:31], s[8:9], 3
	s_mov_b32 s28, s7
	s_waitcnt lgkmcnt(0)
	s_add_u32 s4, s36, s30
	s_addc_u32 s5, s37, s31
	s_add_u32 s8, s42, s30
	s_addc_u32 s9, s43, s31
	s_load_dwordx2 s[4:5], s[4:5], 0x0
	s_ashr_i32 s7, s6, 31
	s_load_dwordx2 s[8:9], s[8:9], 0x0
	s_ashr_i32 s29, s28, 31
	v_cmp_lt_i64_e64 s[34:35], s[12:13], 1
	v_bfe_u32 v45, v0, 10, 10
	v_and_b32_e32 v44, 0x3ff, v0
	s_lshl_b64 s[6:7], s[6:7], 6
	s_lshl_b64 s[28:29], s[28:29], 6
	s_and_b64 vcc, exec, s[34:35]
	s_cbranch_vccnz .LBB236_3
; %bb.1:
	v_lshl_add_u32 v4, v45, 4, v44
	s_add_u32 s16, s16, s30
	v_lshrrev_b32_e32 v5, 2, v4
	s_addc_u32 s17, s17, s31
	v_mov_b32_e32 v1, s29
	v_add_co_u32_e32 v0, vcc, s28, v5
	s_add_u32 s22, s22, s30
	v_addc_co_u32_e32 v1, vcc, 0, v1, vcc
	v_and_b32_e32 v6, 3, v44
	s_addc_u32 s23, s23, s31
	v_mad_u64_u32 v[0:1], s[30:31], v6, s24, v[0:1]
	v_mov_b32_e32 v2, v1
	v_mad_u64_u32 v[2:3], s[30:31], v6, s25, v[2:3]
	v_and_b32_e32 v7, 63, v4
	v_mov_b32_e32 v1, v2
	v_lshrrev_b32_e32 v8, 6, v4
	v_lshlrev_b32_e32 v2, 3, v7
	v_lshl_or_b32 v52, v8, 9, v2
	v_lshlrev_b32_e32 v2, 3, v6
	v_lshl_or_b32 v2, v5, 5, v2
	v_add_u32_e32 v53, 0x800, v2
	v_mov_b32_e32 v2, 0x800
	s_load_dwordx2 s[16:17], s[16:17], 0x0
	v_lshl_add_u32 v55, v45, 5, v2
	v_pk_mov_b32 v[2:3], s[6:7], s[6:7] op_sel:[0,1]
	v_mad_u64_u32 v[2:3], s[30:31], v8, s18, v[2:3]
	v_mov_b32_e32 v4, v3
	s_load_dwordx2 s[22:23], s[22:23], 0x0
	v_mad_u64_u32 v[4:5], s[30:31], v8, s19, v[4:5]
	s_lshl_b64 s[20:21], s[20:21], 3
	v_mov_b32_e32 v3, v4
	v_add_co_u32_e32 v2, vcc, v2, v7
	v_addc_co_u32_e32 v3, vcc, 0, v3, vcc
	s_waitcnt lgkmcnt(0)
	s_add_u32 s16, s16, s20
	v_lshlrev_b64 v[2:3], 3, v[2:3]
	s_addc_u32 s17, s17, s21
	v_mov_b32_e32 v4, s17
	v_add_co_u32_e32 v38, vcc, s16, v2
	s_lshl_b64 s[16:17], s[18:19], 5
	s_lshl_b64 s[18:19], s[26:27], 3
	s_add_u32 s18, s22, s18
	v_addc_co_u32_e32 v39, vcc, v4, v3, vcc
	v_lshlrev_b64 v[0:1], 3, v[0:1]
	s_addc_u32 s19, s23, s19
	v_mov_b32_e32 v2, s19
	v_add_co_u32_e32 v40, vcc, s18, v0
	s_lshl_b64 s[18:19], s[24:25], 5
	v_mov_b32_e32 v46, 0
	v_lshlrev_b32_e32 v54, 3, v44
	v_addc_co_u32_e32 v41, vcc, v2, v1, vcc
	s_mov_b64 s[20:21], 0
	v_mov_b32_e32 v56, s17
	v_mov_b32_e32 v57, s19
	v_pk_mov_b32 v[42:43], s[12:13], s[12:13] op_sel:[0,1]
	v_mov_b32_e32 v47, 0
	v_mov_b32_e32 v49, 0
	;; [unrolled: 1-line block ×31, first 2 shown]
.LBB236_2:                              ; =>This Inner Loop Header: Depth=1
	global_load_dwordx2 v[0:1], v[38:39], off
	v_add_co_u32_e32 v38, vcc, s16, v38
	v_addc_co_u32_e32 v39, vcc, v39, v56, vcc
	s_add_u32 s20, s20, 4
	s_addc_u32 s21, s21, 0
	s_waitcnt vmcnt(0)
	ds_write_b64 v52, v[0:1]
	global_load_dwordx2 v[0:1], v[40:41], off
	v_add_co_u32_e32 v40, vcc, s18, v40
	v_addc_co_u32_e32 v41, vcc, v41, v57, vcc
	v_cmp_lt_i64_e32 vcc, s[20:21], v[42:43]
	s_and_b64 vcc, exec, vcc
	s_waitcnt vmcnt(0)
	ds_write_b64 v53, v[0:1]
	s_waitcnt lgkmcnt(0)
	s_barrier
	ds_read_b128 v[0:3], v55
	ds_read_b128 v[32:35], v55 offset:16
	ds_read2_b64 v[8:11], v54 offset1:16
	ds_read2_b64 v[12:15], v54 offset0:32 offset1:48
	s_waitcnt lgkmcnt(1)
	v_mul_f32_e32 v4, v1, v9
	v_fma_f32 v4, v0, v8, -v4
	v_mul_f32_e32 v5, v0, v9
	v_add_f32_e32 v20, v80, v4
	v_mul_f32_e32 v4, v1, v11
	v_fmac_f32_e32 v5, v1, v8
	v_fma_f32 v4, v0, v10, -v4
	v_add_f32_e32 v21, v81, v5
	v_mul_f32_e32 v5, v0, v11
	v_add_f32_e32 v22, v78, v4
	s_waitcnt lgkmcnt(0)
	v_mul_f32_e32 v4, v1, v13
	v_fmac_f32_e32 v5, v1, v10
	v_fma_f32 v4, v0, v12, -v4
	v_add_f32_e32 v23, v79, v5
	v_mul_f32_e32 v5, v0, v13
	v_add_f32_e32 v76, v76, v4
	v_mul_f32_e32 v4, v1, v15
	v_fmac_f32_e32 v5, v1, v12
	v_fma_f32 v4, v0, v14, -v4
	v_mul_f32_e32 v0, v0, v15
	v_add_f32_e32 v77, v77, v5
	v_fmac_f32_e32 v0, v1, v14
	v_add_f32_e32 v1, v74, v4
	ds_read_b128 v[4:7], v55 offset:512
	ds_read_b128 v[80:83], v55 offset:1040
	v_add_f32_e32 v0, v75, v0
	s_waitcnt lgkmcnt(1)
	v_mul_f32_e32 v16, v5, v9
	v_fma_f32 v16, v4, v8, -v16
	v_mul_f32_e32 v17, v4, v9
	v_add_f32_e32 v72, v72, v16
	v_mul_f32_e32 v16, v5, v11
	v_fmac_f32_e32 v17, v5, v8
	v_fma_f32 v16, v4, v10, -v16
	v_add_f32_e32 v73, v73, v17
	v_mul_f32_e32 v17, v4, v11
	v_add_f32_e32 v70, v70, v16
	v_mul_f32_e32 v16, v5, v13
	v_fmac_f32_e32 v17, v5, v10
	v_fma_f32 v16, v4, v12, -v16
	v_add_f32_e32 v71, v71, v17
	v_mul_f32_e32 v17, v4, v13
	v_add_f32_e32 v68, v68, v16
	v_mul_f32_e32 v16, v5, v15
	v_fmac_f32_e32 v17, v5, v12
	v_fma_f32 v16, v4, v14, -v16
	v_mul_f32_e32 v4, v4, v15
	v_add_f32_e32 v69, v69, v17
	v_fmac_f32_e32 v4, v5, v14
	v_add_f32_e32 v5, v66, v16
	ds_read_b128 v[16:19], v55 offset:1024
	v_add_f32_e32 v4, v67, v4
	s_waitcnt lgkmcnt(0)
	v_mul_f32_e32 v24, v17, v9
	v_fma_f32 v24, v16, v8, -v24
	v_mul_f32_e32 v25, v16, v9
	v_add_f32_e32 v64, v64, v24
	v_mul_f32_e32 v24, v17, v11
	v_fmac_f32_e32 v25, v17, v8
	v_fma_f32 v24, v16, v10, -v24
	v_add_f32_e32 v65, v65, v25
	v_mul_f32_e32 v25, v16, v11
	v_add_f32_e32 v62, v62, v24
	v_mul_f32_e32 v24, v17, v13
	v_fmac_f32_e32 v25, v17, v10
	v_fma_f32 v24, v16, v12, -v24
	v_add_f32_e32 v63, v63, v25
	v_mul_f32_e32 v25, v16, v13
	v_add_f32_e32 v60, v60, v24
	v_mul_f32_e32 v24, v17, v15
	v_fmac_f32_e32 v25, v17, v12
	v_fma_f32 v24, v16, v14, -v24
	v_mul_f32_e32 v16, v16, v15
	v_add_f32_e32 v61, v61, v25
	v_fmac_f32_e32 v16, v17, v14
	v_add_f32_e32 v17, v58, v24
	ds_read2_b64 v[24:27], v54 offset0:64 offset1:80
	v_add_f32_e32 v16, v59, v16
	s_waitcnt lgkmcnt(0)
	v_mul_f32_e32 v28, v3, v25
	v_mul_f32_e32 v29, v2, v25
	v_fma_f32 v28, v2, v24, -v28
	v_fmac_f32_e32 v29, v3, v24
	v_add_f32_e32 v20, v20, v28
	v_add_f32_e32 v21, v21, v29
	v_mul_f32_e32 v28, v3, v27
	v_mul_f32_e32 v29, v2, v27
	v_fma_f32 v28, v2, v26, -v28
	v_fmac_f32_e32 v29, v3, v26
	v_add_f32_e32 v22, v22, v28
	v_add_f32_e32 v23, v23, v29
	ds_read2_b64 v[28:31], v54 offset0:96 offset1:112
	s_waitcnt lgkmcnt(0)
	v_mul_f32_e32 v58, v3, v29
	v_mul_f32_e32 v66, v3, v31
	v_fma_f32 v58, v2, v28, -v58
	v_mul_f32_e32 v59, v2, v29
	v_fma_f32 v66, v2, v30, -v66
	v_mul_f32_e32 v2, v2, v31
	v_fmac_f32_e32 v2, v3, v30
	v_add_f32_e32 v66, v1, v66
	v_add_f32_e32 v67, v0, v2
	v_mul_f32_e32 v0, v7, v25
	v_mul_f32_e32 v1, v6, v25
	v_fma_f32 v0, v6, v24, -v0
	v_fmac_f32_e32 v1, v7, v24
	v_add_f32_e32 v72, v72, v0
	v_add_f32_e32 v73, v73, v1
	v_mul_f32_e32 v0, v7, v27
	v_mul_f32_e32 v1, v6, v27
	v_fma_f32 v0, v6, v26, -v0
	;; [unrolled: 6-line block ×6, first 2 shown]
	v_fmac_f32_e32 v1, v19, v26
	ds_read2_b64 v[4:7], v54 offset0:128 offset1:144
	v_add_f32_e32 v62, v62, v0
	v_add_f32_e32 v63, v63, v1
	v_mul_f32_e32 v0, v19, v29
	v_mul_f32_e32 v1, v18, v29
	v_fmac_f32_e32 v59, v3, v28
	v_fma_f32 v0, v18, v28, -v0
	v_fmac_f32_e32 v1, v19, v28
	v_add_f32_e32 v58, v76, v58
	v_add_f32_e32 v59, v77, v59
	;; [unrolled: 1-line block ×4, first 2 shown]
	v_mul_f32_e32 v0, v19, v31
	v_mul_f32_e32 v1, v18, v31
	v_fma_f32 v0, v18, v30, -v0
	v_fmac_f32_e32 v1, v19, v30
	v_add_f32_e32 v17, v17, v0
	v_add_f32_e32 v16, v16, v1
	s_waitcnt lgkmcnt(0)
	v_mul_f32_e32 v0, v33, v5
	v_mul_f32_e32 v1, v32, v5
	v_fma_f32 v0, v32, v4, -v0
	v_fmac_f32_e32 v1, v33, v4
	v_add_f32_e32 v18, v20, v0
	v_add_f32_e32 v19, v21, v1
	v_mul_f32_e32 v0, v33, v7
	v_mul_f32_e32 v1, v32, v7
	v_fma_f32 v0, v32, v6, -v0
	v_fmac_f32_e32 v1, v33, v6
	v_add_f32_e32 v78, v22, v0
	v_add_f32_e32 v79, v23, v1
	ds_read2_b64 v[0:3], v54 offset0:160 offset1:176
	s_waitcnt lgkmcnt(0)
	v_mul_f32_e32 v20, v33, v1
	v_mul_f32_e32 v21, v32, v1
	v_fma_f32 v20, v32, v0, -v20
	v_fmac_f32_e32 v21, v33, v0
	v_add_f32_e32 v84, v58, v20
	v_add_f32_e32 v85, v59, v21
	ds_read_b128 v[58:61], v55 offset:528
	v_mul_f32_e32 v20, v33, v3
	v_mul_f32_e32 v21, v32, v3
	v_fma_f32 v20, v32, v2, -v20
	v_fmac_f32_e32 v21, v33, v2
	v_add_f32_e32 v32, v66, v20
	v_add_f32_e32 v33, v67, v21
	s_waitcnt lgkmcnt(0)
	v_mul_f32_e32 v20, v59, v5
	v_mul_f32_e32 v21, v58, v5
	v_fma_f32 v20, v58, v4, -v20
	v_fmac_f32_e32 v21, v59, v4
	v_add_f32_e32 v66, v72, v20
	v_add_f32_e32 v67, v73, v21
	v_mul_f32_e32 v20, v59, v7
	v_mul_f32_e32 v21, v58, v7
	v_fma_f32 v20, v58, v6, -v20
	v_fmac_f32_e32 v21, v59, v6
	v_add_f32_e32 v70, v70, v20
	v_add_f32_e32 v71, v71, v21
	;; [unrolled: 6-line block ×8, first 2 shown]
	ds_read2_b64 v[20:23], v54 offset0:192 offset1:208
	s_waitcnt lgkmcnt(0)
	v_mul_f32_e32 v16, v35, v21
	v_mul_f32_e32 v17, v34, v21
	v_fma_f32 v16, v34, v20, -v16
	v_fmac_f32_e32 v17, v35, v20
	v_add_f32_e32 v80, v18, v16
	v_add_f32_e32 v81, v19, v17
	v_mul_f32_e32 v16, v35, v23
	v_mul_f32_e32 v17, v34, v23
	v_fma_f32 v16, v34, v22, -v16
	v_fmac_f32_e32 v17, v35, v22
	v_add_f32_e32 v78, v78, v16
	v_add_f32_e32 v79, v79, v17
	ds_read2_b64 v[16:19], v54 offset0:224 offset1:240
	s_waitcnt lgkmcnt(0)
	v_mul_f32_e32 v72, v35, v17
	v_fma_f32 v72, v34, v16, -v72
	v_add_f32_e32 v76, v84, v72
	v_mul_f32_e32 v72, v35, v19
	v_mul_f32_e32 v73, v34, v17
	v_fma_f32 v72, v34, v18, -v72
	v_mul_f32_e32 v34, v34, v19
	v_fmac_f32_e32 v34, v35, v18
	v_add_f32_e32 v74, v32, v72
	v_add_f32_e32 v75, v33, v34
	v_mul_f32_e32 v32, v61, v21
	v_mul_f32_e32 v33, v60, v21
	v_fmac_f32_e32 v73, v35, v16
	v_fma_f32 v32, v60, v20, -v32
	v_fmac_f32_e32 v33, v61, v20
	v_add_f32_e32 v77, v85, v73
	v_add_f32_e32 v72, v66, v32
	;; [unrolled: 1-line block ×3, first 2 shown]
	v_mul_f32_e32 v32, v61, v23
	v_mul_f32_e32 v33, v60, v23
	v_fma_f32 v32, v60, v22, -v32
	v_fmac_f32_e32 v33, v61, v22
	v_add_f32_e32 v70, v70, v32
	v_add_f32_e32 v71, v71, v33
	v_mul_f32_e32 v32, v61, v17
	v_mul_f32_e32 v33, v60, v17
	v_fma_f32 v32, v60, v16, -v32
	v_fmac_f32_e32 v33, v61, v16
	v_add_f32_e32 v68, v68, v32
	v_add_f32_e32 v69, v69, v33
	;; [unrolled: 6-line block ×7, first 2 shown]
	ds_read_b128 v[32:35], v55 offset:1536
	s_waitcnt lgkmcnt(0)
	v_mul_f32_e32 v82, v33, v9
	v_mul_f32_e32 v9, v32, v9
	v_fmac_f32_e32 v9, v33, v8
	v_fma_f32 v82, v32, v8, -v82
	v_add_f32_e32 v51, v51, v9
	v_mul_f32_e32 v8, v33, v11
	v_mul_f32_e32 v9, v32, v11
	v_fma_f32 v8, v32, v10, -v8
	v_fmac_f32_e32 v9, v33, v10
	v_add_f32_e32 v48, v48, v8
	v_add_f32_e32 v49, v49, v9
	v_mul_f32_e32 v8, v33, v13
	v_mul_f32_e32 v9, v32, v13
	v_fma_f32 v8, v32, v12, -v8
	v_fmac_f32_e32 v9, v33, v12
	v_add_f32_e32 v12, v47, v8
	v_add_f32_e32 v13, v46, v9
	v_pk_mul_f32 v[8:9], v[32:33], v[14:15] op_sel:[0,1]
	v_pk_fma_f32 v[10:11], v[32:33], v[14:15], v[8:9] op_sel:[0,0,1] op_sel_hi:[1,1,0] neg_lo:[0,0,1] neg_hi:[0,0,1]
	v_pk_fma_f32 v[8:9], v[32:33], v[14:15], v[8:9] op_sel:[0,0,1] op_sel_hi:[1,0,0]
	v_mov_b32_e32 v11, v9
	v_pk_add_f32 v[8:9], v[36:37], v[10:11]
	v_mul_f32_e32 v10, v35, v25
	v_mul_f32_e32 v11, v34, v25
	v_add_f32_e32 v50, v50, v82
	v_fma_f32 v10, v34, v24, -v10
	v_fmac_f32_e32 v11, v35, v24
	v_add_f32_e32 v32, v50, v10
	v_add_f32_e32 v33, v51, v11
	v_mul_f32_e32 v10, v35, v27
	v_mul_f32_e32 v11, v34, v27
	v_fma_f32 v10, v34, v26, -v10
	v_fmac_f32_e32 v11, v35, v26
	v_add_f32_e32 v24, v48, v10
	v_add_f32_e32 v25, v49, v11
	v_mul_f32_e32 v10, v35, v29
	v_mul_f32_e32 v11, v34, v29
	v_fma_f32 v10, v34, v28, -v10
	v_fmac_f32_e32 v11, v35, v28
	v_add_f32_e32 v14, v12, v10
	v_add_f32_e32 v15, v13, v11
	v_pk_mul_f32 v[10:11], v[34:35], v[30:31] op_sel:[0,1]
	v_pk_fma_f32 v[12:13], v[34:35], v[30:31], v[10:11] op_sel:[0,0,1] op_sel_hi:[1,1,0] neg_lo:[0,0,1] neg_hi:[0,0,1]
	v_pk_fma_f32 v[10:11], v[34:35], v[30:31], v[10:11] op_sel:[0,0,1] op_sel_hi:[1,0,0]
	v_mov_b32_e32 v13, v11
	v_pk_add_f32 v[12:13], v[8:9], v[12:13]
	ds_read_b128 v[8:11], v55 offset:1552
	s_waitcnt lgkmcnt(0)
	s_barrier
	v_mul_f32_e32 v26, v9, v5
	v_mul_f32_e32 v5, v8, v5
	v_fma_f32 v26, v8, v4, -v26
	v_fmac_f32_e32 v5, v9, v4
	v_mul_f32_e32 v4, v9, v7
	v_add_f32_e32 v27, v33, v5
	v_fma_f32 v4, v8, v6, -v4
	v_mul_f32_e32 v5, v8, v7
	v_fmac_f32_e32 v5, v9, v6
	v_add_f32_e32 v6, v24, v4
	v_mul_f32_e32 v4, v9, v1
	v_mul_f32_e32 v1, v8, v1
	v_fmac_f32_e32 v1, v9, v0
	v_fma_f32 v4, v8, v0, -v4
	v_add_f32_e32 v15, v15, v1
	v_pk_mul_f32 v[0:1], v[8:9], v[2:3] op_sel:[0,1]
	v_add_f32_e32 v7, v25, v5
	v_add_f32_e32 v14, v14, v4
	v_pk_fma_f32 v[4:5], v[8:9], v[2:3], v[0:1] op_sel:[0,0,1] op_sel_hi:[1,1,0] neg_lo:[0,0,1] neg_hi:[0,0,1]
	v_pk_fma_f32 v[0:1], v[8:9], v[2:3], v[0:1] op_sel:[0,0,1] op_sel_hi:[1,0,0]
	v_mul_f32_e32 v2, v11, v21
	v_mul_f32_e32 v3, v10, v21
	v_add_f32_e32 v26, v32, v26
	v_fma_f32 v2, v10, v20, -v2
	v_fmac_f32_e32 v3, v11, v20
	v_add_f32_e32 v50, v26, v2
	v_add_f32_e32 v51, v27, v3
	v_mul_f32_e32 v2, v11, v23
	v_mul_f32_e32 v3, v10, v23
	v_fma_f32 v2, v10, v22, -v2
	v_fmac_f32_e32 v3, v11, v22
	v_add_f32_e32 v48, v6, v2
	v_add_f32_e32 v49, v7, v3
	v_mul_f32_e32 v2, v11, v17
	v_mul_f32_e32 v3, v10, v17
	v_fma_f32 v2, v10, v16, -v2
	v_fmac_f32_e32 v3, v11, v16
	v_mov_b32_e32 v5, v1
	v_add_f32_e32 v47, v14, v2
	v_add_f32_e32 v46, v15, v3
	v_pk_mul_f32 v[2:3], v[10:11], v[18:19] op_sel:[0,1]
	v_pk_add_f32 v[0:1], v[12:13], v[4:5]
	v_pk_fma_f32 v[4:5], v[10:11], v[18:19], v[2:3] op_sel:[0,0,1] op_sel_hi:[1,1,0] neg_lo:[0,0,1] neg_hi:[0,0,1]
	v_pk_fma_f32 v[2:3], v[10:11], v[18:19], v[2:3] op_sel:[0,0,1] op_sel_hi:[1,0,0]
	v_mov_b32_e32 v5, v3
	v_pk_add_f32 v[36:37], v[0:1], v[4:5]
	s_cbranch_vccnz .LBB236_2
	s_branch .LBB236_4
.LBB236_3:
	v_mov_b32_e32 v37, 0
	v_mov_b32_e32 v36, v37
	;; [unrolled: 1-line block ×32, first 2 shown]
.LBB236_4:
	s_lshl_b64 s[2:3], s[2:3], 3
	s_waitcnt lgkmcnt(0)
	s_add_u32 s8, s8, s2
	v_mov_b32_e32 v0, s29
	v_add_co_u32_e32 v4, vcc, s28, v45
	s_addc_u32 s9, s9, s3
	v_addc_co_u32_e32 v5, vcc, 0, v0, vcc
	s_or_b32 s2, s10, s11
	s_bitset0_b32 s2, 31
	v_mov_b32_e32 v1, s7
	v_add_co_u32_e32 v0, vcc, s6, v44
	s_cmp_lg_u32 s2, 0
	v_addc_co_u32_e32 v1, vcc, 0, v1, vcc
	s_mov_b32 s2, s15
	s_mov_b32 s3, s14
	s_cbranch_scc1 .LBB236_6
; %bb.5:
	v_mul_lo_u32 v6, v5, s0
	v_mul_lo_u32 v7, v4, s1
	v_mad_u64_u32 v[2:3], s[6:7], v4, s0, 0
	v_add3_u32 v3, v3, v7, v6
	v_lshlrev_b64 v[2:3], 3, v[2:3]
	v_mov_b32_e32 v6, s9
	v_add_co_u32_e32 v8, vcc, s8, v2
	v_addc_co_u32_e32 v9, vcc, v6, v3, vcc
	v_lshlrev_b64 v[6:7], 3, v[0:1]
	v_mul_f32_e32 v2, s15, v81
	v_mul_f32_e32 v3, s14, v81
	v_add_co_u32_e32 v6, vcc, v8, v6
	v_fma_f32 v2, v80, s14, -v2
	v_fmac_f32_e32 v3, s15, v80
	v_addc_co_u32_e32 v7, vcc, v9, v7, vcc
	global_store_dwordx2 v[6:7], v[2:3], off
	v_mul_f32_e32 v2, s15, v79
	v_mul_f32_e32 v3, s14, v79
	v_fma_f32 v2, v78, s14, -v2
	v_fmac_f32_e32 v3, s15, v78
	global_store_dwordx2 v[6:7], v[2:3], off offset:128
	v_mul_f32_e32 v2, s15, v77
	v_mul_f32_e32 v3, s14, v77
	v_fma_f32 v2, v76, s14, -v2
	v_fmac_f32_e32 v3, s15, v76
	global_store_dwordx2 v[6:7], v[2:3], off offset:256
	v_mul_f32_e32 v2, s15, v75
	v_mul_f32_e32 v3, s14, v75
	v_fma_f32 v2, v74, s14, -v2
	v_fmac_f32_e32 v3, s15, v74
	s_lshl_b64 s[6:7], s[0:1], 7
	global_store_dwordx2 v[6:7], v[2:3], off offset:384
	v_mul_f32_e32 v2, s15, v73
	v_mul_f32_e32 v3, s14, v73
	v_mov_b32_e32 v9, s7
	v_add_co_u32_e32 v6, vcc, s6, v6
	v_fma_f32 v2, v72, s14, -v2
	v_fmac_f32_e32 v3, s15, v72
	v_addc_co_u32_e32 v7, vcc, v7, v9, vcc
	global_store_dwordx2 v[6:7], v[2:3], off
	v_mul_f32_e32 v2, s15, v71
	v_mul_f32_e32 v3, s14, v71
	v_fma_f32 v2, v70, s14, -v2
	v_fmac_f32_e32 v3, s15, v70
	global_store_dwordx2 v[6:7], v[2:3], off offset:128
	v_mul_f32_e32 v2, s15, v69
	v_mul_f32_e32 v3, s14, v69
	v_fma_f32 v2, v68, s14, -v2
	v_fmac_f32_e32 v3, s15, v68
	global_store_dwordx2 v[6:7], v[2:3], off offset:256
	;; [unrolled: 5-line block ×3, first 2 shown]
	v_mul_f32_e32 v2, s15, v65
	v_mul_f32_e32 v3, s14, v65
	v_add_co_u32_e32 v6, vcc, s6, v6
	v_fma_f32 v2, v64, s14, -v2
	v_fmac_f32_e32 v3, s15, v64
	v_addc_co_u32_e32 v7, vcc, v7, v9, vcc
	global_store_dwordx2 v[6:7], v[2:3], off
	v_mul_f32_e32 v2, s15, v63
	v_mul_f32_e32 v3, s14, v63
	v_fma_f32 v2, v62, s14, -v2
	v_fmac_f32_e32 v3, s15, v62
	global_store_dwordx2 v[6:7], v[2:3], off offset:128
	v_mul_f32_e32 v2, s15, v61
	v_mul_f32_e32 v3, s14, v61
	v_fma_f32 v2, v60, s14, -v2
	v_fmac_f32_e32 v3, s15, v60
	global_store_dwordx2 v[6:7], v[2:3], off offset:256
	;; [unrolled: 5-line block ×3, first 2 shown]
	v_mul_f32_e32 v2, s15, v51
	v_mul_f32_e32 v3, s14, v51
	v_add_co_u32_e32 v8, vcc, s6, v6
	v_fma_f32 v2, v50, s14, -v2
	v_fmac_f32_e32 v3, s15, v50
	v_addc_co_u32_e32 v9, vcc, v7, v9, vcc
	global_store_dwordx2 v[8:9], v[2:3], off
	v_mul_f32_e32 v2, s15, v49
	v_mul_f32_e32 v3, s14, v49
	v_fma_f32 v2, v48, s14, -v2
	v_fmac_f32_e32 v3, s15, v48
	global_store_dwordx2 v[8:9], v[2:3], off offset:128
	v_mul_f32_e32 v2, s15, v46
	v_mul_f32_e32 v3, s14, v46
	v_fma_f32 v2, v47, s14, -v2
	v_fmac_f32_e32 v3, s15, v47
	global_store_dwordx2 v[8:9], v[2:3], off offset:256
	v_mul_f32_e32 v2, s3, v36
	v_fma_f32 v7, -v37, s2, v2
	v_pk_mul_f32 v[2:3], v[36:37], s[2:3]
	v_add_f32_e32 v6, v2, v3
	v_add_co_u32_e32 v2, vcc, 0x180, v8
	v_addc_co_u32_e32 v3, vcc, 0, v9, vcc
	global_store_dword v[8:9], v7, off offset:384
	s_cbranch_execz .LBB236_7
	s_branch .LBB236_8
.LBB236_6:
                                        ; implicit-def: $vgpr6
                                        ; implicit-def: $vgpr2_vgpr3
.LBB236_7:
	s_lshl_b64 s[6:7], s[40:41], 3
	s_add_u32 s6, s4, s6
	s_addc_u32 s7, s5, s7
	v_mul_lo_u32 v6, v5, s38
	v_mul_lo_u32 v7, v4, s39
	v_mad_u64_u32 v[2:3], s[4:5], v4, s38, 0
	v_add3_u32 v3, v3, v7, v6
	v_lshlrev_b64 v[2:3], 3, v[2:3]
	v_mov_b32_e32 v6, s7
	v_add_co_u32_e32 v2, vcc, s6, v2
	v_addc_co_u32_e32 v3, vcc, v6, v3, vcc
	v_lshlrev_b64 v[0:1], 3, v[0:1]
	v_add_co_u32_e32 v2, vcc, v2, v0
	v_addc_co_u32_e32 v3, vcc, v3, v1, vcc
	global_load_dwordx2 v[6:7], v[2:3], off
	v_mul_lo_u32 v8, v5, s0
	v_mul_lo_u32 v9, v4, s1
	v_mad_u64_u32 v[4:5], s[4:5], v4, s0, 0
	v_add3_u32 v5, v5, v9, v8
	v_lshlrev_b64 v[4:5], 3, v[4:5]
	v_mov_b32_e32 v10, s9
	v_add_co_u32_e32 v4, vcc, s8, v4
	v_addc_co_u32_e32 v5, vcc, v10, v5, vcc
	v_add_co_u32_e32 v0, vcc, v4, v0
	v_mul_f32_e32 v11, s15, v81
	v_mul_f32_e32 v12, s14, v81
	v_addc_co_u32_e32 v1, vcc, v5, v1, vcc
	v_fma_f32 v8, v80, s14, -v11
	v_fmac_f32_e32 v12, s15, v80
	s_lshl_b64 s[4:5], s[38:39], 7
	s_lshl_b64 s[0:1], s[0:1], 7
	s_waitcnt vmcnt(0)
	v_mul_f32_e32 v4, s11, v7
	v_mul_f32_e32 v5, s10, v7
	v_fma_f32 v4, v6, s10, -v4
	v_fmac_f32_e32 v5, s11, v6
	v_add_f32_e32 v4, v8, v4
	v_add_f32_e32 v5, v12, v5
	global_store_dwordx2 v[0:1], v[4:5], off
	global_load_dwordx2 v[4:5], v[2:3], off offset:128
	v_mul_f32_e32 v6, s15, v79
	v_mul_f32_e32 v7, s14, v79
	v_fma_f32 v6, v78, s14, -v6
	v_fmac_f32_e32 v7, s15, v78
	s_waitcnt vmcnt(0)
	v_mul_f32_e32 v8, s11, v5
	v_mul_f32_e32 v5, s10, v5
	v_fma_f32 v8, v4, s10, -v8
	v_fmac_f32_e32 v5, s11, v4
	v_add_f32_e32 v4, v6, v8
	v_add_f32_e32 v5, v7, v5
	global_store_dwordx2 v[0:1], v[4:5], off offset:128
	global_load_dwordx2 v[4:5], v[2:3], off offset:256
	v_mul_f32_e32 v6, s15, v77
	v_mul_f32_e32 v7, s14, v77
	v_fma_f32 v6, v76, s14, -v6
	v_fmac_f32_e32 v7, s15, v76
	s_waitcnt vmcnt(0)
	v_mul_f32_e32 v8, s11, v5
	v_mul_f32_e32 v5, s10, v5
	v_fma_f32 v8, v4, s10, -v8
	v_fmac_f32_e32 v5, s11, v4
	v_add_f32_e32 v4, v6, v8
	v_add_f32_e32 v5, v7, v5
	global_store_dwordx2 v[0:1], v[4:5], off offset:256
	global_load_dwordx2 v[4:5], v[2:3], off offset:384
	v_mul_f32_e32 v6, s15, v75
	v_mul_f32_e32 v7, s14, v75
	v_fma_f32 v6, v74, s14, -v6
	v_fmac_f32_e32 v7, s15, v74
	v_mov_b32_e32 v8, s5
	v_add_co_u32_e32 v2, vcc, s4, v2
	v_addc_co_u32_e32 v3, vcc, v3, v8, vcc
	s_waitcnt vmcnt(0)
	v_mul_f32_e32 v9, s11, v5
	v_mul_f32_e32 v5, s10, v5
	v_fma_f32 v9, v4, s10, -v9
	v_fmac_f32_e32 v5, s11, v4
	v_add_f32_e32 v4, v6, v9
	v_add_f32_e32 v5, v7, v5
	global_store_dwordx2 v[0:1], v[4:5], off offset:384
	global_load_dwordx2 v[4:5], v[2:3], off
	v_mul_f32_e32 v6, s15, v73
	v_mul_f32_e32 v7, s14, v73
	v_fma_f32 v6, v72, s14, -v6
	v_fmac_f32_e32 v7, s15, v72
	v_mov_b32_e32 v9, s1
	v_add_co_u32_e32 v0, vcc, s0, v0
	v_addc_co_u32_e32 v1, vcc, v1, v9, vcc
	s_waitcnt vmcnt(0)
	v_mul_f32_e32 v10, s11, v5
	v_mul_f32_e32 v5, s10, v5
	v_fma_f32 v10, v4, s10, -v10
	v_fmac_f32_e32 v5, s11, v4
	v_add_f32_e32 v4, v6, v10
	v_add_f32_e32 v5, v7, v5
	global_store_dwordx2 v[0:1], v[4:5], off
	global_load_dwordx2 v[4:5], v[2:3], off offset:128
	v_mul_f32_e32 v6, s15, v71
	v_mul_f32_e32 v7, s14, v71
	v_fma_f32 v6, v70, s14, -v6
	v_fmac_f32_e32 v7, s15, v70
	s_waitcnt vmcnt(0)
	v_mul_f32_e32 v10, s11, v5
	v_mul_f32_e32 v5, s10, v5
	v_fma_f32 v10, v4, s10, -v10
	v_fmac_f32_e32 v5, s11, v4
	v_add_f32_e32 v4, v6, v10
	v_add_f32_e32 v5, v7, v5
	global_store_dwordx2 v[0:1], v[4:5], off offset:128
	global_load_dwordx2 v[4:5], v[2:3], off offset:256
	v_mul_f32_e32 v6, s15, v69
	v_mul_f32_e32 v7, s14, v69
	v_fma_f32 v6, v68, s14, -v6
	v_fmac_f32_e32 v7, s15, v68
	s_waitcnt vmcnt(0)
	v_mul_f32_e32 v10, s11, v5
	v_mul_f32_e32 v5, s10, v5
	v_fma_f32 v10, v4, s10, -v10
	v_fmac_f32_e32 v5, s11, v4
	v_add_f32_e32 v4, v6, v10
	v_add_f32_e32 v5, v7, v5
	global_store_dwordx2 v[0:1], v[4:5], off offset:256
	global_load_dwordx2 v[4:5], v[2:3], off offset:384
	v_mul_f32_e32 v6, s15, v67
	v_mul_f32_e32 v7, s14, v67
	v_fma_f32 v6, v66, s14, -v6
	v_fmac_f32_e32 v7, s15, v66
	v_add_co_u32_e32 v2, vcc, s4, v2
	v_addc_co_u32_e32 v3, vcc, v3, v8, vcc
	s_waitcnt vmcnt(0)
	v_mul_f32_e32 v10, s11, v5
	v_mul_f32_e32 v5, s10, v5
	v_fma_f32 v10, v4, s10, -v10
	v_fmac_f32_e32 v5, s11, v4
	v_add_f32_e32 v4, v6, v10
	v_add_f32_e32 v5, v7, v5
	global_store_dwordx2 v[0:1], v[4:5], off offset:384
	global_load_dwordx2 v[4:5], v[2:3], off
	v_mul_f32_e32 v6, s15, v65
	v_mul_f32_e32 v7, s14, v65
	v_fma_f32 v6, v64, s14, -v6
	v_fmac_f32_e32 v7, s15, v64
	v_add_co_u32_e32 v0, vcc, s0, v0
	v_addc_co_u32_e32 v1, vcc, v1, v9, vcc
	s_waitcnt vmcnt(0)
	v_mul_f32_e32 v10, s11, v5
	v_mul_f32_e32 v5, s10, v5
	v_fma_f32 v10, v4, s10, -v10
	v_fmac_f32_e32 v5, s11, v4
	v_add_f32_e32 v4, v6, v10
	v_add_f32_e32 v5, v7, v5
	global_store_dwordx2 v[0:1], v[4:5], off
	global_load_dwordx2 v[4:5], v[2:3], off offset:128
	v_mul_f32_e32 v6, s15, v63
	v_mul_f32_e32 v7, s14, v63
	v_fma_f32 v6, v62, s14, -v6
	v_fmac_f32_e32 v7, s15, v62
	s_waitcnt vmcnt(0)
	v_mul_f32_e32 v10, s11, v5
	v_mul_f32_e32 v5, s10, v5
	v_fma_f32 v10, v4, s10, -v10
	v_fmac_f32_e32 v5, s11, v4
	v_add_f32_e32 v4, v6, v10
	v_add_f32_e32 v5, v7, v5
	global_store_dwordx2 v[0:1], v[4:5], off offset:128
	global_load_dwordx2 v[4:5], v[2:3], off offset:256
	v_mul_f32_e32 v6, s15, v61
	v_mul_f32_e32 v7, s14, v61
	v_fma_f32 v6, v60, s14, -v6
	v_fmac_f32_e32 v7, s15, v60
	s_waitcnt vmcnt(0)
	v_mul_f32_e32 v10, s11, v5
	v_mul_f32_e32 v5, s10, v5
	v_fma_f32 v10, v4, s10, -v10
	v_fmac_f32_e32 v5, s11, v4
	v_add_f32_e32 v4, v6, v10
	v_add_f32_e32 v5, v7, v5
	global_store_dwordx2 v[0:1], v[4:5], off offset:256
	global_load_dwordx2 v[4:5], v[2:3], off offset:384
	v_add_co_u32_e32 v2, vcc, s4, v2
	v_mul_f32_e32 v6, s15, v59
	v_mul_f32_e32 v7, s14, v59
	v_addc_co_u32_e32 v3, vcc, v3, v8, vcc
	v_fma_f32 v6, v58, s14, -v6
	v_fmac_f32_e32 v7, s15, v58
	s_waitcnt vmcnt(0)
	v_mul_f32_e32 v8, s11, v5
	v_mul_f32_e32 v5, s10, v5
	v_fma_f32 v8, v4, s10, -v8
	v_fmac_f32_e32 v5, s11, v4
	v_add_f32_e32 v4, v6, v8
	v_add_f32_e32 v5, v7, v5
	global_store_dwordx2 v[0:1], v[4:5], off offset:384
	global_load_dwordx2 v[4:5], v[2:3], off
	v_mul_f32_e32 v6, s15, v51
	v_mul_f32_e32 v7, s14, v51
	v_fma_f32 v6, v50, s14, -v6
	v_fmac_f32_e32 v7, s15, v50
	v_add_co_u32_e32 v0, vcc, s0, v0
	v_addc_co_u32_e32 v1, vcc, v1, v9, vcc
	s_waitcnt vmcnt(0)
	v_mul_f32_e32 v8, s11, v5
	v_mul_f32_e32 v5, s10, v5
	v_fma_f32 v8, v4, s10, -v8
	v_fmac_f32_e32 v5, s11, v4
	v_add_f32_e32 v4, v6, v8
	v_add_f32_e32 v5, v7, v5
	global_store_dwordx2 v[0:1], v[4:5], off
	global_load_dwordx2 v[4:5], v[2:3], off offset:128
	v_mul_f32_e32 v6, s15, v49
	v_mul_f32_e32 v7, s14, v49
	v_fma_f32 v6, v48, s14, -v6
	v_fmac_f32_e32 v7, s15, v48
	s_waitcnt vmcnt(0)
	v_mul_f32_e32 v8, s11, v5
	v_mul_f32_e32 v5, s10, v5
	v_fma_f32 v8, v4, s10, -v8
	v_fmac_f32_e32 v5, s11, v4
	v_add_f32_e32 v4, v6, v8
	v_add_f32_e32 v5, v7, v5
	global_store_dwordx2 v[0:1], v[4:5], off offset:128
	global_load_dwordx2 v[4:5], v[2:3], off offset:256
	v_mul_f32_e32 v6, s15, v46
	v_mul_f32_e32 v7, s14, v46
	v_fma_f32 v6, v47, s14, -v6
	v_fmac_f32_e32 v7, s15, v47
	s_waitcnt vmcnt(0)
	v_mul_f32_e32 v8, s11, v5
	v_mul_f32_e32 v5, s10, v5
	v_fma_f32 v8, v4, s10, -v8
	v_fmac_f32_e32 v5, s11, v4
	v_add_f32_e32 v4, v6, v8
	v_add_f32_e32 v5, v7, v5
	global_store_dwordx2 v[0:1], v[4:5], off offset:256
	global_load_dwordx2 v[4:5], v[2:3], off offset:384
	v_mul_f32_e32 v6, s3, v36
	v_pk_mul_f32 v[2:3], v[36:37], s[2:3]
	v_fma_f32 v8, -v37, s2, v6
	v_add_f32_e32 v3, v2, v3
	v_add_co_u32_e32 v2, vcc, 0x180, v0
	s_waitcnt vmcnt(0)
	v_pk_mul_f32 v[6:7], v[4:5], s[10:11] op_sel:[0,1] op_sel_hi:[1,0]
	v_mul_f32_e32 v4, s10, v4
	v_fma_f32 v4, -v5, s11, v4
	v_add_f32_e32 v5, v6, v7
	v_add_f32_e32 v4, v8, v4
	;; [unrolled: 1-line block ×3, first 2 shown]
	v_addc_co_u32_e32 v3, vcc, 0, v1, vcc
	global_store_dword v[0:1], v4, off offset:384
.LBB236_8:
	global_store_dword v[2:3], v6, off offset:4
	s_endpgm
	.section	.rodata,"a",@progbits
	.p2align	6, 0x0
	.amdhsa_kernel _ZN12_GLOBAL__N_127rocblas_gemm_batched_kernelI19rocblas_complex_numIfELi16ELi16ELi64ELi64ELi4ELi64ELi4ELi4ELi64ELc78ELc84EKPKS2_S5_KPS2_EEvlllT_PT11_llSA_llS8_PT12_llPT13_lli
		.amdhsa_group_segment_fixed_size 4096
		.amdhsa_private_segment_fixed_size 0
		.amdhsa_kernarg_size 140
		.amdhsa_user_sgpr_count 6
		.amdhsa_user_sgpr_private_segment_buffer 1
		.amdhsa_user_sgpr_dispatch_ptr 0
		.amdhsa_user_sgpr_queue_ptr 0
		.amdhsa_user_sgpr_kernarg_segment_ptr 1
		.amdhsa_user_sgpr_dispatch_id 0
		.amdhsa_user_sgpr_flat_scratch_init 0
		.amdhsa_user_sgpr_kernarg_preload_length 0
		.amdhsa_user_sgpr_kernarg_preload_offset 0
		.amdhsa_user_sgpr_private_segment_size 0
		.amdhsa_uses_dynamic_stack 0
		.amdhsa_system_sgpr_private_segment_wavefront_offset 0
		.amdhsa_system_sgpr_workgroup_id_x 1
		.amdhsa_system_sgpr_workgroup_id_y 1
		.amdhsa_system_sgpr_workgroup_id_z 1
		.amdhsa_system_sgpr_workgroup_info 0
		.amdhsa_system_vgpr_workitem_id 1
		.amdhsa_next_free_vgpr 90
		.amdhsa_next_free_sgpr 44
		.amdhsa_accum_offset 92
		.amdhsa_reserve_vcc 1
		.amdhsa_reserve_flat_scratch 0
		.amdhsa_float_round_mode_32 0
		.amdhsa_float_round_mode_16_64 0
		.amdhsa_float_denorm_mode_32 3
		.amdhsa_float_denorm_mode_16_64 3
		.amdhsa_dx10_clamp 1
		.amdhsa_ieee_mode 1
		.amdhsa_fp16_overflow 0
		.amdhsa_tg_split 0
		.amdhsa_exception_fp_ieee_invalid_op 0
		.amdhsa_exception_fp_denorm_src 0
		.amdhsa_exception_fp_ieee_div_zero 0
		.amdhsa_exception_fp_ieee_overflow 0
		.amdhsa_exception_fp_ieee_underflow 0
		.amdhsa_exception_fp_ieee_inexact 0
		.amdhsa_exception_int_div_zero 0
	.end_amdhsa_kernel
	.section	.text._ZN12_GLOBAL__N_127rocblas_gemm_batched_kernelI19rocblas_complex_numIfELi16ELi16ELi64ELi64ELi4ELi64ELi4ELi4ELi64ELc78ELc84EKPKS2_S5_KPS2_EEvlllT_PT11_llSA_llS8_PT12_llPT13_lli,"axG",@progbits,_ZN12_GLOBAL__N_127rocblas_gemm_batched_kernelI19rocblas_complex_numIfELi16ELi16ELi64ELi64ELi4ELi64ELi4ELi4ELi64ELc78ELc84EKPKS2_S5_KPS2_EEvlllT_PT11_llSA_llS8_PT12_llPT13_lli,comdat
.Lfunc_end236:
	.size	_ZN12_GLOBAL__N_127rocblas_gemm_batched_kernelI19rocblas_complex_numIfELi16ELi16ELi64ELi64ELi4ELi64ELi4ELi4ELi64ELc78ELc84EKPKS2_S5_KPS2_EEvlllT_PT11_llSA_llS8_PT12_llPT13_lli, .Lfunc_end236-_ZN12_GLOBAL__N_127rocblas_gemm_batched_kernelI19rocblas_complex_numIfELi16ELi16ELi64ELi64ELi4ELi64ELi4ELi4ELi64ELc78ELc84EKPKS2_S5_KPS2_EEvlllT_PT11_llSA_llS8_PT12_llPT13_lli
                                        ; -- End function
	.section	.AMDGPU.csdata,"",@progbits
; Kernel info:
; codeLenInByte = 4720
; NumSgprs: 48
; NumVgprs: 90
; NumAgprs: 0
; TotalNumVgprs: 90
; ScratchSize: 0
; MemoryBound: 0
; FloatMode: 240
; IeeeMode: 1
; LDSByteSize: 4096 bytes/workgroup (compile time only)
; SGPRBlocks: 5
; VGPRBlocks: 11
; NumSGPRsForWavesPerEU: 48
; NumVGPRsForWavesPerEU: 90
; AccumOffset: 92
; Occupancy: 5
; WaveLimiterHint : 1
; COMPUTE_PGM_RSRC2:SCRATCH_EN: 0
; COMPUTE_PGM_RSRC2:USER_SGPR: 6
; COMPUTE_PGM_RSRC2:TRAP_HANDLER: 0
; COMPUTE_PGM_RSRC2:TGID_X_EN: 1
; COMPUTE_PGM_RSRC2:TGID_Y_EN: 1
; COMPUTE_PGM_RSRC2:TGID_Z_EN: 1
; COMPUTE_PGM_RSRC2:TIDIG_COMP_CNT: 1
; COMPUTE_PGM_RSRC3_GFX90A:ACCUM_OFFSET: 22
; COMPUTE_PGM_RSRC3_GFX90A:TG_SPLIT: 0
	.section	.text._ZN12_GLOBAL__N_127rocblas_gemm_batched_kernelI19rocblas_complex_numIfELi16ELi16ELi64ELi64ELi4ELi64ELi4ELi4ELi64ELc84ELc84EKPKS2_S5_KPS2_EEvlllT_PT11_llSA_llS8_PT12_llPT13_lli,"axG",@progbits,_ZN12_GLOBAL__N_127rocblas_gemm_batched_kernelI19rocblas_complex_numIfELi16ELi16ELi64ELi64ELi4ELi64ELi4ELi4ELi64ELc84ELc84EKPKS2_S5_KPS2_EEvlllT_PT11_llSA_llS8_PT12_llPT13_lli,comdat
	.globl	_ZN12_GLOBAL__N_127rocblas_gemm_batched_kernelI19rocblas_complex_numIfELi16ELi16ELi64ELi64ELi4ELi64ELi4ELi4ELi64ELc84ELc84EKPKS2_S5_KPS2_EEvlllT_PT11_llSA_llS8_PT12_llPT13_lli ; -- Begin function _ZN12_GLOBAL__N_127rocblas_gemm_batched_kernelI19rocblas_complex_numIfELi16ELi16ELi64ELi64ELi4ELi64ELi4ELi4ELi64ELc84ELc84EKPKS2_S5_KPS2_EEvlllT_PT11_llSA_llS8_PT12_llPT13_lli
	.p2align	8
	.type	_ZN12_GLOBAL__N_127rocblas_gemm_batched_kernelI19rocblas_complex_numIfELi16ELi16ELi64ELi64ELi4ELi64ELi4ELi4ELi64ELc84ELc84EKPKS2_S5_KPS2_EEvlllT_PT11_llSA_llS8_PT12_llPT13_lli,@function
_ZN12_GLOBAL__N_127rocblas_gemm_batched_kernelI19rocblas_complex_numIfELi16ELi16ELi64ELi64ELi4ELi64ELi4ELi4ELi64ELc84ELc84EKPKS2_S5_KPS2_EEvlllT_PT11_llSA_llS8_PT12_llPT13_lli: ; @_ZN12_GLOBAL__N_127rocblas_gemm_batched_kernelI19rocblas_complex_numIfELi16ELi16ELi64ELi64ELi4ELi64ELi4ELi4ELi64ELc84ELc84EKPKS2_S5_KPS2_EEvlllT_PT11_llSA_llS8_PT12_llPT13_lli
; %bb.0:
	s_load_dwordx16 s[12:27], s[4:5], 0x10
	s_load_dwordx4 s[0:3], s[4:5], 0x78
	s_load_dwordx8 s[36:43], s[4:5], 0x58
	s_load_dwordx2 s[10:11], s[4:5], 0x50
	s_mov_b32 s9, 0
	s_lshl_b64 s[30:31], s[8:9], 3
	s_mov_b32 s28, s7
	s_waitcnt lgkmcnt(0)
	s_add_u32 s4, s36, s30
	s_addc_u32 s5, s37, s31
	s_add_u32 s8, s42, s30
	s_addc_u32 s9, s43, s31
	s_load_dwordx2 s[4:5], s[4:5], 0x0
	s_ashr_i32 s7, s6, 31
	s_load_dwordx2 s[8:9], s[8:9], 0x0
	s_ashr_i32 s29, s28, 31
	v_cmp_lt_i64_e64 s[34:35], s[12:13], 1
	v_bfe_u32 v45, v0, 10, 10
	v_and_b32_e32 v44, 0x3ff, v0
	s_lshl_b64 s[6:7], s[6:7], 6
	s_lshl_b64 s[28:29], s[28:29], 6
	s_and_b64 vcc, exec, s[34:35]
	s_cbranch_vccnz .LBB237_3
; %bb.1:
	v_lshl_add_u32 v4, v45, 4, v44
	s_add_u32 s16, s16, s30
	v_lshrrev_b32_e32 v5, 2, v4
	s_addc_u32 s17, s17, s31
	v_mov_b32_e32 v1, s29
	v_add_co_u32_e32 v0, vcc, s28, v5
	s_add_u32 s22, s22, s30
	v_addc_co_u32_e32 v1, vcc, 0, v1, vcc
	v_and_b32_e32 v6, 3, v44
	s_addc_u32 s23, s23, s31
	v_mad_u64_u32 v[0:1], s[30:31], v6, s24, v[0:1]
	v_mov_b32_e32 v2, v1
	v_mad_u64_u32 v[2:3], s[30:31], v6, s25, v[2:3]
	v_mov_b32_e32 v1, v2
	v_and_b32_e32 v2, 63, v4
	v_lshrrev_b32_e32 v4, 6, v4
	v_lshlrev_b32_e32 v3, 3, v2
	v_lshl_or_b32 v52, v4, 9, v3
	v_lshlrev_b32_e32 v3, 3, v6
	v_lshl_or_b32 v3, v5, 5, v3
	v_add_u32_e32 v53, 0x800, v3
	v_mov_b32_e32 v3, 0x800
	v_lshl_add_u32 v55, v45, 5, v3
	v_mov_b32_e32 v3, s7
	v_add_co_u32_e32 v2, vcc, s6, v2
	v_addc_co_u32_e32 v3, vcc, 0, v3, vcc
	v_mul_lo_u32 v5, s19, v2
	v_mul_lo_u32 v6, s18, v3
	v_mad_u64_u32 v[2:3], s[18:19], s18, v2, 0
	v_add3_u32 v3, v3, v6, v5
	s_load_dwordx2 s[16:17], s[16:17], 0x0
	v_lshlrev_b64 v[2:3], 3, v[2:3]
	s_lshl_b64 s[18:19], s[20:21], 3
	s_load_dwordx2 s[22:23], s[22:23], 0x0
	v_mov_b32_e32 v5, s19
	v_add_co_u32_e32 v2, vcc, s18, v2
	v_addc_co_u32_e32 v3, vcc, v3, v5, vcc
	v_lshlrev_b32_e32 v4, 3, v4
	v_add_co_u32_e32 v2, vcc, v2, v4
	v_addc_co_u32_e32 v3, vcc, 0, v3, vcc
	s_waitcnt lgkmcnt(0)
	v_mov_b32_e32 v4, s17
	v_add_co_u32_e32 v38, vcc, s16, v2
	s_lshl_b64 s[16:17], s[26:27], 3
	s_add_u32 s16, s22, s16
	v_addc_co_u32_e32 v39, vcc, v4, v3, vcc
	v_lshlrev_b64 v[0:1], 3, v[0:1]
	s_addc_u32 s17, s23, s17
	v_mov_b32_e32 v2, s17
	v_add_co_u32_e32 v40, vcc, s16, v0
	s_lshl_b64 s[16:17], s[24:25], 5
	v_mov_b32_e32 v46, 0
	v_lshlrev_b32_e32 v54, 3, v44
	v_addc_co_u32_e32 v41, vcc, v2, v1, vcc
	s_mov_b64 s[18:19], 0
	v_mov_b32_e32 v56, s17
	v_pk_mov_b32 v[42:43], s[12:13], s[12:13] op_sel:[0,1]
	v_mov_b32_e32 v47, 0
	v_mov_b32_e32 v49, 0
	;; [unrolled: 1-line block ×31, first 2 shown]
.LBB237_2:                              ; =>This Inner Loop Header: Depth=1
	global_load_dwordx2 v[0:1], v[38:39], off
	v_add_co_u32_e32 v38, vcc, 32, v38
	v_addc_co_u32_e32 v39, vcc, 0, v39, vcc
	s_add_u32 s18, s18, 4
	s_addc_u32 s19, s19, 0
	s_waitcnt vmcnt(0)
	ds_write_b64 v52, v[0:1]
	global_load_dwordx2 v[0:1], v[40:41], off
	v_add_co_u32_e32 v40, vcc, s16, v40
	v_addc_co_u32_e32 v41, vcc, v41, v56, vcc
	v_cmp_lt_i64_e32 vcc, s[18:19], v[42:43]
	s_and_b64 vcc, exec, vcc
	s_waitcnt vmcnt(0)
	ds_write_b64 v53, v[0:1]
	s_waitcnt lgkmcnt(0)
	s_barrier
	ds_read_b128 v[0:3], v55
	ds_read_b128 v[32:35], v55 offset:16
	ds_read2_b64 v[8:11], v54 offset1:16
	ds_read2_b64 v[12:15], v54 offset0:32 offset1:48
	s_waitcnt lgkmcnt(1)
	v_mul_f32_e32 v4, v1, v9
	v_fma_f32 v4, v0, v8, -v4
	v_mul_f32_e32 v5, v0, v9
	v_add_f32_e32 v20, v79, v4
	v_mul_f32_e32 v4, v1, v11
	v_fmac_f32_e32 v5, v1, v8
	v_fma_f32 v4, v0, v10, -v4
	v_add_f32_e32 v21, v80, v5
	v_mul_f32_e32 v5, v0, v11
	v_add_f32_e32 v22, v77, v4
	s_waitcnt lgkmcnt(0)
	v_mul_f32_e32 v4, v1, v13
	v_fmac_f32_e32 v5, v1, v10
	v_fma_f32 v4, v0, v12, -v4
	v_add_f32_e32 v23, v78, v5
	v_mul_f32_e32 v5, v0, v13
	v_add_f32_e32 v75, v75, v4
	v_mul_f32_e32 v4, v1, v15
	v_fmac_f32_e32 v5, v1, v12
	v_fma_f32 v4, v0, v14, -v4
	v_mul_f32_e32 v0, v0, v15
	v_add_f32_e32 v76, v76, v5
	v_fmac_f32_e32 v0, v1, v14
	v_add_f32_e32 v1, v73, v4
	ds_read_b128 v[4:7], v55 offset:512
	ds_read_b128 v[80:83], v55 offset:1040
	v_add_f32_e32 v0, v74, v0
	s_waitcnt lgkmcnt(1)
	v_mul_f32_e32 v16, v5, v9
	v_fma_f32 v16, v4, v8, -v16
	v_mul_f32_e32 v17, v4, v9
	v_add_f32_e32 v71, v71, v16
	v_mul_f32_e32 v16, v5, v11
	v_fmac_f32_e32 v17, v5, v8
	v_fma_f32 v16, v4, v10, -v16
	v_add_f32_e32 v72, v72, v17
	v_mul_f32_e32 v17, v4, v11
	v_add_f32_e32 v69, v69, v16
	v_mul_f32_e32 v16, v5, v13
	v_fmac_f32_e32 v17, v5, v10
	v_fma_f32 v16, v4, v12, -v16
	v_add_f32_e32 v70, v70, v17
	v_mul_f32_e32 v17, v4, v13
	v_add_f32_e32 v67, v67, v16
	v_mul_f32_e32 v16, v5, v15
	v_fmac_f32_e32 v17, v5, v12
	v_fma_f32 v16, v4, v14, -v16
	v_mul_f32_e32 v4, v4, v15
	v_add_f32_e32 v68, v68, v17
	v_fmac_f32_e32 v4, v5, v14
	v_add_f32_e32 v5, v65, v16
	ds_read_b128 v[16:19], v55 offset:1024
	v_add_f32_e32 v4, v66, v4
	s_waitcnt lgkmcnt(0)
	v_mul_f32_e32 v24, v17, v9
	v_fma_f32 v24, v16, v8, -v24
	v_mul_f32_e32 v25, v16, v9
	v_add_f32_e32 v63, v63, v24
	v_mul_f32_e32 v24, v17, v11
	v_fmac_f32_e32 v25, v17, v8
	v_fma_f32 v24, v16, v10, -v24
	v_add_f32_e32 v64, v64, v25
	v_mul_f32_e32 v25, v16, v11
	v_add_f32_e32 v61, v61, v24
	v_mul_f32_e32 v24, v17, v13
	v_fmac_f32_e32 v25, v17, v10
	v_fma_f32 v24, v16, v12, -v24
	v_add_f32_e32 v62, v62, v25
	v_mul_f32_e32 v25, v16, v13
	v_add_f32_e32 v59, v59, v24
	v_mul_f32_e32 v24, v17, v15
	v_fmac_f32_e32 v25, v17, v12
	v_fma_f32 v24, v16, v14, -v24
	v_mul_f32_e32 v16, v16, v15
	v_add_f32_e32 v60, v60, v25
	v_fmac_f32_e32 v16, v17, v14
	v_add_f32_e32 v17, v57, v24
	ds_read2_b64 v[24:27], v54 offset0:64 offset1:80
	v_add_f32_e32 v16, v58, v16
	s_waitcnt lgkmcnt(0)
	v_mul_f32_e32 v28, v3, v25
	v_mul_f32_e32 v29, v2, v25
	v_fma_f32 v28, v2, v24, -v28
	v_fmac_f32_e32 v29, v3, v24
	v_add_f32_e32 v20, v20, v28
	v_add_f32_e32 v21, v21, v29
	v_mul_f32_e32 v28, v3, v27
	v_mul_f32_e32 v29, v2, v27
	v_fma_f32 v28, v2, v26, -v28
	v_fmac_f32_e32 v29, v3, v26
	v_add_f32_e32 v22, v22, v28
	v_add_f32_e32 v23, v23, v29
	ds_read2_b64 v[28:31], v54 offset0:96 offset1:112
	s_waitcnt lgkmcnt(0)
	v_mul_f32_e32 v57, v3, v29
	v_mul_f32_e32 v65, v3, v31
	v_fma_f32 v57, v2, v28, -v57
	v_mul_f32_e32 v58, v2, v29
	v_fma_f32 v65, v2, v30, -v65
	v_mul_f32_e32 v2, v2, v31
	v_fmac_f32_e32 v2, v3, v30
	v_add_f32_e32 v65, v1, v65
	v_add_f32_e32 v66, v0, v2
	v_mul_f32_e32 v0, v7, v25
	v_mul_f32_e32 v1, v6, v25
	v_fma_f32 v0, v6, v24, -v0
	v_fmac_f32_e32 v1, v7, v24
	v_add_f32_e32 v71, v71, v0
	v_add_f32_e32 v72, v72, v1
	v_mul_f32_e32 v0, v7, v27
	v_mul_f32_e32 v1, v6, v27
	v_fma_f32 v0, v6, v26, -v0
	;; [unrolled: 6-line block ×6, first 2 shown]
	v_fmac_f32_e32 v1, v19, v26
	ds_read2_b64 v[4:7], v54 offset0:128 offset1:144
	v_add_f32_e32 v57, v75, v57
	v_add_f32_e32 v75, v61, v0
	;; [unrolled: 1-line block ×3, first 2 shown]
	v_mul_f32_e32 v0, v19, v29
	v_mul_f32_e32 v1, v18, v29
	v_fmac_f32_e32 v58, v3, v28
	v_fma_f32 v0, v18, v28, -v0
	v_fmac_f32_e32 v1, v19, v28
	v_add_f32_e32 v58, v76, v58
	v_add_f32_e32 v76, v59, v0
	;; [unrolled: 1-line block ×3, first 2 shown]
	v_mul_f32_e32 v0, v19, v31
	v_mul_f32_e32 v1, v18, v31
	v_fma_f32 v0, v18, v30, -v0
	v_fmac_f32_e32 v1, v19, v30
	v_add_f32_e32 v17, v17, v0
	v_add_f32_e32 v16, v16, v1
	s_waitcnt lgkmcnt(0)
	v_mul_f32_e32 v0, v33, v5
	v_mul_f32_e32 v1, v32, v5
	v_fma_f32 v0, v32, v4, -v0
	v_fmac_f32_e32 v1, v33, v4
	v_add_f32_e32 v18, v20, v0
	v_add_f32_e32 v19, v21, v1
	v_mul_f32_e32 v0, v33, v7
	v_mul_f32_e32 v1, v32, v7
	v_fma_f32 v0, v32, v6, -v0
	v_fmac_f32_e32 v1, v33, v6
	v_add_f32_e32 v78, v22, v0
	v_add_f32_e32 v84, v23, v1
	ds_read2_b64 v[0:3], v54 offset0:160 offset1:176
	s_waitcnt lgkmcnt(0)
	v_mul_f32_e32 v21, v32, v1
	v_fmac_f32_e32 v21, v33, v0
	v_add_f32_e32 v85, v58, v21
	ds_read_b128 v[58:61], v55 offset:528
	v_mul_f32_e32 v20, v33, v1
	v_fma_f32 v20, v32, v0, -v20
	v_add_f32_e32 v57, v57, v20
	v_mul_f32_e32 v20, v33, v3
	v_mul_f32_e32 v21, v32, v3
	v_fma_f32 v20, v32, v2, -v20
	v_fmac_f32_e32 v21, v33, v2
	v_add_f32_e32 v32, v65, v20
	v_add_f32_e32 v33, v66, v21
	s_waitcnt lgkmcnt(0)
	v_mul_f32_e32 v20, v59, v5
	v_mul_f32_e32 v21, v58, v5
	v_fma_f32 v20, v58, v4, -v20
	v_fmac_f32_e32 v21, v59, v4
	v_add_f32_e32 v65, v71, v20
	v_add_f32_e32 v66, v72, v21
	v_mul_f32_e32 v20, v59, v7
	v_mul_f32_e32 v21, v58, v7
	v_fma_f32 v20, v58, v6, -v20
	v_fmac_f32_e32 v21, v59, v6
	v_add_f32_e32 v69, v69, v20
	v_add_f32_e32 v70, v70, v21
	;; [unrolled: 6-line block ×8, first 2 shown]
	ds_read2_b64 v[20:23], v54 offset0:192 offset1:208
	s_waitcnt lgkmcnt(0)
	v_mul_f32_e32 v16, v35, v21
	v_mul_f32_e32 v17, v34, v21
	v_fma_f32 v16, v34, v20, -v16
	v_fmac_f32_e32 v17, v35, v20
	v_add_f32_e32 v79, v18, v16
	v_add_f32_e32 v80, v19, v17
	v_mul_f32_e32 v16, v35, v23
	v_mul_f32_e32 v17, v34, v23
	v_fma_f32 v16, v34, v22, -v16
	v_fmac_f32_e32 v17, v35, v22
	v_add_f32_e32 v77, v78, v16
	v_add_f32_e32 v78, v84, v17
	ds_read2_b64 v[16:19], v54 offset0:224 offset1:240
	s_waitcnt lgkmcnt(0)
	v_mul_f32_e32 v71, v35, v17
	v_fma_f32 v71, v34, v16, -v71
	v_add_f32_e32 v75, v57, v71
	v_mul_f32_e32 v57, v35, v19
	v_mul_f32_e32 v72, v34, v17
	v_fma_f32 v57, v34, v18, -v57
	v_mul_f32_e32 v34, v34, v19
	v_fmac_f32_e32 v34, v35, v18
	v_add_f32_e32 v73, v32, v57
	v_add_f32_e32 v74, v33, v34
	v_mul_f32_e32 v32, v61, v21
	v_mul_f32_e32 v33, v60, v21
	v_fmac_f32_e32 v72, v35, v16
	v_fma_f32 v32, v60, v20, -v32
	v_fmac_f32_e32 v33, v61, v20
	v_add_f32_e32 v76, v85, v72
	v_add_f32_e32 v71, v65, v32
	;; [unrolled: 1-line block ×3, first 2 shown]
	v_mul_f32_e32 v32, v61, v23
	v_mul_f32_e32 v33, v60, v23
	v_fma_f32 v32, v60, v22, -v32
	v_fmac_f32_e32 v33, v61, v22
	v_add_f32_e32 v69, v69, v32
	v_add_f32_e32 v70, v70, v33
	v_mul_f32_e32 v32, v61, v17
	v_mul_f32_e32 v33, v60, v17
	v_fma_f32 v32, v60, v16, -v32
	v_fmac_f32_e32 v33, v61, v16
	v_add_f32_e32 v67, v67, v32
	v_add_f32_e32 v68, v68, v33
	;; [unrolled: 6-line block ×7, first 2 shown]
	ds_read_b128 v[32:35], v55 offset:1536
	s_waitcnt lgkmcnt(0)
	v_mul_f32_e32 v81, v33, v9
	v_mul_f32_e32 v9, v32, v9
	v_fmac_f32_e32 v9, v33, v8
	v_fma_f32 v81, v32, v8, -v81
	v_add_f32_e32 v51, v51, v9
	v_mul_f32_e32 v8, v33, v11
	v_mul_f32_e32 v9, v32, v11
	v_fma_f32 v8, v32, v10, -v8
	v_fmac_f32_e32 v9, v33, v10
	v_add_f32_e32 v48, v48, v8
	v_add_f32_e32 v49, v49, v9
	v_mul_f32_e32 v8, v33, v13
	v_mul_f32_e32 v9, v32, v13
	v_fma_f32 v8, v32, v12, -v8
	v_fmac_f32_e32 v9, v33, v12
	v_add_f32_e32 v12, v47, v8
	v_add_f32_e32 v13, v46, v9
	v_pk_mul_f32 v[8:9], v[32:33], v[14:15] op_sel:[0,1]
	v_pk_fma_f32 v[10:11], v[32:33], v[14:15], v[8:9] op_sel:[0,0,1] op_sel_hi:[1,1,0] neg_lo:[0,0,1] neg_hi:[0,0,1]
	v_pk_fma_f32 v[8:9], v[32:33], v[14:15], v[8:9] op_sel:[0,0,1] op_sel_hi:[1,0,0]
	v_mov_b32_e32 v11, v9
	v_pk_add_f32 v[8:9], v[36:37], v[10:11]
	v_mul_f32_e32 v10, v35, v25
	v_mul_f32_e32 v11, v34, v25
	v_add_f32_e32 v50, v50, v81
	v_fma_f32 v10, v34, v24, -v10
	v_fmac_f32_e32 v11, v35, v24
	v_add_f32_e32 v32, v50, v10
	v_add_f32_e32 v33, v51, v11
	v_mul_f32_e32 v10, v35, v27
	v_mul_f32_e32 v11, v34, v27
	v_fma_f32 v10, v34, v26, -v10
	v_fmac_f32_e32 v11, v35, v26
	v_add_f32_e32 v24, v48, v10
	v_add_f32_e32 v25, v49, v11
	v_mul_f32_e32 v10, v35, v29
	v_mul_f32_e32 v11, v34, v29
	v_fma_f32 v10, v34, v28, -v10
	v_fmac_f32_e32 v11, v35, v28
	v_add_f32_e32 v14, v12, v10
	v_add_f32_e32 v15, v13, v11
	v_pk_mul_f32 v[10:11], v[34:35], v[30:31] op_sel:[0,1]
	v_pk_fma_f32 v[12:13], v[34:35], v[30:31], v[10:11] op_sel:[0,0,1] op_sel_hi:[1,1,0] neg_lo:[0,0,1] neg_hi:[0,0,1]
	v_pk_fma_f32 v[10:11], v[34:35], v[30:31], v[10:11] op_sel:[0,0,1] op_sel_hi:[1,0,0]
	v_mov_b32_e32 v13, v11
	v_pk_add_f32 v[12:13], v[8:9], v[12:13]
	ds_read_b128 v[8:11], v55 offset:1552
	s_waitcnt lgkmcnt(0)
	s_barrier
	v_mul_f32_e32 v26, v9, v5
	v_mul_f32_e32 v5, v8, v5
	v_fma_f32 v26, v8, v4, -v26
	v_fmac_f32_e32 v5, v9, v4
	v_mul_f32_e32 v4, v9, v7
	v_add_f32_e32 v27, v33, v5
	v_fma_f32 v4, v8, v6, -v4
	v_mul_f32_e32 v5, v8, v7
	v_fmac_f32_e32 v5, v9, v6
	v_add_f32_e32 v6, v24, v4
	v_mul_f32_e32 v4, v9, v1
	v_mul_f32_e32 v1, v8, v1
	v_fmac_f32_e32 v1, v9, v0
	v_fma_f32 v4, v8, v0, -v4
	v_add_f32_e32 v15, v15, v1
	v_pk_mul_f32 v[0:1], v[8:9], v[2:3] op_sel:[0,1]
	v_add_f32_e32 v7, v25, v5
	v_add_f32_e32 v14, v14, v4
	v_pk_fma_f32 v[4:5], v[8:9], v[2:3], v[0:1] op_sel:[0,0,1] op_sel_hi:[1,1,0] neg_lo:[0,0,1] neg_hi:[0,0,1]
	v_pk_fma_f32 v[0:1], v[8:9], v[2:3], v[0:1] op_sel:[0,0,1] op_sel_hi:[1,0,0]
	v_mul_f32_e32 v2, v11, v21
	v_mul_f32_e32 v3, v10, v21
	v_add_f32_e32 v26, v32, v26
	v_fma_f32 v2, v10, v20, -v2
	v_fmac_f32_e32 v3, v11, v20
	v_add_f32_e32 v50, v26, v2
	v_add_f32_e32 v51, v27, v3
	v_mul_f32_e32 v2, v11, v23
	v_mul_f32_e32 v3, v10, v23
	v_fma_f32 v2, v10, v22, -v2
	v_fmac_f32_e32 v3, v11, v22
	v_add_f32_e32 v48, v6, v2
	v_add_f32_e32 v49, v7, v3
	v_mul_f32_e32 v2, v11, v17
	v_mul_f32_e32 v3, v10, v17
	v_fma_f32 v2, v10, v16, -v2
	v_fmac_f32_e32 v3, v11, v16
	v_mov_b32_e32 v5, v1
	v_add_f32_e32 v47, v14, v2
	v_add_f32_e32 v46, v15, v3
	v_pk_mul_f32 v[2:3], v[10:11], v[18:19] op_sel:[0,1]
	v_pk_add_f32 v[0:1], v[12:13], v[4:5]
	v_pk_fma_f32 v[4:5], v[10:11], v[18:19], v[2:3] op_sel:[0,0,1] op_sel_hi:[1,1,0] neg_lo:[0,0,1] neg_hi:[0,0,1]
	v_pk_fma_f32 v[2:3], v[10:11], v[18:19], v[2:3] op_sel:[0,0,1] op_sel_hi:[1,0,0]
	v_mov_b32_e32 v5, v3
	v_pk_add_f32 v[36:37], v[0:1], v[4:5]
	s_cbranch_vccnz .LBB237_2
	s_branch .LBB237_4
.LBB237_3:
	v_mov_b32_e32 v37, 0
	v_mov_b32_e32 v36, v37
	;; [unrolled: 1-line block ×32, first 2 shown]
.LBB237_4:
	s_lshl_b64 s[2:3], s[2:3], 3
	s_waitcnt lgkmcnt(0)
	s_add_u32 s8, s8, s2
	v_mov_b32_e32 v0, s29
	v_add_co_u32_e32 v4, vcc, s28, v45
	s_addc_u32 s9, s9, s3
	v_addc_co_u32_e32 v5, vcc, 0, v0, vcc
	s_or_b32 s2, s10, s11
	s_bitset0_b32 s2, 31
	v_mov_b32_e32 v1, s7
	v_add_co_u32_e32 v0, vcc, s6, v44
	s_cmp_lg_u32 s2, 0
	v_addc_co_u32_e32 v1, vcc, 0, v1, vcc
	s_mov_b32 s2, s15
	s_mov_b32 s3, s14
	s_cbranch_scc1 .LBB237_6
; %bb.5:
	v_mul_lo_u32 v6, v5, s0
	v_mul_lo_u32 v7, v4, s1
	v_mad_u64_u32 v[2:3], s[6:7], v4, s0, 0
	v_add3_u32 v3, v3, v7, v6
	v_lshlrev_b64 v[2:3], 3, v[2:3]
	v_mov_b32_e32 v6, s9
	v_add_co_u32_e32 v8, vcc, s8, v2
	v_addc_co_u32_e32 v9, vcc, v6, v3, vcc
	v_lshlrev_b64 v[6:7], 3, v[0:1]
	v_mul_f32_e32 v2, s15, v80
	v_mul_f32_e32 v3, s14, v80
	v_add_co_u32_e32 v6, vcc, v8, v6
	v_fma_f32 v2, v79, s14, -v2
	v_fmac_f32_e32 v3, s15, v79
	v_addc_co_u32_e32 v7, vcc, v9, v7, vcc
	global_store_dwordx2 v[6:7], v[2:3], off
	v_mul_f32_e32 v2, s15, v78
	v_mul_f32_e32 v3, s14, v78
	v_fma_f32 v2, v77, s14, -v2
	v_fmac_f32_e32 v3, s15, v77
	global_store_dwordx2 v[6:7], v[2:3], off offset:128
	v_mul_f32_e32 v2, s15, v76
	v_mul_f32_e32 v3, s14, v76
	v_fma_f32 v2, v75, s14, -v2
	v_fmac_f32_e32 v3, s15, v75
	global_store_dwordx2 v[6:7], v[2:3], off offset:256
	v_mul_f32_e32 v2, s15, v74
	v_mul_f32_e32 v3, s14, v74
	v_fma_f32 v2, v73, s14, -v2
	v_fmac_f32_e32 v3, s15, v73
	s_lshl_b64 s[6:7], s[0:1], 7
	global_store_dwordx2 v[6:7], v[2:3], off offset:384
	v_mul_f32_e32 v2, s15, v72
	v_mul_f32_e32 v3, s14, v72
	v_mov_b32_e32 v9, s7
	v_add_co_u32_e32 v6, vcc, s6, v6
	v_fma_f32 v2, v71, s14, -v2
	v_fmac_f32_e32 v3, s15, v71
	v_addc_co_u32_e32 v7, vcc, v7, v9, vcc
	global_store_dwordx2 v[6:7], v[2:3], off
	v_mul_f32_e32 v2, s15, v70
	v_mul_f32_e32 v3, s14, v70
	v_fma_f32 v2, v69, s14, -v2
	v_fmac_f32_e32 v3, s15, v69
	global_store_dwordx2 v[6:7], v[2:3], off offset:128
	v_mul_f32_e32 v2, s15, v68
	v_mul_f32_e32 v3, s14, v68
	v_fma_f32 v2, v67, s14, -v2
	v_fmac_f32_e32 v3, s15, v67
	global_store_dwordx2 v[6:7], v[2:3], off offset:256
	;; [unrolled: 5-line block ×3, first 2 shown]
	v_mul_f32_e32 v2, s15, v64
	v_mul_f32_e32 v3, s14, v64
	v_add_co_u32_e32 v6, vcc, s6, v6
	v_fma_f32 v2, v63, s14, -v2
	v_fmac_f32_e32 v3, s15, v63
	v_addc_co_u32_e32 v7, vcc, v7, v9, vcc
	global_store_dwordx2 v[6:7], v[2:3], off
	v_mul_f32_e32 v2, s15, v62
	v_mul_f32_e32 v3, s14, v62
	v_fma_f32 v2, v61, s14, -v2
	v_fmac_f32_e32 v3, s15, v61
	global_store_dwordx2 v[6:7], v[2:3], off offset:128
	v_mul_f32_e32 v2, s15, v60
	v_mul_f32_e32 v3, s14, v60
	v_fma_f32 v2, v59, s14, -v2
	v_fmac_f32_e32 v3, s15, v59
	global_store_dwordx2 v[6:7], v[2:3], off offset:256
	;; [unrolled: 5-line block ×3, first 2 shown]
	v_mul_f32_e32 v2, s15, v51
	v_mul_f32_e32 v3, s14, v51
	v_add_co_u32_e32 v8, vcc, s6, v6
	v_fma_f32 v2, v50, s14, -v2
	v_fmac_f32_e32 v3, s15, v50
	v_addc_co_u32_e32 v9, vcc, v7, v9, vcc
	global_store_dwordx2 v[8:9], v[2:3], off
	v_mul_f32_e32 v2, s15, v49
	v_mul_f32_e32 v3, s14, v49
	v_fma_f32 v2, v48, s14, -v2
	v_fmac_f32_e32 v3, s15, v48
	global_store_dwordx2 v[8:9], v[2:3], off offset:128
	v_mul_f32_e32 v2, s15, v46
	v_mul_f32_e32 v3, s14, v46
	v_fma_f32 v2, v47, s14, -v2
	v_fmac_f32_e32 v3, s15, v47
	global_store_dwordx2 v[8:9], v[2:3], off offset:256
	v_mul_f32_e32 v2, s3, v36
	v_fma_f32 v7, -v37, s2, v2
	v_pk_mul_f32 v[2:3], v[36:37], s[2:3]
	v_add_f32_e32 v6, v2, v3
	v_add_co_u32_e32 v2, vcc, 0x180, v8
	v_addc_co_u32_e32 v3, vcc, 0, v9, vcc
	global_store_dword v[8:9], v7, off offset:384
	s_cbranch_execz .LBB237_7
	s_branch .LBB237_8
.LBB237_6:
                                        ; implicit-def: $vgpr6
                                        ; implicit-def: $vgpr2_vgpr3
.LBB237_7:
	s_lshl_b64 s[6:7], s[40:41], 3
	s_add_u32 s6, s4, s6
	s_addc_u32 s7, s5, s7
	v_mul_lo_u32 v6, v5, s38
	v_mul_lo_u32 v7, v4, s39
	v_mad_u64_u32 v[2:3], s[4:5], v4, s38, 0
	v_add3_u32 v3, v3, v7, v6
	v_lshlrev_b64 v[2:3], 3, v[2:3]
	v_mov_b32_e32 v6, s7
	v_add_co_u32_e32 v2, vcc, s6, v2
	v_addc_co_u32_e32 v3, vcc, v6, v3, vcc
	v_lshlrev_b64 v[0:1], 3, v[0:1]
	v_add_co_u32_e32 v2, vcc, v2, v0
	v_addc_co_u32_e32 v3, vcc, v3, v1, vcc
	global_load_dwordx2 v[6:7], v[2:3], off
	v_mul_lo_u32 v8, v5, s0
	v_mul_lo_u32 v9, v4, s1
	v_mad_u64_u32 v[4:5], s[4:5], v4, s0, 0
	v_add3_u32 v5, v5, v9, v8
	v_lshlrev_b64 v[4:5], 3, v[4:5]
	v_mov_b32_e32 v10, s9
	v_add_co_u32_e32 v4, vcc, s8, v4
	v_addc_co_u32_e32 v5, vcc, v10, v5, vcc
	v_add_co_u32_e32 v0, vcc, v4, v0
	v_mul_f32_e32 v11, s15, v80
	v_mul_f32_e32 v12, s14, v80
	v_addc_co_u32_e32 v1, vcc, v5, v1, vcc
	v_fma_f32 v8, v79, s14, -v11
	v_fmac_f32_e32 v12, s15, v79
	s_lshl_b64 s[4:5], s[38:39], 7
	s_lshl_b64 s[0:1], s[0:1], 7
	s_waitcnt vmcnt(0)
	v_mul_f32_e32 v4, s11, v7
	v_mul_f32_e32 v5, s10, v7
	v_fma_f32 v4, v6, s10, -v4
	v_fmac_f32_e32 v5, s11, v6
	v_add_f32_e32 v4, v8, v4
	v_add_f32_e32 v5, v12, v5
	global_store_dwordx2 v[0:1], v[4:5], off
	global_load_dwordx2 v[4:5], v[2:3], off offset:128
	v_mul_f32_e32 v6, s15, v78
	v_mul_f32_e32 v7, s14, v78
	v_fma_f32 v6, v77, s14, -v6
	v_fmac_f32_e32 v7, s15, v77
	s_waitcnt vmcnt(0)
	v_mul_f32_e32 v8, s11, v5
	v_mul_f32_e32 v5, s10, v5
	v_fma_f32 v8, v4, s10, -v8
	v_fmac_f32_e32 v5, s11, v4
	v_add_f32_e32 v4, v6, v8
	v_add_f32_e32 v5, v7, v5
	global_store_dwordx2 v[0:1], v[4:5], off offset:128
	global_load_dwordx2 v[4:5], v[2:3], off offset:256
	v_mul_f32_e32 v6, s15, v76
	v_mul_f32_e32 v7, s14, v76
	v_fma_f32 v6, v75, s14, -v6
	v_fmac_f32_e32 v7, s15, v75
	s_waitcnt vmcnt(0)
	v_mul_f32_e32 v8, s11, v5
	v_mul_f32_e32 v5, s10, v5
	v_fma_f32 v8, v4, s10, -v8
	v_fmac_f32_e32 v5, s11, v4
	v_add_f32_e32 v4, v6, v8
	v_add_f32_e32 v5, v7, v5
	global_store_dwordx2 v[0:1], v[4:5], off offset:256
	global_load_dwordx2 v[4:5], v[2:3], off offset:384
	v_mul_f32_e32 v6, s15, v74
	v_mul_f32_e32 v7, s14, v74
	v_fma_f32 v6, v73, s14, -v6
	v_fmac_f32_e32 v7, s15, v73
	v_mov_b32_e32 v8, s5
	v_add_co_u32_e32 v2, vcc, s4, v2
	v_addc_co_u32_e32 v3, vcc, v3, v8, vcc
	s_waitcnt vmcnt(0)
	v_mul_f32_e32 v9, s11, v5
	v_mul_f32_e32 v5, s10, v5
	v_fma_f32 v9, v4, s10, -v9
	v_fmac_f32_e32 v5, s11, v4
	v_add_f32_e32 v4, v6, v9
	v_add_f32_e32 v5, v7, v5
	global_store_dwordx2 v[0:1], v[4:5], off offset:384
	global_load_dwordx2 v[4:5], v[2:3], off
	v_mul_f32_e32 v6, s15, v72
	v_mul_f32_e32 v7, s14, v72
	v_fma_f32 v6, v71, s14, -v6
	v_fmac_f32_e32 v7, s15, v71
	v_mov_b32_e32 v9, s1
	v_add_co_u32_e32 v0, vcc, s0, v0
	v_addc_co_u32_e32 v1, vcc, v1, v9, vcc
	s_waitcnt vmcnt(0)
	v_mul_f32_e32 v10, s11, v5
	v_mul_f32_e32 v5, s10, v5
	v_fma_f32 v10, v4, s10, -v10
	v_fmac_f32_e32 v5, s11, v4
	v_add_f32_e32 v4, v6, v10
	v_add_f32_e32 v5, v7, v5
	global_store_dwordx2 v[0:1], v[4:5], off
	global_load_dwordx2 v[4:5], v[2:3], off offset:128
	v_mul_f32_e32 v6, s15, v70
	v_mul_f32_e32 v7, s14, v70
	v_fma_f32 v6, v69, s14, -v6
	v_fmac_f32_e32 v7, s15, v69
	s_waitcnt vmcnt(0)
	v_mul_f32_e32 v10, s11, v5
	v_mul_f32_e32 v5, s10, v5
	v_fma_f32 v10, v4, s10, -v10
	v_fmac_f32_e32 v5, s11, v4
	v_add_f32_e32 v4, v6, v10
	v_add_f32_e32 v5, v7, v5
	global_store_dwordx2 v[0:1], v[4:5], off offset:128
	global_load_dwordx2 v[4:5], v[2:3], off offset:256
	v_mul_f32_e32 v6, s15, v68
	v_mul_f32_e32 v7, s14, v68
	v_fma_f32 v6, v67, s14, -v6
	v_fmac_f32_e32 v7, s15, v67
	s_waitcnt vmcnt(0)
	v_mul_f32_e32 v10, s11, v5
	v_mul_f32_e32 v5, s10, v5
	v_fma_f32 v10, v4, s10, -v10
	v_fmac_f32_e32 v5, s11, v4
	v_add_f32_e32 v4, v6, v10
	v_add_f32_e32 v5, v7, v5
	global_store_dwordx2 v[0:1], v[4:5], off offset:256
	global_load_dwordx2 v[4:5], v[2:3], off offset:384
	v_mul_f32_e32 v6, s15, v66
	v_mul_f32_e32 v7, s14, v66
	v_fma_f32 v6, v65, s14, -v6
	v_fmac_f32_e32 v7, s15, v65
	v_add_co_u32_e32 v2, vcc, s4, v2
	v_addc_co_u32_e32 v3, vcc, v3, v8, vcc
	s_waitcnt vmcnt(0)
	v_mul_f32_e32 v10, s11, v5
	v_mul_f32_e32 v5, s10, v5
	v_fma_f32 v10, v4, s10, -v10
	v_fmac_f32_e32 v5, s11, v4
	v_add_f32_e32 v4, v6, v10
	v_add_f32_e32 v5, v7, v5
	global_store_dwordx2 v[0:1], v[4:5], off offset:384
	global_load_dwordx2 v[4:5], v[2:3], off
	v_mul_f32_e32 v6, s15, v64
	v_mul_f32_e32 v7, s14, v64
	v_fma_f32 v6, v63, s14, -v6
	v_fmac_f32_e32 v7, s15, v63
	v_add_co_u32_e32 v0, vcc, s0, v0
	v_addc_co_u32_e32 v1, vcc, v1, v9, vcc
	s_waitcnt vmcnt(0)
	v_mul_f32_e32 v10, s11, v5
	v_mul_f32_e32 v5, s10, v5
	v_fma_f32 v10, v4, s10, -v10
	v_fmac_f32_e32 v5, s11, v4
	v_add_f32_e32 v4, v6, v10
	v_add_f32_e32 v5, v7, v5
	global_store_dwordx2 v[0:1], v[4:5], off
	global_load_dwordx2 v[4:5], v[2:3], off offset:128
	v_mul_f32_e32 v6, s15, v62
	v_mul_f32_e32 v7, s14, v62
	v_fma_f32 v6, v61, s14, -v6
	v_fmac_f32_e32 v7, s15, v61
	s_waitcnt vmcnt(0)
	v_mul_f32_e32 v10, s11, v5
	v_mul_f32_e32 v5, s10, v5
	v_fma_f32 v10, v4, s10, -v10
	v_fmac_f32_e32 v5, s11, v4
	v_add_f32_e32 v4, v6, v10
	v_add_f32_e32 v5, v7, v5
	global_store_dwordx2 v[0:1], v[4:5], off offset:128
	global_load_dwordx2 v[4:5], v[2:3], off offset:256
	v_mul_f32_e32 v6, s15, v60
	v_mul_f32_e32 v7, s14, v60
	v_fma_f32 v6, v59, s14, -v6
	v_fmac_f32_e32 v7, s15, v59
	s_waitcnt vmcnt(0)
	v_mul_f32_e32 v10, s11, v5
	v_mul_f32_e32 v5, s10, v5
	v_fma_f32 v10, v4, s10, -v10
	v_fmac_f32_e32 v5, s11, v4
	v_add_f32_e32 v4, v6, v10
	v_add_f32_e32 v5, v7, v5
	global_store_dwordx2 v[0:1], v[4:5], off offset:256
	global_load_dwordx2 v[4:5], v[2:3], off offset:384
	v_add_co_u32_e32 v2, vcc, s4, v2
	v_mul_f32_e32 v6, s15, v58
	v_mul_f32_e32 v7, s14, v58
	v_addc_co_u32_e32 v3, vcc, v3, v8, vcc
	v_fma_f32 v6, v57, s14, -v6
	v_fmac_f32_e32 v7, s15, v57
	s_waitcnt vmcnt(0)
	v_mul_f32_e32 v8, s11, v5
	v_mul_f32_e32 v5, s10, v5
	v_fma_f32 v8, v4, s10, -v8
	v_fmac_f32_e32 v5, s11, v4
	v_add_f32_e32 v4, v6, v8
	v_add_f32_e32 v5, v7, v5
	global_store_dwordx2 v[0:1], v[4:5], off offset:384
	global_load_dwordx2 v[4:5], v[2:3], off
	v_mul_f32_e32 v6, s15, v51
	v_mul_f32_e32 v7, s14, v51
	v_fma_f32 v6, v50, s14, -v6
	v_fmac_f32_e32 v7, s15, v50
	v_add_co_u32_e32 v0, vcc, s0, v0
	v_addc_co_u32_e32 v1, vcc, v1, v9, vcc
	s_waitcnt vmcnt(0)
	v_mul_f32_e32 v8, s11, v5
	v_mul_f32_e32 v5, s10, v5
	v_fma_f32 v8, v4, s10, -v8
	v_fmac_f32_e32 v5, s11, v4
	v_add_f32_e32 v4, v6, v8
	v_add_f32_e32 v5, v7, v5
	global_store_dwordx2 v[0:1], v[4:5], off
	global_load_dwordx2 v[4:5], v[2:3], off offset:128
	v_mul_f32_e32 v6, s15, v49
	v_mul_f32_e32 v7, s14, v49
	v_fma_f32 v6, v48, s14, -v6
	v_fmac_f32_e32 v7, s15, v48
	s_waitcnt vmcnt(0)
	v_mul_f32_e32 v8, s11, v5
	v_mul_f32_e32 v5, s10, v5
	v_fma_f32 v8, v4, s10, -v8
	v_fmac_f32_e32 v5, s11, v4
	v_add_f32_e32 v4, v6, v8
	v_add_f32_e32 v5, v7, v5
	global_store_dwordx2 v[0:1], v[4:5], off offset:128
	global_load_dwordx2 v[4:5], v[2:3], off offset:256
	v_mul_f32_e32 v6, s15, v46
	v_mul_f32_e32 v7, s14, v46
	v_fma_f32 v6, v47, s14, -v6
	v_fmac_f32_e32 v7, s15, v47
	s_waitcnt vmcnt(0)
	v_mul_f32_e32 v8, s11, v5
	v_mul_f32_e32 v5, s10, v5
	v_fma_f32 v8, v4, s10, -v8
	v_fmac_f32_e32 v5, s11, v4
	v_add_f32_e32 v4, v6, v8
	v_add_f32_e32 v5, v7, v5
	global_store_dwordx2 v[0:1], v[4:5], off offset:256
	global_load_dwordx2 v[4:5], v[2:3], off offset:384
	v_mul_f32_e32 v6, s3, v36
	v_pk_mul_f32 v[2:3], v[36:37], s[2:3]
	v_fma_f32 v8, -v37, s2, v6
	v_add_f32_e32 v3, v2, v3
	v_add_co_u32_e32 v2, vcc, 0x180, v0
	s_waitcnt vmcnt(0)
	v_pk_mul_f32 v[6:7], v[4:5], s[10:11] op_sel:[0,1] op_sel_hi:[1,0]
	v_mul_f32_e32 v4, s10, v4
	v_fma_f32 v4, -v5, s11, v4
	v_add_f32_e32 v5, v6, v7
	v_add_f32_e32 v4, v8, v4
	;; [unrolled: 1-line block ×3, first 2 shown]
	v_addc_co_u32_e32 v3, vcc, 0, v1, vcc
	global_store_dword v[0:1], v4, off offset:384
.LBB237_8:
	global_store_dword v[2:3], v6, off offset:4
	s_endpgm
	.section	.rodata,"a",@progbits
	.p2align	6, 0x0
	.amdhsa_kernel _ZN12_GLOBAL__N_127rocblas_gemm_batched_kernelI19rocblas_complex_numIfELi16ELi16ELi64ELi64ELi4ELi64ELi4ELi4ELi64ELc84ELc84EKPKS2_S5_KPS2_EEvlllT_PT11_llSA_llS8_PT12_llPT13_lli
		.amdhsa_group_segment_fixed_size 4096
		.amdhsa_private_segment_fixed_size 0
		.amdhsa_kernarg_size 140
		.amdhsa_user_sgpr_count 6
		.amdhsa_user_sgpr_private_segment_buffer 1
		.amdhsa_user_sgpr_dispatch_ptr 0
		.amdhsa_user_sgpr_queue_ptr 0
		.amdhsa_user_sgpr_kernarg_segment_ptr 1
		.amdhsa_user_sgpr_dispatch_id 0
		.amdhsa_user_sgpr_flat_scratch_init 0
		.amdhsa_user_sgpr_kernarg_preload_length 0
		.amdhsa_user_sgpr_kernarg_preload_offset 0
		.amdhsa_user_sgpr_private_segment_size 0
		.amdhsa_uses_dynamic_stack 0
		.amdhsa_system_sgpr_private_segment_wavefront_offset 0
		.amdhsa_system_sgpr_workgroup_id_x 1
		.amdhsa_system_sgpr_workgroup_id_y 1
		.amdhsa_system_sgpr_workgroup_id_z 1
		.amdhsa_system_sgpr_workgroup_info 0
		.amdhsa_system_vgpr_workitem_id 1
		.amdhsa_next_free_vgpr 90
		.amdhsa_next_free_sgpr 44
		.amdhsa_accum_offset 92
		.amdhsa_reserve_vcc 1
		.amdhsa_reserve_flat_scratch 0
		.amdhsa_float_round_mode_32 0
		.amdhsa_float_round_mode_16_64 0
		.amdhsa_float_denorm_mode_32 3
		.amdhsa_float_denorm_mode_16_64 3
		.amdhsa_dx10_clamp 1
		.amdhsa_ieee_mode 1
		.amdhsa_fp16_overflow 0
		.amdhsa_tg_split 0
		.amdhsa_exception_fp_ieee_invalid_op 0
		.amdhsa_exception_fp_denorm_src 0
		.amdhsa_exception_fp_ieee_div_zero 0
		.amdhsa_exception_fp_ieee_overflow 0
		.amdhsa_exception_fp_ieee_underflow 0
		.amdhsa_exception_fp_ieee_inexact 0
		.amdhsa_exception_int_div_zero 0
	.end_amdhsa_kernel
	.section	.text._ZN12_GLOBAL__N_127rocblas_gemm_batched_kernelI19rocblas_complex_numIfELi16ELi16ELi64ELi64ELi4ELi64ELi4ELi4ELi64ELc84ELc84EKPKS2_S5_KPS2_EEvlllT_PT11_llSA_llS8_PT12_llPT13_lli,"axG",@progbits,_ZN12_GLOBAL__N_127rocblas_gemm_batched_kernelI19rocblas_complex_numIfELi16ELi16ELi64ELi64ELi4ELi64ELi4ELi4ELi64ELc84ELc84EKPKS2_S5_KPS2_EEvlllT_PT11_llSA_llS8_PT12_llPT13_lli,comdat
.Lfunc_end237:
	.size	_ZN12_GLOBAL__N_127rocblas_gemm_batched_kernelI19rocblas_complex_numIfELi16ELi16ELi64ELi64ELi4ELi64ELi4ELi4ELi64ELc84ELc84EKPKS2_S5_KPS2_EEvlllT_PT11_llSA_llS8_PT12_llPT13_lli, .Lfunc_end237-_ZN12_GLOBAL__N_127rocblas_gemm_batched_kernelI19rocblas_complex_numIfELi16ELi16ELi64ELi64ELi4ELi64ELi4ELi4ELi64ELc84ELc84EKPKS2_S5_KPS2_EEvlllT_PT11_llSA_llS8_PT12_llPT13_lli
                                        ; -- End function
	.section	.AMDGPU.csdata,"",@progbits
; Kernel info:
; codeLenInByte = 4732
; NumSgprs: 48
; NumVgprs: 90
; NumAgprs: 0
; TotalNumVgprs: 90
; ScratchSize: 0
; MemoryBound: 0
; FloatMode: 240
; IeeeMode: 1
; LDSByteSize: 4096 bytes/workgroup (compile time only)
; SGPRBlocks: 5
; VGPRBlocks: 11
; NumSGPRsForWavesPerEU: 48
; NumVGPRsForWavesPerEU: 90
; AccumOffset: 92
; Occupancy: 5
; WaveLimiterHint : 1
; COMPUTE_PGM_RSRC2:SCRATCH_EN: 0
; COMPUTE_PGM_RSRC2:USER_SGPR: 6
; COMPUTE_PGM_RSRC2:TRAP_HANDLER: 0
; COMPUTE_PGM_RSRC2:TGID_X_EN: 1
; COMPUTE_PGM_RSRC2:TGID_Y_EN: 1
; COMPUTE_PGM_RSRC2:TGID_Z_EN: 1
; COMPUTE_PGM_RSRC2:TIDIG_COMP_CNT: 1
; COMPUTE_PGM_RSRC3_GFX90A:ACCUM_OFFSET: 22
; COMPUTE_PGM_RSRC3_GFX90A:TG_SPLIT: 0
	.section	.text._ZN12_GLOBAL__N_127rocblas_gemm_batched_kernelI19rocblas_complex_numIfELi16ELi16ELi64ELi64ELi4ELi64ELi4ELi4ELi64ELc67ELc67EKPKS2_S5_KPS2_EEvlllT_PT11_llSA_llS8_PT12_llPT13_lli,"axG",@progbits,_ZN12_GLOBAL__N_127rocblas_gemm_batched_kernelI19rocblas_complex_numIfELi16ELi16ELi64ELi64ELi4ELi64ELi4ELi4ELi64ELc67ELc67EKPKS2_S5_KPS2_EEvlllT_PT11_llSA_llS8_PT12_llPT13_lli,comdat
	.globl	_ZN12_GLOBAL__N_127rocblas_gemm_batched_kernelI19rocblas_complex_numIfELi16ELi16ELi64ELi64ELi4ELi64ELi4ELi4ELi64ELc67ELc67EKPKS2_S5_KPS2_EEvlllT_PT11_llSA_llS8_PT12_llPT13_lli ; -- Begin function _ZN12_GLOBAL__N_127rocblas_gemm_batched_kernelI19rocblas_complex_numIfELi16ELi16ELi64ELi64ELi4ELi64ELi4ELi4ELi64ELc67ELc67EKPKS2_S5_KPS2_EEvlllT_PT11_llSA_llS8_PT12_llPT13_lli
	.p2align	8
	.type	_ZN12_GLOBAL__N_127rocblas_gemm_batched_kernelI19rocblas_complex_numIfELi16ELi16ELi64ELi64ELi4ELi64ELi4ELi4ELi64ELc67ELc67EKPKS2_S5_KPS2_EEvlllT_PT11_llSA_llS8_PT12_llPT13_lli,@function
_ZN12_GLOBAL__N_127rocblas_gemm_batched_kernelI19rocblas_complex_numIfELi16ELi16ELi64ELi64ELi4ELi64ELi4ELi4ELi64ELc67ELc67EKPKS2_S5_KPS2_EEvlllT_PT11_llSA_llS8_PT12_llPT13_lli: ; @_ZN12_GLOBAL__N_127rocblas_gemm_batched_kernelI19rocblas_complex_numIfELi16ELi16ELi64ELi64ELi4ELi64ELi4ELi4ELi64ELc67ELc67EKPKS2_S5_KPS2_EEvlllT_PT11_llSA_llS8_PT12_llPT13_lli
; %bb.0:
	s_load_dwordx16 s[12:27], s[4:5], 0x10
	s_load_dwordx4 s[0:3], s[4:5], 0x78
	s_load_dwordx8 s[36:43], s[4:5], 0x58
	s_load_dwordx2 s[10:11], s[4:5], 0x50
	s_mov_b32 s9, 0
	s_lshl_b64 s[30:31], s[8:9], 3
	s_mov_b32 s28, s7
	s_waitcnt lgkmcnt(0)
	s_add_u32 s4, s36, s30
	s_addc_u32 s5, s37, s31
	s_add_u32 s8, s42, s30
	s_addc_u32 s9, s43, s31
	s_load_dwordx2 s[4:5], s[4:5], 0x0
	s_ashr_i32 s7, s6, 31
	s_load_dwordx2 s[8:9], s[8:9], 0x0
	s_ashr_i32 s29, s28, 31
	v_cmp_lt_i64_e64 s[34:35], s[12:13], 1
	v_bfe_u32 v45, v0, 10, 10
	v_and_b32_e32 v44, 0x3ff, v0
	s_lshl_b64 s[6:7], s[6:7], 6
	s_lshl_b64 s[28:29], s[28:29], 6
	s_and_b64 vcc, exec, s[34:35]
	s_cbranch_vccnz .LBB238_3
; %bb.1:
	v_lshl_add_u32 v4, v45, 4, v44
	s_add_u32 s16, s16, s30
	v_lshrrev_b32_e32 v5, 2, v4
	s_addc_u32 s17, s17, s31
	v_mov_b32_e32 v1, s29
	v_add_co_u32_e32 v0, vcc, s28, v5
	s_add_u32 s22, s22, s30
	v_addc_co_u32_e32 v1, vcc, 0, v1, vcc
	v_and_b32_e32 v6, 3, v44
	s_addc_u32 s23, s23, s31
	v_mad_u64_u32 v[0:1], s[30:31], v6, s24, v[0:1]
	v_mov_b32_e32 v2, v1
	v_mad_u64_u32 v[2:3], s[30:31], v6, s25, v[2:3]
	v_mov_b32_e32 v1, v2
	v_and_b32_e32 v2, 63, v4
	v_lshrrev_b32_e32 v4, 6, v4
	v_lshlrev_b32_e32 v3, 3, v2
	v_lshl_or_b32 v52, v4, 9, v3
	v_lshlrev_b32_e32 v3, 3, v6
	v_lshl_or_b32 v3, v5, 5, v3
	v_add_u32_e32 v53, 0x800, v3
	v_mov_b32_e32 v3, 0x800
	v_lshl_add_u32 v55, v45, 5, v3
	v_mov_b32_e32 v3, s7
	v_add_co_u32_e32 v2, vcc, s6, v2
	v_addc_co_u32_e32 v3, vcc, 0, v3, vcc
	v_mul_lo_u32 v5, s19, v2
	v_mul_lo_u32 v6, s18, v3
	v_mad_u64_u32 v[2:3], s[18:19], s18, v2, 0
	v_add3_u32 v3, v3, v6, v5
	s_load_dwordx2 s[16:17], s[16:17], 0x0
	v_lshlrev_b64 v[2:3], 3, v[2:3]
	s_lshl_b64 s[18:19], s[20:21], 3
	s_load_dwordx2 s[22:23], s[22:23], 0x0
	v_mov_b32_e32 v5, s19
	v_add_co_u32_e32 v2, vcc, s18, v2
	v_addc_co_u32_e32 v3, vcc, v3, v5, vcc
	v_lshlrev_b32_e32 v4, 3, v4
	v_add_co_u32_e32 v2, vcc, v2, v4
	v_addc_co_u32_e32 v3, vcc, 0, v3, vcc
	s_waitcnt lgkmcnt(0)
	v_mov_b32_e32 v4, s17
	v_add_co_u32_e32 v38, vcc, s16, v2
	s_lshl_b64 s[16:17], s[26:27], 3
	s_add_u32 s16, s22, s16
	v_addc_co_u32_e32 v39, vcc, v4, v3, vcc
	v_lshlrev_b64 v[0:1], 3, v[0:1]
	s_addc_u32 s17, s23, s17
	v_mov_b32_e32 v2, s17
	v_add_co_u32_e32 v0, vcc, s16, v0
	v_addc_co_u32_e32 v1, vcc, v2, v1, vcc
	v_add_co_u32_e32 v40, vcc, 4, v0
	s_lshl_b64 s[16:17], s[24:25], 5
	v_mov_b32_e32 v46, 0
	v_lshlrev_b32_e32 v54, 3, v44
	v_addc_co_u32_e32 v41, vcc, 0, v1, vcc
	s_mov_b64 s[18:19], 0
	v_mov_b32_e32 v56, s17
	v_pk_mov_b32 v[42:43], s[12:13], s[12:13] op_sel:[0,1]
	v_mov_b32_e32 v47, 0
	v_mov_b32_e32 v49, 0
	;; [unrolled: 1-line block ×31, first 2 shown]
.LBB238_2:                              ; =>This Inner Loop Header: Depth=1
	global_load_dwordx2 v[0:1], v[38:39], off
	v_add_co_u32_e32 v38, vcc, 32, v38
	v_addc_co_u32_e32 v39, vcc, 0, v39, vcc
	s_add_u32 s18, s18, 4
	s_addc_u32 s19, s19, 0
	s_waitcnt vmcnt(0)
	v_xor_b32_e32 v1, 0x80000000, v1
	ds_write_b64 v52, v[0:1]
	global_load_dwordx2 v[0:1], v[40:41], off offset:-4
	v_add_co_u32_e32 v40, vcc, s16, v40
	v_addc_co_u32_e32 v41, vcc, v41, v56, vcc
	v_cmp_lt_i64_e32 vcc, s[18:19], v[42:43]
	s_and_b64 vcc, exec, vcc
	s_waitcnt vmcnt(0)
	v_xor_b32_e32 v1, 0x80000000, v1
	ds_write_b64 v53, v[0:1]
	s_waitcnt lgkmcnt(0)
	s_barrier
	ds_read_b128 v[0:3], v55
	ds_read_b128 v[32:35], v55 offset:16
	ds_read2_b64 v[8:11], v54 offset1:16
	ds_read2_b64 v[12:15], v54 offset0:32 offset1:48
	s_waitcnt lgkmcnt(1)
	v_mul_f32_e32 v4, v1, v9
	v_fma_f32 v4, v0, v8, -v4
	v_mul_f32_e32 v5, v0, v9
	v_add_f32_e32 v20, v79, v4
	v_mul_f32_e32 v4, v1, v11
	v_fmac_f32_e32 v5, v1, v8
	v_fma_f32 v4, v0, v10, -v4
	v_add_f32_e32 v21, v80, v5
	v_mul_f32_e32 v5, v0, v11
	v_add_f32_e32 v22, v77, v4
	s_waitcnt lgkmcnt(0)
	v_mul_f32_e32 v4, v1, v13
	v_fmac_f32_e32 v5, v1, v10
	v_fma_f32 v4, v0, v12, -v4
	v_add_f32_e32 v23, v78, v5
	v_mul_f32_e32 v5, v0, v13
	v_add_f32_e32 v75, v75, v4
	v_mul_f32_e32 v4, v1, v15
	v_fmac_f32_e32 v5, v1, v12
	v_fma_f32 v4, v0, v14, -v4
	v_mul_f32_e32 v0, v0, v15
	v_add_f32_e32 v76, v76, v5
	v_fmac_f32_e32 v0, v1, v14
	v_add_f32_e32 v1, v73, v4
	ds_read_b128 v[4:7], v55 offset:512
	ds_read_b128 v[80:83], v55 offset:1040
	v_add_f32_e32 v0, v74, v0
	s_waitcnt lgkmcnt(1)
	v_mul_f32_e32 v16, v5, v9
	v_fma_f32 v16, v4, v8, -v16
	v_mul_f32_e32 v17, v4, v9
	v_add_f32_e32 v71, v71, v16
	v_mul_f32_e32 v16, v5, v11
	v_fmac_f32_e32 v17, v5, v8
	v_fma_f32 v16, v4, v10, -v16
	v_add_f32_e32 v72, v72, v17
	v_mul_f32_e32 v17, v4, v11
	v_add_f32_e32 v69, v69, v16
	v_mul_f32_e32 v16, v5, v13
	v_fmac_f32_e32 v17, v5, v10
	v_fma_f32 v16, v4, v12, -v16
	v_add_f32_e32 v70, v70, v17
	v_mul_f32_e32 v17, v4, v13
	v_add_f32_e32 v67, v67, v16
	v_mul_f32_e32 v16, v5, v15
	v_fmac_f32_e32 v17, v5, v12
	v_fma_f32 v16, v4, v14, -v16
	v_mul_f32_e32 v4, v4, v15
	v_add_f32_e32 v68, v68, v17
	v_fmac_f32_e32 v4, v5, v14
	v_add_f32_e32 v5, v65, v16
	ds_read_b128 v[16:19], v55 offset:1024
	v_add_f32_e32 v4, v66, v4
	s_waitcnt lgkmcnt(0)
	v_mul_f32_e32 v24, v17, v9
	v_fma_f32 v24, v16, v8, -v24
	v_mul_f32_e32 v25, v16, v9
	v_add_f32_e32 v63, v63, v24
	v_mul_f32_e32 v24, v17, v11
	v_fmac_f32_e32 v25, v17, v8
	v_fma_f32 v24, v16, v10, -v24
	v_add_f32_e32 v64, v64, v25
	v_mul_f32_e32 v25, v16, v11
	v_add_f32_e32 v61, v61, v24
	v_mul_f32_e32 v24, v17, v13
	v_fmac_f32_e32 v25, v17, v10
	v_fma_f32 v24, v16, v12, -v24
	v_add_f32_e32 v62, v62, v25
	v_mul_f32_e32 v25, v16, v13
	v_add_f32_e32 v59, v59, v24
	v_mul_f32_e32 v24, v17, v15
	v_fmac_f32_e32 v25, v17, v12
	v_fma_f32 v24, v16, v14, -v24
	v_mul_f32_e32 v16, v16, v15
	v_add_f32_e32 v60, v60, v25
	v_fmac_f32_e32 v16, v17, v14
	v_add_f32_e32 v17, v57, v24
	ds_read2_b64 v[24:27], v54 offset0:64 offset1:80
	v_add_f32_e32 v16, v58, v16
	s_waitcnt lgkmcnt(0)
	v_mul_f32_e32 v28, v3, v25
	v_mul_f32_e32 v29, v2, v25
	v_fma_f32 v28, v2, v24, -v28
	v_fmac_f32_e32 v29, v3, v24
	v_add_f32_e32 v20, v20, v28
	v_add_f32_e32 v21, v21, v29
	v_mul_f32_e32 v28, v3, v27
	v_mul_f32_e32 v29, v2, v27
	v_fma_f32 v28, v2, v26, -v28
	v_fmac_f32_e32 v29, v3, v26
	v_add_f32_e32 v22, v22, v28
	v_add_f32_e32 v23, v23, v29
	ds_read2_b64 v[28:31], v54 offset0:96 offset1:112
	s_waitcnt lgkmcnt(0)
	v_mul_f32_e32 v57, v3, v29
	v_mul_f32_e32 v65, v3, v31
	v_fma_f32 v57, v2, v28, -v57
	v_mul_f32_e32 v58, v2, v29
	v_fma_f32 v65, v2, v30, -v65
	v_mul_f32_e32 v2, v2, v31
	v_fmac_f32_e32 v2, v3, v30
	v_add_f32_e32 v65, v1, v65
	v_add_f32_e32 v66, v0, v2
	v_mul_f32_e32 v0, v7, v25
	v_mul_f32_e32 v1, v6, v25
	v_fma_f32 v0, v6, v24, -v0
	v_fmac_f32_e32 v1, v7, v24
	v_add_f32_e32 v71, v71, v0
	v_add_f32_e32 v72, v72, v1
	v_mul_f32_e32 v0, v7, v27
	v_mul_f32_e32 v1, v6, v27
	v_fma_f32 v0, v6, v26, -v0
	;; [unrolled: 6-line block ×6, first 2 shown]
	v_fmac_f32_e32 v1, v19, v26
	ds_read2_b64 v[4:7], v54 offset0:128 offset1:144
	v_add_f32_e32 v57, v75, v57
	v_add_f32_e32 v75, v61, v0
	;; [unrolled: 1-line block ×3, first 2 shown]
	v_mul_f32_e32 v0, v19, v29
	v_mul_f32_e32 v1, v18, v29
	v_fmac_f32_e32 v58, v3, v28
	v_fma_f32 v0, v18, v28, -v0
	v_fmac_f32_e32 v1, v19, v28
	v_add_f32_e32 v58, v76, v58
	v_add_f32_e32 v76, v59, v0
	;; [unrolled: 1-line block ×3, first 2 shown]
	v_mul_f32_e32 v0, v19, v31
	v_mul_f32_e32 v1, v18, v31
	v_fma_f32 v0, v18, v30, -v0
	v_fmac_f32_e32 v1, v19, v30
	v_add_f32_e32 v17, v17, v0
	v_add_f32_e32 v16, v16, v1
	s_waitcnt lgkmcnt(0)
	v_mul_f32_e32 v0, v33, v5
	v_mul_f32_e32 v1, v32, v5
	v_fma_f32 v0, v32, v4, -v0
	v_fmac_f32_e32 v1, v33, v4
	v_add_f32_e32 v18, v20, v0
	v_add_f32_e32 v19, v21, v1
	v_mul_f32_e32 v0, v33, v7
	v_mul_f32_e32 v1, v32, v7
	v_fma_f32 v0, v32, v6, -v0
	v_fmac_f32_e32 v1, v33, v6
	v_add_f32_e32 v78, v22, v0
	v_add_f32_e32 v84, v23, v1
	ds_read2_b64 v[0:3], v54 offset0:160 offset1:176
	s_waitcnt lgkmcnt(0)
	v_mul_f32_e32 v21, v32, v1
	v_fmac_f32_e32 v21, v33, v0
	v_add_f32_e32 v85, v58, v21
	ds_read_b128 v[58:61], v55 offset:528
	v_mul_f32_e32 v20, v33, v1
	v_fma_f32 v20, v32, v0, -v20
	v_add_f32_e32 v57, v57, v20
	v_mul_f32_e32 v20, v33, v3
	v_mul_f32_e32 v21, v32, v3
	v_fma_f32 v20, v32, v2, -v20
	v_fmac_f32_e32 v21, v33, v2
	v_add_f32_e32 v32, v65, v20
	v_add_f32_e32 v33, v66, v21
	s_waitcnt lgkmcnt(0)
	v_mul_f32_e32 v20, v59, v5
	v_mul_f32_e32 v21, v58, v5
	v_fma_f32 v20, v58, v4, -v20
	v_fmac_f32_e32 v21, v59, v4
	v_add_f32_e32 v65, v71, v20
	v_add_f32_e32 v66, v72, v21
	v_mul_f32_e32 v20, v59, v7
	v_mul_f32_e32 v21, v58, v7
	v_fma_f32 v20, v58, v6, -v20
	v_fmac_f32_e32 v21, v59, v6
	v_add_f32_e32 v69, v69, v20
	v_add_f32_e32 v70, v70, v21
	;; [unrolled: 6-line block ×8, first 2 shown]
	ds_read2_b64 v[20:23], v54 offset0:192 offset1:208
	s_waitcnt lgkmcnt(0)
	v_mul_f32_e32 v16, v35, v21
	v_mul_f32_e32 v17, v34, v21
	v_fma_f32 v16, v34, v20, -v16
	v_fmac_f32_e32 v17, v35, v20
	v_add_f32_e32 v79, v18, v16
	v_add_f32_e32 v80, v19, v17
	v_mul_f32_e32 v16, v35, v23
	v_mul_f32_e32 v17, v34, v23
	v_fma_f32 v16, v34, v22, -v16
	v_fmac_f32_e32 v17, v35, v22
	v_add_f32_e32 v77, v78, v16
	v_add_f32_e32 v78, v84, v17
	ds_read2_b64 v[16:19], v54 offset0:224 offset1:240
	s_waitcnt lgkmcnt(0)
	v_mul_f32_e32 v71, v35, v17
	v_fma_f32 v71, v34, v16, -v71
	v_add_f32_e32 v75, v57, v71
	v_mul_f32_e32 v57, v35, v19
	v_mul_f32_e32 v72, v34, v17
	v_fma_f32 v57, v34, v18, -v57
	v_mul_f32_e32 v34, v34, v19
	v_fmac_f32_e32 v34, v35, v18
	v_add_f32_e32 v73, v32, v57
	v_add_f32_e32 v74, v33, v34
	v_mul_f32_e32 v32, v61, v21
	v_mul_f32_e32 v33, v60, v21
	v_fmac_f32_e32 v72, v35, v16
	v_fma_f32 v32, v60, v20, -v32
	v_fmac_f32_e32 v33, v61, v20
	v_add_f32_e32 v76, v85, v72
	v_add_f32_e32 v71, v65, v32
	v_add_f32_e32 v72, v66, v33
	v_mul_f32_e32 v32, v61, v23
	v_mul_f32_e32 v33, v60, v23
	v_fma_f32 v32, v60, v22, -v32
	v_fmac_f32_e32 v33, v61, v22
	v_add_f32_e32 v69, v69, v32
	v_add_f32_e32 v70, v70, v33
	v_mul_f32_e32 v32, v61, v17
	v_mul_f32_e32 v33, v60, v17
	v_fma_f32 v32, v60, v16, -v32
	v_fmac_f32_e32 v33, v61, v16
	v_add_f32_e32 v67, v67, v32
	v_add_f32_e32 v68, v68, v33
	;; [unrolled: 6-line block ×7, first 2 shown]
	ds_read_b128 v[32:35], v55 offset:1536
	s_waitcnt lgkmcnt(0)
	v_mul_f32_e32 v81, v33, v9
	v_mul_f32_e32 v9, v32, v9
	v_fmac_f32_e32 v9, v33, v8
	v_fma_f32 v81, v32, v8, -v81
	v_add_f32_e32 v51, v51, v9
	v_mul_f32_e32 v8, v33, v11
	v_mul_f32_e32 v9, v32, v11
	v_fma_f32 v8, v32, v10, -v8
	v_fmac_f32_e32 v9, v33, v10
	v_add_f32_e32 v48, v48, v8
	v_add_f32_e32 v49, v49, v9
	v_mul_f32_e32 v8, v33, v13
	v_mul_f32_e32 v9, v32, v13
	v_fma_f32 v8, v32, v12, -v8
	v_fmac_f32_e32 v9, v33, v12
	v_add_f32_e32 v12, v47, v8
	v_add_f32_e32 v13, v46, v9
	v_pk_mul_f32 v[8:9], v[32:33], v[14:15] op_sel:[0,1]
	v_pk_fma_f32 v[10:11], v[32:33], v[14:15], v[8:9] op_sel:[0,0,1] op_sel_hi:[1,1,0] neg_lo:[0,0,1] neg_hi:[0,0,1]
	v_pk_fma_f32 v[8:9], v[32:33], v[14:15], v[8:9] op_sel:[0,0,1] op_sel_hi:[1,0,0]
	v_mov_b32_e32 v11, v9
	v_pk_add_f32 v[8:9], v[36:37], v[10:11]
	v_mul_f32_e32 v10, v35, v25
	v_mul_f32_e32 v11, v34, v25
	v_add_f32_e32 v50, v50, v81
	v_fma_f32 v10, v34, v24, -v10
	v_fmac_f32_e32 v11, v35, v24
	v_add_f32_e32 v32, v50, v10
	v_add_f32_e32 v33, v51, v11
	v_mul_f32_e32 v10, v35, v27
	v_mul_f32_e32 v11, v34, v27
	v_fma_f32 v10, v34, v26, -v10
	v_fmac_f32_e32 v11, v35, v26
	v_add_f32_e32 v24, v48, v10
	v_add_f32_e32 v25, v49, v11
	v_mul_f32_e32 v10, v35, v29
	v_mul_f32_e32 v11, v34, v29
	v_fma_f32 v10, v34, v28, -v10
	v_fmac_f32_e32 v11, v35, v28
	v_add_f32_e32 v14, v12, v10
	v_add_f32_e32 v15, v13, v11
	v_pk_mul_f32 v[10:11], v[34:35], v[30:31] op_sel:[0,1]
	v_pk_fma_f32 v[12:13], v[34:35], v[30:31], v[10:11] op_sel:[0,0,1] op_sel_hi:[1,1,0] neg_lo:[0,0,1] neg_hi:[0,0,1]
	v_pk_fma_f32 v[10:11], v[34:35], v[30:31], v[10:11] op_sel:[0,0,1] op_sel_hi:[1,0,0]
	v_mov_b32_e32 v13, v11
	v_pk_add_f32 v[12:13], v[8:9], v[12:13]
	ds_read_b128 v[8:11], v55 offset:1552
	s_waitcnt lgkmcnt(0)
	s_barrier
	v_mul_f32_e32 v26, v9, v5
	v_mul_f32_e32 v5, v8, v5
	v_fma_f32 v26, v8, v4, -v26
	v_fmac_f32_e32 v5, v9, v4
	v_mul_f32_e32 v4, v9, v7
	v_add_f32_e32 v27, v33, v5
	v_fma_f32 v4, v8, v6, -v4
	v_mul_f32_e32 v5, v8, v7
	v_fmac_f32_e32 v5, v9, v6
	v_add_f32_e32 v6, v24, v4
	v_mul_f32_e32 v4, v9, v1
	v_mul_f32_e32 v1, v8, v1
	v_fmac_f32_e32 v1, v9, v0
	v_fma_f32 v4, v8, v0, -v4
	v_add_f32_e32 v15, v15, v1
	v_pk_mul_f32 v[0:1], v[8:9], v[2:3] op_sel:[0,1]
	v_add_f32_e32 v7, v25, v5
	v_add_f32_e32 v14, v14, v4
	v_pk_fma_f32 v[4:5], v[8:9], v[2:3], v[0:1] op_sel:[0,0,1] op_sel_hi:[1,1,0] neg_lo:[0,0,1] neg_hi:[0,0,1]
	v_pk_fma_f32 v[0:1], v[8:9], v[2:3], v[0:1] op_sel:[0,0,1] op_sel_hi:[1,0,0]
	v_mul_f32_e32 v2, v11, v21
	v_mul_f32_e32 v3, v10, v21
	v_add_f32_e32 v26, v32, v26
	v_fma_f32 v2, v10, v20, -v2
	v_fmac_f32_e32 v3, v11, v20
	v_add_f32_e32 v50, v26, v2
	v_add_f32_e32 v51, v27, v3
	v_mul_f32_e32 v2, v11, v23
	v_mul_f32_e32 v3, v10, v23
	v_fma_f32 v2, v10, v22, -v2
	v_fmac_f32_e32 v3, v11, v22
	v_add_f32_e32 v48, v6, v2
	v_add_f32_e32 v49, v7, v3
	v_mul_f32_e32 v2, v11, v17
	v_mul_f32_e32 v3, v10, v17
	v_fma_f32 v2, v10, v16, -v2
	v_fmac_f32_e32 v3, v11, v16
	v_mov_b32_e32 v5, v1
	v_add_f32_e32 v47, v14, v2
	v_add_f32_e32 v46, v15, v3
	v_pk_mul_f32 v[2:3], v[10:11], v[18:19] op_sel:[0,1]
	v_pk_add_f32 v[0:1], v[12:13], v[4:5]
	v_pk_fma_f32 v[4:5], v[10:11], v[18:19], v[2:3] op_sel:[0,0,1] op_sel_hi:[1,1,0] neg_lo:[0,0,1] neg_hi:[0,0,1]
	v_pk_fma_f32 v[2:3], v[10:11], v[18:19], v[2:3] op_sel:[0,0,1] op_sel_hi:[1,0,0]
	v_mov_b32_e32 v5, v3
	v_pk_add_f32 v[36:37], v[0:1], v[4:5]
	s_cbranch_vccnz .LBB238_2
	s_branch .LBB238_4
.LBB238_3:
	v_mov_b32_e32 v37, 0
	v_mov_b32_e32 v36, v37
	v_mov_b32_e32 v79, v37
	v_mov_b32_e32 v80, v37
	v_mov_b32_e32 v77, v37
	v_mov_b32_e32 v78, v37
	v_mov_b32_e32 v75, v37
	v_mov_b32_e32 v76, v37
	v_mov_b32_e32 v73, v37
	v_mov_b32_e32 v74, v37
	v_mov_b32_e32 v71, v37
	v_mov_b32_e32 v72, v37
	v_mov_b32_e32 v69, v37
	v_mov_b32_e32 v70, v37
	v_mov_b32_e32 v67, v37
	v_mov_b32_e32 v68, v37
	v_mov_b32_e32 v65, v37
	v_mov_b32_e32 v66, v37
	v_mov_b32_e32 v63, v37
	v_mov_b32_e32 v64, v37
	v_mov_b32_e32 v61, v37
	v_mov_b32_e32 v62, v37
	v_mov_b32_e32 v59, v37
	v_mov_b32_e32 v60, v37
	v_mov_b32_e32 v57, v37
	v_mov_b32_e32 v58, v37
	v_mov_b32_e32 v50, v37
	v_mov_b32_e32 v51, v37
	v_mov_b32_e32 v48, v37
	v_mov_b32_e32 v49, v37
	v_mov_b32_e32 v47, v37
	v_mov_b32_e32 v46, v37
.LBB238_4:
	s_lshl_b64 s[2:3], s[2:3], 3
	s_waitcnt lgkmcnt(0)
	s_add_u32 s8, s8, s2
	v_mov_b32_e32 v0, s29
	v_add_co_u32_e32 v4, vcc, s28, v45
	s_addc_u32 s9, s9, s3
	v_addc_co_u32_e32 v5, vcc, 0, v0, vcc
	s_or_b32 s2, s10, s11
	s_bitset0_b32 s2, 31
	v_mov_b32_e32 v1, s7
	v_add_co_u32_e32 v0, vcc, s6, v44
	s_cmp_lg_u32 s2, 0
	v_addc_co_u32_e32 v1, vcc, 0, v1, vcc
	s_mov_b32 s2, s15
	s_mov_b32 s3, s14
	s_cbranch_scc1 .LBB238_6
; %bb.5:
	v_mul_lo_u32 v6, v5, s0
	v_mul_lo_u32 v7, v4, s1
	v_mad_u64_u32 v[2:3], s[6:7], v4, s0, 0
	v_add3_u32 v3, v3, v7, v6
	v_lshlrev_b64 v[2:3], 3, v[2:3]
	v_mov_b32_e32 v6, s9
	v_add_co_u32_e32 v8, vcc, s8, v2
	v_addc_co_u32_e32 v9, vcc, v6, v3, vcc
	v_lshlrev_b64 v[6:7], 3, v[0:1]
	v_mul_f32_e32 v2, s15, v80
	v_mul_f32_e32 v3, s14, v80
	v_add_co_u32_e32 v6, vcc, v8, v6
	v_fma_f32 v2, v79, s14, -v2
	v_fmac_f32_e32 v3, s15, v79
	v_addc_co_u32_e32 v7, vcc, v9, v7, vcc
	global_store_dwordx2 v[6:7], v[2:3], off
	v_mul_f32_e32 v2, s15, v78
	v_mul_f32_e32 v3, s14, v78
	v_fma_f32 v2, v77, s14, -v2
	v_fmac_f32_e32 v3, s15, v77
	global_store_dwordx2 v[6:7], v[2:3], off offset:128
	v_mul_f32_e32 v2, s15, v76
	v_mul_f32_e32 v3, s14, v76
	v_fma_f32 v2, v75, s14, -v2
	v_fmac_f32_e32 v3, s15, v75
	global_store_dwordx2 v[6:7], v[2:3], off offset:256
	v_mul_f32_e32 v2, s15, v74
	v_mul_f32_e32 v3, s14, v74
	v_fma_f32 v2, v73, s14, -v2
	v_fmac_f32_e32 v3, s15, v73
	s_lshl_b64 s[6:7], s[0:1], 7
	global_store_dwordx2 v[6:7], v[2:3], off offset:384
	v_mul_f32_e32 v2, s15, v72
	v_mul_f32_e32 v3, s14, v72
	v_mov_b32_e32 v9, s7
	v_add_co_u32_e32 v6, vcc, s6, v6
	v_fma_f32 v2, v71, s14, -v2
	v_fmac_f32_e32 v3, s15, v71
	v_addc_co_u32_e32 v7, vcc, v7, v9, vcc
	global_store_dwordx2 v[6:7], v[2:3], off
	v_mul_f32_e32 v2, s15, v70
	v_mul_f32_e32 v3, s14, v70
	v_fma_f32 v2, v69, s14, -v2
	v_fmac_f32_e32 v3, s15, v69
	global_store_dwordx2 v[6:7], v[2:3], off offset:128
	v_mul_f32_e32 v2, s15, v68
	v_mul_f32_e32 v3, s14, v68
	v_fma_f32 v2, v67, s14, -v2
	v_fmac_f32_e32 v3, s15, v67
	global_store_dwordx2 v[6:7], v[2:3], off offset:256
	;; [unrolled: 5-line block ×3, first 2 shown]
	v_mul_f32_e32 v2, s15, v64
	v_mul_f32_e32 v3, s14, v64
	v_add_co_u32_e32 v6, vcc, s6, v6
	v_fma_f32 v2, v63, s14, -v2
	v_fmac_f32_e32 v3, s15, v63
	v_addc_co_u32_e32 v7, vcc, v7, v9, vcc
	global_store_dwordx2 v[6:7], v[2:3], off
	v_mul_f32_e32 v2, s15, v62
	v_mul_f32_e32 v3, s14, v62
	v_fma_f32 v2, v61, s14, -v2
	v_fmac_f32_e32 v3, s15, v61
	global_store_dwordx2 v[6:7], v[2:3], off offset:128
	v_mul_f32_e32 v2, s15, v60
	v_mul_f32_e32 v3, s14, v60
	v_fma_f32 v2, v59, s14, -v2
	v_fmac_f32_e32 v3, s15, v59
	global_store_dwordx2 v[6:7], v[2:3], off offset:256
	;; [unrolled: 5-line block ×3, first 2 shown]
	v_mul_f32_e32 v2, s15, v51
	v_mul_f32_e32 v3, s14, v51
	v_add_co_u32_e32 v8, vcc, s6, v6
	v_fma_f32 v2, v50, s14, -v2
	v_fmac_f32_e32 v3, s15, v50
	v_addc_co_u32_e32 v9, vcc, v7, v9, vcc
	global_store_dwordx2 v[8:9], v[2:3], off
	v_mul_f32_e32 v2, s15, v49
	v_mul_f32_e32 v3, s14, v49
	v_fma_f32 v2, v48, s14, -v2
	v_fmac_f32_e32 v3, s15, v48
	global_store_dwordx2 v[8:9], v[2:3], off offset:128
	v_mul_f32_e32 v2, s15, v46
	v_mul_f32_e32 v3, s14, v46
	v_fma_f32 v2, v47, s14, -v2
	v_fmac_f32_e32 v3, s15, v47
	global_store_dwordx2 v[8:9], v[2:3], off offset:256
	v_mul_f32_e32 v2, s3, v36
	v_fma_f32 v7, -v37, s2, v2
	v_pk_mul_f32 v[2:3], v[36:37], s[2:3]
	v_add_f32_e32 v6, v2, v3
	v_add_co_u32_e32 v2, vcc, 0x180, v8
	v_addc_co_u32_e32 v3, vcc, 0, v9, vcc
	global_store_dword v[8:9], v7, off offset:384
	s_cbranch_execz .LBB238_7
	s_branch .LBB238_8
.LBB238_6:
                                        ; implicit-def: $vgpr6
                                        ; implicit-def: $vgpr2_vgpr3
.LBB238_7:
	s_lshl_b64 s[6:7], s[40:41], 3
	s_add_u32 s6, s4, s6
	s_addc_u32 s7, s5, s7
	v_mul_lo_u32 v6, v5, s38
	v_mul_lo_u32 v7, v4, s39
	v_mad_u64_u32 v[2:3], s[4:5], v4, s38, 0
	v_add3_u32 v3, v3, v7, v6
	v_lshlrev_b64 v[2:3], 3, v[2:3]
	v_mov_b32_e32 v6, s7
	v_add_co_u32_e32 v2, vcc, s6, v2
	v_addc_co_u32_e32 v3, vcc, v6, v3, vcc
	v_lshlrev_b64 v[0:1], 3, v[0:1]
	v_add_co_u32_e32 v2, vcc, v2, v0
	v_addc_co_u32_e32 v3, vcc, v3, v1, vcc
	global_load_dwordx2 v[6:7], v[2:3], off
	v_mul_lo_u32 v8, v5, s0
	v_mul_lo_u32 v9, v4, s1
	v_mad_u64_u32 v[4:5], s[4:5], v4, s0, 0
	v_add3_u32 v5, v5, v9, v8
	v_lshlrev_b64 v[4:5], 3, v[4:5]
	v_mov_b32_e32 v10, s9
	v_add_co_u32_e32 v4, vcc, s8, v4
	v_addc_co_u32_e32 v5, vcc, v10, v5, vcc
	v_add_co_u32_e32 v0, vcc, v4, v0
	v_mul_f32_e32 v11, s15, v80
	v_mul_f32_e32 v12, s14, v80
	v_addc_co_u32_e32 v1, vcc, v5, v1, vcc
	v_fma_f32 v8, v79, s14, -v11
	v_fmac_f32_e32 v12, s15, v79
	s_lshl_b64 s[4:5], s[38:39], 7
	s_lshl_b64 s[0:1], s[0:1], 7
	s_waitcnt vmcnt(0)
	v_mul_f32_e32 v4, s11, v7
	v_mul_f32_e32 v5, s10, v7
	v_fma_f32 v4, v6, s10, -v4
	v_fmac_f32_e32 v5, s11, v6
	v_add_f32_e32 v4, v8, v4
	v_add_f32_e32 v5, v12, v5
	global_store_dwordx2 v[0:1], v[4:5], off
	global_load_dwordx2 v[4:5], v[2:3], off offset:128
	v_mul_f32_e32 v6, s15, v78
	v_mul_f32_e32 v7, s14, v78
	v_fma_f32 v6, v77, s14, -v6
	v_fmac_f32_e32 v7, s15, v77
	s_waitcnt vmcnt(0)
	v_mul_f32_e32 v8, s11, v5
	v_mul_f32_e32 v5, s10, v5
	v_fma_f32 v8, v4, s10, -v8
	v_fmac_f32_e32 v5, s11, v4
	v_add_f32_e32 v4, v6, v8
	v_add_f32_e32 v5, v7, v5
	global_store_dwordx2 v[0:1], v[4:5], off offset:128
	global_load_dwordx2 v[4:5], v[2:3], off offset:256
	v_mul_f32_e32 v6, s15, v76
	v_mul_f32_e32 v7, s14, v76
	v_fma_f32 v6, v75, s14, -v6
	v_fmac_f32_e32 v7, s15, v75
	s_waitcnt vmcnt(0)
	v_mul_f32_e32 v8, s11, v5
	v_mul_f32_e32 v5, s10, v5
	v_fma_f32 v8, v4, s10, -v8
	v_fmac_f32_e32 v5, s11, v4
	v_add_f32_e32 v4, v6, v8
	v_add_f32_e32 v5, v7, v5
	global_store_dwordx2 v[0:1], v[4:5], off offset:256
	global_load_dwordx2 v[4:5], v[2:3], off offset:384
	v_mul_f32_e32 v6, s15, v74
	v_mul_f32_e32 v7, s14, v74
	v_fma_f32 v6, v73, s14, -v6
	v_fmac_f32_e32 v7, s15, v73
	v_mov_b32_e32 v8, s5
	v_add_co_u32_e32 v2, vcc, s4, v2
	v_addc_co_u32_e32 v3, vcc, v3, v8, vcc
	s_waitcnt vmcnt(0)
	v_mul_f32_e32 v9, s11, v5
	v_mul_f32_e32 v5, s10, v5
	v_fma_f32 v9, v4, s10, -v9
	v_fmac_f32_e32 v5, s11, v4
	v_add_f32_e32 v4, v6, v9
	v_add_f32_e32 v5, v7, v5
	global_store_dwordx2 v[0:1], v[4:5], off offset:384
	global_load_dwordx2 v[4:5], v[2:3], off
	v_mul_f32_e32 v6, s15, v72
	v_mul_f32_e32 v7, s14, v72
	v_fma_f32 v6, v71, s14, -v6
	v_fmac_f32_e32 v7, s15, v71
	v_mov_b32_e32 v9, s1
	v_add_co_u32_e32 v0, vcc, s0, v0
	v_addc_co_u32_e32 v1, vcc, v1, v9, vcc
	s_waitcnt vmcnt(0)
	v_mul_f32_e32 v10, s11, v5
	v_mul_f32_e32 v5, s10, v5
	v_fma_f32 v10, v4, s10, -v10
	v_fmac_f32_e32 v5, s11, v4
	v_add_f32_e32 v4, v6, v10
	v_add_f32_e32 v5, v7, v5
	global_store_dwordx2 v[0:1], v[4:5], off
	global_load_dwordx2 v[4:5], v[2:3], off offset:128
	v_mul_f32_e32 v6, s15, v70
	v_mul_f32_e32 v7, s14, v70
	v_fma_f32 v6, v69, s14, -v6
	v_fmac_f32_e32 v7, s15, v69
	s_waitcnt vmcnt(0)
	v_mul_f32_e32 v10, s11, v5
	v_mul_f32_e32 v5, s10, v5
	v_fma_f32 v10, v4, s10, -v10
	v_fmac_f32_e32 v5, s11, v4
	v_add_f32_e32 v4, v6, v10
	v_add_f32_e32 v5, v7, v5
	global_store_dwordx2 v[0:1], v[4:5], off offset:128
	global_load_dwordx2 v[4:5], v[2:3], off offset:256
	v_mul_f32_e32 v6, s15, v68
	v_mul_f32_e32 v7, s14, v68
	v_fma_f32 v6, v67, s14, -v6
	v_fmac_f32_e32 v7, s15, v67
	s_waitcnt vmcnt(0)
	v_mul_f32_e32 v10, s11, v5
	v_mul_f32_e32 v5, s10, v5
	v_fma_f32 v10, v4, s10, -v10
	v_fmac_f32_e32 v5, s11, v4
	v_add_f32_e32 v4, v6, v10
	v_add_f32_e32 v5, v7, v5
	global_store_dwordx2 v[0:1], v[4:5], off offset:256
	global_load_dwordx2 v[4:5], v[2:3], off offset:384
	v_mul_f32_e32 v6, s15, v66
	v_mul_f32_e32 v7, s14, v66
	v_fma_f32 v6, v65, s14, -v6
	v_fmac_f32_e32 v7, s15, v65
	v_add_co_u32_e32 v2, vcc, s4, v2
	v_addc_co_u32_e32 v3, vcc, v3, v8, vcc
	s_waitcnt vmcnt(0)
	v_mul_f32_e32 v10, s11, v5
	v_mul_f32_e32 v5, s10, v5
	v_fma_f32 v10, v4, s10, -v10
	v_fmac_f32_e32 v5, s11, v4
	v_add_f32_e32 v4, v6, v10
	v_add_f32_e32 v5, v7, v5
	global_store_dwordx2 v[0:1], v[4:5], off offset:384
	global_load_dwordx2 v[4:5], v[2:3], off
	v_mul_f32_e32 v6, s15, v64
	v_mul_f32_e32 v7, s14, v64
	v_fma_f32 v6, v63, s14, -v6
	v_fmac_f32_e32 v7, s15, v63
	v_add_co_u32_e32 v0, vcc, s0, v0
	v_addc_co_u32_e32 v1, vcc, v1, v9, vcc
	s_waitcnt vmcnt(0)
	v_mul_f32_e32 v10, s11, v5
	v_mul_f32_e32 v5, s10, v5
	v_fma_f32 v10, v4, s10, -v10
	v_fmac_f32_e32 v5, s11, v4
	v_add_f32_e32 v4, v6, v10
	v_add_f32_e32 v5, v7, v5
	global_store_dwordx2 v[0:1], v[4:5], off
	global_load_dwordx2 v[4:5], v[2:3], off offset:128
	v_mul_f32_e32 v6, s15, v62
	v_mul_f32_e32 v7, s14, v62
	v_fma_f32 v6, v61, s14, -v6
	v_fmac_f32_e32 v7, s15, v61
	s_waitcnt vmcnt(0)
	v_mul_f32_e32 v10, s11, v5
	v_mul_f32_e32 v5, s10, v5
	v_fma_f32 v10, v4, s10, -v10
	v_fmac_f32_e32 v5, s11, v4
	v_add_f32_e32 v4, v6, v10
	v_add_f32_e32 v5, v7, v5
	global_store_dwordx2 v[0:1], v[4:5], off offset:128
	global_load_dwordx2 v[4:5], v[2:3], off offset:256
	v_mul_f32_e32 v6, s15, v60
	v_mul_f32_e32 v7, s14, v60
	v_fma_f32 v6, v59, s14, -v6
	v_fmac_f32_e32 v7, s15, v59
	s_waitcnt vmcnt(0)
	v_mul_f32_e32 v10, s11, v5
	v_mul_f32_e32 v5, s10, v5
	v_fma_f32 v10, v4, s10, -v10
	v_fmac_f32_e32 v5, s11, v4
	v_add_f32_e32 v4, v6, v10
	v_add_f32_e32 v5, v7, v5
	global_store_dwordx2 v[0:1], v[4:5], off offset:256
	global_load_dwordx2 v[4:5], v[2:3], off offset:384
	v_add_co_u32_e32 v2, vcc, s4, v2
	v_mul_f32_e32 v6, s15, v58
	v_mul_f32_e32 v7, s14, v58
	v_addc_co_u32_e32 v3, vcc, v3, v8, vcc
	v_fma_f32 v6, v57, s14, -v6
	v_fmac_f32_e32 v7, s15, v57
	s_waitcnt vmcnt(0)
	v_mul_f32_e32 v8, s11, v5
	v_mul_f32_e32 v5, s10, v5
	v_fma_f32 v8, v4, s10, -v8
	v_fmac_f32_e32 v5, s11, v4
	v_add_f32_e32 v4, v6, v8
	v_add_f32_e32 v5, v7, v5
	global_store_dwordx2 v[0:1], v[4:5], off offset:384
	global_load_dwordx2 v[4:5], v[2:3], off
	v_mul_f32_e32 v6, s15, v51
	v_mul_f32_e32 v7, s14, v51
	v_fma_f32 v6, v50, s14, -v6
	v_fmac_f32_e32 v7, s15, v50
	v_add_co_u32_e32 v0, vcc, s0, v0
	v_addc_co_u32_e32 v1, vcc, v1, v9, vcc
	s_waitcnt vmcnt(0)
	v_mul_f32_e32 v8, s11, v5
	v_mul_f32_e32 v5, s10, v5
	v_fma_f32 v8, v4, s10, -v8
	v_fmac_f32_e32 v5, s11, v4
	v_add_f32_e32 v4, v6, v8
	v_add_f32_e32 v5, v7, v5
	global_store_dwordx2 v[0:1], v[4:5], off
	global_load_dwordx2 v[4:5], v[2:3], off offset:128
	v_mul_f32_e32 v6, s15, v49
	v_mul_f32_e32 v7, s14, v49
	v_fma_f32 v6, v48, s14, -v6
	v_fmac_f32_e32 v7, s15, v48
	s_waitcnt vmcnt(0)
	v_mul_f32_e32 v8, s11, v5
	v_mul_f32_e32 v5, s10, v5
	v_fma_f32 v8, v4, s10, -v8
	v_fmac_f32_e32 v5, s11, v4
	v_add_f32_e32 v4, v6, v8
	v_add_f32_e32 v5, v7, v5
	global_store_dwordx2 v[0:1], v[4:5], off offset:128
	global_load_dwordx2 v[4:5], v[2:3], off offset:256
	v_mul_f32_e32 v6, s15, v46
	v_mul_f32_e32 v7, s14, v46
	v_fma_f32 v6, v47, s14, -v6
	v_fmac_f32_e32 v7, s15, v47
	s_waitcnt vmcnt(0)
	v_mul_f32_e32 v8, s11, v5
	v_mul_f32_e32 v5, s10, v5
	v_fma_f32 v8, v4, s10, -v8
	v_fmac_f32_e32 v5, s11, v4
	v_add_f32_e32 v4, v6, v8
	v_add_f32_e32 v5, v7, v5
	global_store_dwordx2 v[0:1], v[4:5], off offset:256
	global_load_dwordx2 v[4:5], v[2:3], off offset:384
	v_mul_f32_e32 v6, s3, v36
	v_pk_mul_f32 v[2:3], v[36:37], s[2:3]
	v_fma_f32 v8, -v37, s2, v6
	v_add_f32_e32 v3, v2, v3
	v_add_co_u32_e32 v2, vcc, 0x180, v0
	s_waitcnt vmcnt(0)
	v_pk_mul_f32 v[6:7], v[4:5], s[10:11] op_sel:[0,1] op_sel_hi:[1,0]
	v_mul_f32_e32 v4, s10, v4
	v_fma_f32 v4, -v5, s11, v4
	v_add_f32_e32 v5, v6, v7
	v_add_f32_e32 v4, v8, v4
	;; [unrolled: 1-line block ×3, first 2 shown]
	v_addc_co_u32_e32 v3, vcc, 0, v1, vcc
	global_store_dword v[0:1], v4, off offset:384
.LBB238_8:
	global_store_dword v[2:3], v6, off offset:4
	s_endpgm
	.section	.rodata,"a",@progbits
	.p2align	6, 0x0
	.amdhsa_kernel _ZN12_GLOBAL__N_127rocblas_gemm_batched_kernelI19rocblas_complex_numIfELi16ELi16ELi64ELi64ELi4ELi64ELi4ELi4ELi64ELc67ELc67EKPKS2_S5_KPS2_EEvlllT_PT11_llSA_llS8_PT12_llPT13_lli
		.amdhsa_group_segment_fixed_size 4096
		.amdhsa_private_segment_fixed_size 0
		.amdhsa_kernarg_size 140
		.amdhsa_user_sgpr_count 6
		.amdhsa_user_sgpr_private_segment_buffer 1
		.amdhsa_user_sgpr_dispatch_ptr 0
		.amdhsa_user_sgpr_queue_ptr 0
		.amdhsa_user_sgpr_kernarg_segment_ptr 1
		.amdhsa_user_sgpr_dispatch_id 0
		.amdhsa_user_sgpr_flat_scratch_init 0
		.amdhsa_user_sgpr_kernarg_preload_length 0
		.amdhsa_user_sgpr_kernarg_preload_offset 0
		.amdhsa_user_sgpr_private_segment_size 0
		.amdhsa_uses_dynamic_stack 0
		.amdhsa_system_sgpr_private_segment_wavefront_offset 0
		.amdhsa_system_sgpr_workgroup_id_x 1
		.amdhsa_system_sgpr_workgroup_id_y 1
		.amdhsa_system_sgpr_workgroup_id_z 1
		.amdhsa_system_sgpr_workgroup_info 0
		.amdhsa_system_vgpr_workitem_id 1
		.amdhsa_next_free_vgpr 90
		.amdhsa_next_free_sgpr 44
		.amdhsa_accum_offset 92
		.amdhsa_reserve_vcc 1
		.amdhsa_reserve_flat_scratch 0
		.amdhsa_float_round_mode_32 0
		.amdhsa_float_round_mode_16_64 0
		.amdhsa_float_denorm_mode_32 3
		.amdhsa_float_denorm_mode_16_64 3
		.amdhsa_dx10_clamp 1
		.amdhsa_ieee_mode 1
		.amdhsa_fp16_overflow 0
		.amdhsa_tg_split 0
		.amdhsa_exception_fp_ieee_invalid_op 0
		.amdhsa_exception_fp_denorm_src 0
		.amdhsa_exception_fp_ieee_div_zero 0
		.amdhsa_exception_fp_ieee_overflow 0
		.amdhsa_exception_fp_ieee_underflow 0
		.amdhsa_exception_fp_ieee_inexact 0
		.amdhsa_exception_int_div_zero 0
	.end_amdhsa_kernel
	.section	.text._ZN12_GLOBAL__N_127rocblas_gemm_batched_kernelI19rocblas_complex_numIfELi16ELi16ELi64ELi64ELi4ELi64ELi4ELi4ELi64ELc67ELc67EKPKS2_S5_KPS2_EEvlllT_PT11_llSA_llS8_PT12_llPT13_lli,"axG",@progbits,_ZN12_GLOBAL__N_127rocblas_gemm_batched_kernelI19rocblas_complex_numIfELi16ELi16ELi64ELi64ELi4ELi64ELi4ELi4ELi64ELc67ELc67EKPKS2_S5_KPS2_EEvlllT_PT11_llSA_llS8_PT12_llPT13_lli,comdat
.Lfunc_end238:
	.size	_ZN12_GLOBAL__N_127rocblas_gemm_batched_kernelI19rocblas_complex_numIfELi16ELi16ELi64ELi64ELi4ELi64ELi4ELi4ELi64ELc67ELc67EKPKS2_S5_KPS2_EEvlllT_PT11_llSA_llS8_PT12_llPT13_lli, .Lfunc_end238-_ZN12_GLOBAL__N_127rocblas_gemm_batched_kernelI19rocblas_complex_numIfELi16ELi16ELi64ELi64ELi4ELi64ELi4ELi4ELi64ELc67ELc67EKPKS2_S5_KPS2_EEvlllT_PT11_llSA_llS8_PT12_llPT13_lli
                                        ; -- End function
	.section	.AMDGPU.csdata,"",@progbits
; Kernel info:
; codeLenInByte = 4756
; NumSgprs: 48
; NumVgprs: 90
; NumAgprs: 0
; TotalNumVgprs: 90
; ScratchSize: 0
; MemoryBound: 0
; FloatMode: 240
; IeeeMode: 1
; LDSByteSize: 4096 bytes/workgroup (compile time only)
; SGPRBlocks: 5
; VGPRBlocks: 11
; NumSGPRsForWavesPerEU: 48
; NumVGPRsForWavesPerEU: 90
; AccumOffset: 92
; Occupancy: 5
; WaveLimiterHint : 1
; COMPUTE_PGM_RSRC2:SCRATCH_EN: 0
; COMPUTE_PGM_RSRC2:USER_SGPR: 6
; COMPUTE_PGM_RSRC2:TRAP_HANDLER: 0
; COMPUTE_PGM_RSRC2:TGID_X_EN: 1
; COMPUTE_PGM_RSRC2:TGID_Y_EN: 1
; COMPUTE_PGM_RSRC2:TGID_Z_EN: 1
; COMPUTE_PGM_RSRC2:TIDIG_COMP_CNT: 1
; COMPUTE_PGM_RSRC3_GFX90A:ACCUM_OFFSET: 22
; COMPUTE_PGM_RSRC3_GFX90A:TG_SPLIT: 0
	.section	.text._ZN12_GLOBAL__N_127rocblas_gemm_batched_kernelI19rocblas_complex_numIfELi16ELi16ELi64ELi64ELi4ELi64ELi4ELi4ELi64ELc67ELc78EKPKS2_S5_KPS2_EEvlllT_PT11_llSA_llS8_PT12_llPT13_lli,"axG",@progbits,_ZN12_GLOBAL__N_127rocblas_gemm_batched_kernelI19rocblas_complex_numIfELi16ELi16ELi64ELi64ELi4ELi64ELi4ELi4ELi64ELc67ELc78EKPKS2_S5_KPS2_EEvlllT_PT11_llSA_llS8_PT12_llPT13_lli,comdat
	.globl	_ZN12_GLOBAL__N_127rocblas_gemm_batched_kernelI19rocblas_complex_numIfELi16ELi16ELi64ELi64ELi4ELi64ELi4ELi4ELi64ELc67ELc78EKPKS2_S5_KPS2_EEvlllT_PT11_llSA_llS8_PT12_llPT13_lli ; -- Begin function _ZN12_GLOBAL__N_127rocblas_gemm_batched_kernelI19rocblas_complex_numIfELi16ELi16ELi64ELi64ELi4ELi64ELi4ELi4ELi64ELc67ELc78EKPKS2_S5_KPS2_EEvlllT_PT11_llSA_llS8_PT12_llPT13_lli
	.p2align	8
	.type	_ZN12_GLOBAL__N_127rocblas_gemm_batched_kernelI19rocblas_complex_numIfELi16ELi16ELi64ELi64ELi4ELi64ELi4ELi4ELi64ELc67ELc78EKPKS2_S5_KPS2_EEvlllT_PT11_llSA_llS8_PT12_llPT13_lli,@function
_ZN12_GLOBAL__N_127rocblas_gemm_batched_kernelI19rocblas_complex_numIfELi16ELi16ELi64ELi64ELi4ELi64ELi4ELi4ELi64ELc67ELc78EKPKS2_S5_KPS2_EEvlllT_PT11_llSA_llS8_PT12_llPT13_lli: ; @_ZN12_GLOBAL__N_127rocblas_gemm_batched_kernelI19rocblas_complex_numIfELi16ELi16ELi64ELi64ELi4ELi64ELi4ELi4ELi64ELc67ELc78EKPKS2_S5_KPS2_EEvlllT_PT11_llSA_llS8_PT12_llPT13_lli
; %bb.0:
	s_load_dwordx16 s[12:27], s[4:5], 0x10
	s_load_dwordx4 s[0:3], s[4:5], 0x78
	s_load_dwordx8 s[36:43], s[4:5], 0x58
	s_load_dwordx2 s[10:11], s[4:5], 0x50
	s_mov_b32 s9, 0
	s_lshl_b64 s[30:31], s[8:9], 3
	s_mov_b32 s28, s7
	s_waitcnt lgkmcnt(0)
	s_add_u32 s4, s36, s30
	s_addc_u32 s5, s37, s31
	s_add_u32 s8, s42, s30
	s_addc_u32 s9, s43, s31
	s_load_dwordx2 s[4:5], s[4:5], 0x0
	s_ashr_i32 s7, s6, 31
	s_load_dwordx2 s[8:9], s[8:9], 0x0
	s_ashr_i32 s29, s28, 31
	v_cmp_lt_i64_e64 s[34:35], s[12:13], 1
	v_bfe_u32 v45, v0, 10, 10
	v_and_b32_e32 v44, 0x3ff, v0
	s_lshl_b64 s[6:7], s[6:7], 6
	s_lshl_b64 s[28:29], s[28:29], 6
	s_and_b64 vcc, exec, s[34:35]
	s_cbranch_vccnz .LBB239_3
; %bb.1:
	v_lshl_add_u32 v0, v45, 4, v44
	v_and_b32_e32 v4, 3, v44
	v_and_b32_e32 v5, 63, v0
	v_lshrrev_b32_e32 v1, 2, v0
	v_lshrrev_b32_e32 v6, 6, v0
	v_lshlrev_b32_e32 v0, 3, v5
	v_lshlrev_b32_e32 v4, 3, v4
	v_mov_b32_e32 v2, s29
	v_add_co_u32_e32 v3, vcc, s28, v1
	v_lshl_or_b32 v52, v6, 9, v0
	v_lshl_or_b32 v0, v1, 5, v4
	v_addc_co_u32_e32 v2, vcc, 0, v2, vcc
	v_add_u32_e32 v53, 0x800, v0
	v_mov_b32_e32 v0, 0x800
	v_lshl_add_u32 v55, v45, 5, v0
	v_mov_b32_e32 v0, s7
	v_add_co_u32_e32 v1, vcc, s6, v5
	s_add_u32 s16, s16, s30
	v_addc_co_u32_e32 v0, vcc, 0, v0, vcc
	s_addc_u32 s17, s17, s31
	v_mul_lo_u32 v5, s19, v1
	v_mul_lo_u32 v7, s18, v0
	v_mad_u64_u32 v[0:1], s[18:19], s18, v1, 0
	s_add_u32 s22, s22, s30
	v_add3_u32 v1, v1, v7, v5
	s_load_dwordx2 s[16:17], s[16:17], 0x0
	s_addc_u32 s23, s23, s31
	v_lshlrev_b64 v[0:1], 3, v[0:1]
	s_lshl_b64 s[18:19], s[20:21], 3
	v_mov_b32_e32 v5, s19
	v_add_co_u32_e32 v0, vcc, s18, v0
	v_addc_co_u32_e32 v1, vcc, v1, v5, vcc
	v_lshlrev_b32_e32 v5, 3, v6
	v_add_co_u32_e32 v0, vcc, v0, v5
	v_addc_co_u32_e32 v1, vcc, 0, v1, vcc
	s_waitcnt lgkmcnt(0)
	v_mov_b32_e32 v5, s17
	v_add_co_u32_e32 v0, vcc, s16, v0
	v_addc_co_u32_e32 v1, vcc, v1, v5, vcc
	v_add_co_u32_e32 v38, vcc, 4, v0
	v_addc_co_u32_e32 v39, vcc, 0, v1, vcc
	v_mul_lo_u32 v5, s25, v3
	v_mul_lo_u32 v2, s24, v2
	v_mad_u64_u32 v[0:1], s[16:17], s24, v3, 0
	v_add3_u32 v1, v1, v2, v5
	s_load_dwordx2 s[22:23], s[22:23], 0x0
	v_lshlrev_b64 v[0:1], 3, v[0:1]
	s_lshl_b64 s[16:17], s[26:27], 3
	v_mov_b32_e32 v2, s17
	v_add_co_u32_e32 v0, vcc, s16, v0
	v_addc_co_u32_e32 v1, vcc, v1, v2, vcc
	v_add_co_u32_e32 v0, vcc, v0, v4
	v_addc_co_u32_e32 v1, vcc, 0, v1, vcc
	s_waitcnt lgkmcnt(0)
	v_mov_b32_e32 v2, s23
	v_add_co_u32_e32 v40, vcc, s22, v0
	v_mov_b32_e32 v46, 0
	v_lshlrev_b32_e32 v54, 3, v44
	v_addc_co_u32_e32 v41, vcc, v2, v1, vcc
	s_mov_b64 s[16:17], 0
	v_pk_mov_b32 v[42:43], s[12:13], s[12:13] op_sel:[0,1]
	v_mov_b32_e32 v47, 0
	v_mov_b32_e32 v49, 0
	;; [unrolled: 1-line block ×31, first 2 shown]
.LBB239_2:                              ; =>This Inner Loop Header: Depth=1
	global_load_dwordx2 v[0:1], v[38:39], off offset:-4
	v_add_co_u32_e32 v38, vcc, 32, v38
	v_addc_co_u32_e32 v39, vcc, 0, v39, vcc
	s_add_u32 s16, s16, 4
	s_addc_u32 s17, s17, 0
	s_waitcnt vmcnt(0)
	v_xor_b32_e32 v1, 0x80000000, v1
	ds_write_b64 v52, v[0:1]
	global_load_dwordx2 v[0:1], v[40:41], off
	v_add_co_u32_e32 v40, vcc, 32, v40
	v_addc_co_u32_e32 v41, vcc, 0, v41, vcc
	v_cmp_lt_i64_e32 vcc, s[16:17], v[42:43]
	s_and_b64 vcc, exec, vcc
	s_waitcnt vmcnt(0)
	ds_write_b64 v53, v[0:1]
	s_waitcnt lgkmcnt(0)
	s_barrier
	ds_read_b128 v[0:3], v55
	ds_read_b128 v[32:35], v55 offset:16
	ds_read2_b64 v[8:11], v54 offset1:16
	ds_read2_b64 v[12:15], v54 offset0:32 offset1:48
	s_waitcnt lgkmcnt(1)
	v_mul_f32_e32 v4, v1, v9
	v_fma_f32 v4, v0, v8, -v4
	v_mul_f32_e32 v5, v0, v9
	v_add_f32_e32 v20, v78, v4
	v_mul_f32_e32 v4, v1, v11
	v_fmac_f32_e32 v5, v1, v8
	v_fma_f32 v4, v0, v10, -v4
	v_add_f32_e32 v21, v79, v5
	v_mul_f32_e32 v5, v0, v11
	v_add_f32_e32 v22, v76, v4
	s_waitcnt lgkmcnt(0)
	v_mul_f32_e32 v4, v1, v13
	v_fmac_f32_e32 v5, v1, v10
	v_fma_f32 v4, v0, v12, -v4
	v_add_f32_e32 v23, v77, v5
	v_mul_f32_e32 v5, v0, v13
	v_add_f32_e32 v74, v74, v4
	v_mul_f32_e32 v4, v1, v15
	v_fmac_f32_e32 v5, v1, v12
	v_fma_f32 v4, v0, v14, -v4
	v_mul_f32_e32 v0, v0, v15
	v_add_f32_e32 v75, v75, v5
	v_fmac_f32_e32 v0, v1, v14
	v_add_f32_e32 v1, v72, v4
	ds_read_b128 v[4:7], v55 offset:512
	ds_read_b128 v[78:81], v55 offset:1040
	v_add_f32_e32 v0, v73, v0
	s_waitcnt lgkmcnt(1)
	v_mul_f32_e32 v16, v5, v9
	v_fma_f32 v16, v4, v8, -v16
	v_mul_f32_e32 v17, v4, v9
	v_add_f32_e32 v70, v70, v16
	v_mul_f32_e32 v16, v5, v11
	v_fmac_f32_e32 v17, v5, v8
	v_fma_f32 v16, v4, v10, -v16
	v_add_f32_e32 v71, v71, v17
	v_mul_f32_e32 v17, v4, v11
	v_add_f32_e32 v68, v68, v16
	v_mul_f32_e32 v16, v5, v13
	v_fmac_f32_e32 v17, v5, v10
	v_fma_f32 v16, v4, v12, -v16
	v_add_f32_e32 v69, v69, v17
	v_mul_f32_e32 v17, v4, v13
	v_add_f32_e32 v66, v66, v16
	v_mul_f32_e32 v16, v5, v15
	v_fmac_f32_e32 v17, v5, v12
	v_fma_f32 v16, v4, v14, -v16
	v_mul_f32_e32 v4, v4, v15
	v_add_f32_e32 v67, v67, v17
	v_fmac_f32_e32 v4, v5, v14
	v_add_f32_e32 v5, v64, v16
	ds_read_b128 v[16:19], v55 offset:1024
	v_add_f32_e32 v4, v65, v4
	s_waitcnt lgkmcnt(0)
	v_mul_f32_e32 v24, v17, v9
	v_fma_f32 v24, v16, v8, -v24
	v_mul_f32_e32 v25, v16, v9
	v_add_f32_e32 v62, v62, v24
	v_mul_f32_e32 v24, v17, v11
	v_fmac_f32_e32 v25, v17, v8
	v_fma_f32 v24, v16, v10, -v24
	v_add_f32_e32 v63, v63, v25
	v_mul_f32_e32 v25, v16, v11
	v_add_f32_e32 v60, v60, v24
	v_mul_f32_e32 v24, v17, v13
	v_fmac_f32_e32 v25, v17, v10
	v_fma_f32 v24, v16, v12, -v24
	v_add_f32_e32 v61, v61, v25
	v_mul_f32_e32 v25, v16, v13
	v_add_f32_e32 v58, v58, v24
	v_mul_f32_e32 v24, v17, v15
	v_fmac_f32_e32 v25, v17, v12
	v_fma_f32 v24, v16, v14, -v24
	v_mul_f32_e32 v16, v16, v15
	v_add_f32_e32 v59, v59, v25
	v_fmac_f32_e32 v16, v17, v14
	v_add_f32_e32 v17, v56, v24
	ds_read2_b64 v[24:27], v54 offset0:64 offset1:80
	v_add_f32_e32 v16, v57, v16
	s_waitcnt lgkmcnt(0)
	v_mul_f32_e32 v28, v3, v25
	v_mul_f32_e32 v29, v2, v25
	v_fma_f32 v28, v2, v24, -v28
	v_fmac_f32_e32 v29, v3, v24
	v_add_f32_e32 v20, v20, v28
	v_add_f32_e32 v21, v21, v29
	v_mul_f32_e32 v28, v3, v27
	v_mul_f32_e32 v29, v2, v27
	v_fma_f32 v28, v2, v26, -v28
	v_fmac_f32_e32 v29, v3, v26
	v_add_f32_e32 v22, v22, v28
	v_add_f32_e32 v23, v23, v29
	ds_read2_b64 v[28:31], v54 offset0:96 offset1:112
	s_waitcnt lgkmcnt(0)
	v_mul_f32_e32 v56, v3, v29
	v_mul_f32_e32 v64, v3, v31
	v_fma_f32 v56, v2, v28, -v56
	v_mul_f32_e32 v57, v2, v29
	v_fma_f32 v64, v2, v30, -v64
	v_mul_f32_e32 v2, v2, v31
	v_fmac_f32_e32 v2, v3, v30
	v_add_f32_e32 v64, v1, v64
	v_add_f32_e32 v65, v0, v2
	v_mul_f32_e32 v0, v7, v25
	v_mul_f32_e32 v1, v6, v25
	v_fma_f32 v0, v6, v24, -v0
	v_fmac_f32_e32 v1, v7, v24
	v_add_f32_e32 v70, v70, v0
	v_add_f32_e32 v71, v71, v1
	v_mul_f32_e32 v0, v7, v27
	v_mul_f32_e32 v1, v6, v27
	v_fma_f32 v0, v6, v26, -v0
	;; [unrolled: 6-line block ×6, first 2 shown]
	v_fmac_f32_e32 v1, v19, v26
	ds_read2_b64 v[4:7], v54 offset0:128 offset1:144
	v_add_f32_e32 v60, v60, v0
	v_add_f32_e32 v61, v61, v1
	v_mul_f32_e32 v0, v19, v29
	v_mul_f32_e32 v1, v18, v29
	v_fmac_f32_e32 v57, v3, v28
	v_fma_f32 v0, v18, v28, -v0
	v_fmac_f32_e32 v1, v19, v28
	v_add_f32_e32 v56, v74, v56
	v_add_f32_e32 v57, v75, v57
	;; [unrolled: 1-line block ×4, first 2 shown]
	v_mul_f32_e32 v0, v19, v31
	v_mul_f32_e32 v1, v18, v31
	v_fma_f32 v0, v18, v30, -v0
	v_fmac_f32_e32 v1, v19, v30
	v_add_f32_e32 v17, v17, v0
	v_add_f32_e32 v16, v16, v1
	s_waitcnt lgkmcnt(0)
	v_mul_f32_e32 v0, v33, v5
	v_mul_f32_e32 v1, v32, v5
	v_fma_f32 v0, v32, v4, -v0
	v_fmac_f32_e32 v1, v33, v4
	v_add_f32_e32 v18, v20, v0
	v_add_f32_e32 v19, v21, v1
	v_mul_f32_e32 v0, v33, v7
	v_mul_f32_e32 v1, v32, v7
	v_fma_f32 v0, v32, v6, -v0
	v_fmac_f32_e32 v1, v33, v6
	v_add_f32_e32 v76, v22, v0
	v_add_f32_e32 v77, v23, v1
	ds_read2_b64 v[0:3], v54 offset0:160 offset1:176
	s_waitcnt lgkmcnt(0)
	v_mul_f32_e32 v20, v33, v1
	v_mul_f32_e32 v21, v32, v1
	v_fma_f32 v20, v32, v0, -v20
	v_fmac_f32_e32 v21, v33, v0
	v_add_f32_e32 v82, v56, v20
	v_add_f32_e32 v83, v57, v21
	ds_read_b128 v[56:59], v55 offset:528
	v_mul_f32_e32 v20, v33, v3
	v_mul_f32_e32 v21, v32, v3
	v_fma_f32 v20, v32, v2, -v20
	v_fmac_f32_e32 v21, v33, v2
	v_add_f32_e32 v32, v64, v20
	v_add_f32_e32 v33, v65, v21
	s_waitcnt lgkmcnt(0)
	v_mul_f32_e32 v20, v57, v5
	v_mul_f32_e32 v21, v56, v5
	v_fma_f32 v20, v56, v4, -v20
	v_fmac_f32_e32 v21, v57, v4
	v_add_f32_e32 v64, v70, v20
	v_add_f32_e32 v65, v71, v21
	v_mul_f32_e32 v20, v57, v7
	v_mul_f32_e32 v21, v56, v7
	v_fma_f32 v20, v56, v6, -v20
	v_fmac_f32_e32 v21, v57, v6
	v_add_f32_e32 v68, v68, v20
	v_add_f32_e32 v69, v69, v21
	v_mul_f32_e32 v20, v57, v1
	v_mul_f32_e32 v21, v56, v1
	v_fma_f32 v20, v56, v0, -v20
	v_fmac_f32_e32 v21, v57, v0
	v_add_f32_e32 v66, v66, v20
	v_add_f32_e32 v67, v67, v21
	v_mul_f32_e32 v20, v57, v3
	v_mul_f32_e32 v21, v56, v3
	v_fma_f32 v20, v56, v2, -v20
	v_fmac_f32_e32 v21, v57, v2
	v_add_f32_e32 v56, v72, v20
	v_add_f32_e32 v57, v73, v21
	v_mul_f32_e32 v20, v79, v5
	v_mul_f32_e32 v21, v78, v5
	v_fma_f32 v20, v78, v4, -v20
	v_fmac_f32_e32 v21, v79, v4
	v_add_f32_e32 v62, v62, v20
	v_add_f32_e32 v63, v63, v21
	v_mul_f32_e32 v20, v79, v7
	v_mul_f32_e32 v21, v78, v7
	v_fma_f32 v20, v78, v6, -v20
	v_fmac_f32_e32 v21, v79, v6
	v_add_f32_e32 v60, v60, v20
	v_add_f32_e32 v61, v61, v21
	v_mul_f32_e32 v20, v79, v1
	v_mul_f32_e32 v21, v78, v1
	v_fma_f32 v20, v78, v0, -v20
	v_fmac_f32_e32 v21, v79, v0
	v_add_f32_e32 v84, v74, v20
	v_add_f32_e32 v85, v75, v21
	v_mul_f32_e32 v20, v79, v3
	v_mul_f32_e32 v21, v78, v3
	v_fma_f32 v20, v78, v2, -v20
	v_fmac_f32_e32 v21, v79, v2
	v_add_f32_e32 v86, v17, v20
	v_add_f32_e32 v87, v16, v21
	ds_read2_b64 v[20:23], v54 offset0:192 offset1:208
	s_waitcnt lgkmcnt(0)
	v_mul_f32_e32 v16, v35, v21
	v_mul_f32_e32 v17, v34, v21
	v_fma_f32 v16, v34, v20, -v16
	v_fmac_f32_e32 v17, v35, v20
	v_add_f32_e32 v78, v18, v16
	v_add_f32_e32 v79, v19, v17
	v_mul_f32_e32 v16, v35, v23
	v_mul_f32_e32 v17, v34, v23
	v_fma_f32 v16, v34, v22, -v16
	v_fmac_f32_e32 v17, v35, v22
	v_add_f32_e32 v76, v76, v16
	v_add_f32_e32 v77, v77, v17
	ds_read2_b64 v[16:19], v54 offset0:224 offset1:240
	s_waitcnt lgkmcnt(0)
	v_mul_f32_e32 v70, v35, v17
	v_fma_f32 v70, v34, v16, -v70
	v_add_f32_e32 v74, v82, v70
	v_mul_f32_e32 v70, v35, v19
	v_mul_f32_e32 v71, v34, v17
	v_fma_f32 v70, v34, v18, -v70
	v_mul_f32_e32 v34, v34, v19
	v_fmac_f32_e32 v34, v35, v18
	v_add_f32_e32 v72, v32, v70
	v_add_f32_e32 v73, v33, v34
	v_mul_f32_e32 v32, v59, v21
	v_mul_f32_e32 v33, v58, v21
	v_fmac_f32_e32 v71, v35, v16
	v_fma_f32 v32, v58, v20, -v32
	v_fmac_f32_e32 v33, v59, v20
	v_add_f32_e32 v75, v83, v71
	v_add_f32_e32 v70, v64, v32
	;; [unrolled: 1-line block ×3, first 2 shown]
	v_mul_f32_e32 v32, v59, v23
	v_mul_f32_e32 v33, v58, v23
	v_fma_f32 v32, v58, v22, -v32
	v_fmac_f32_e32 v33, v59, v22
	v_add_f32_e32 v68, v68, v32
	v_add_f32_e32 v69, v69, v33
	v_mul_f32_e32 v32, v59, v17
	v_mul_f32_e32 v33, v58, v17
	v_fma_f32 v32, v58, v16, -v32
	v_fmac_f32_e32 v33, v59, v16
	v_add_f32_e32 v66, v66, v32
	v_add_f32_e32 v67, v67, v33
	;; [unrolled: 6-line block ×7, first 2 shown]
	ds_read_b128 v[32:35], v55 offset:1536
	s_waitcnt lgkmcnt(0)
	v_mul_f32_e32 v80, v33, v9
	v_mul_f32_e32 v9, v32, v9
	v_fmac_f32_e32 v9, v33, v8
	v_fma_f32 v80, v32, v8, -v80
	v_add_f32_e32 v51, v51, v9
	v_mul_f32_e32 v8, v33, v11
	v_mul_f32_e32 v9, v32, v11
	v_fma_f32 v8, v32, v10, -v8
	v_fmac_f32_e32 v9, v33, v10
	v_add_f32_e32 v48, v48, v8
	v_add_f32_e32 v49, v49, v9
	v_mul_f32_e32 v8, v33, v13
	v_mul_f32_e32 v9, v32, v13
	v_fma_f32 v8, v32, v12, -v8
	v_fmac_f32_e32 v9, v33, v12
	v_add_f32_e32 v12, v47, v8
	v_add_f32_e32 v13, v46, v9
	v_pk_mul_f32 v[8:9], v[32:33], v[14:15] op_sel:[0,1]
	v_pk_fma_f32 v[10:11], v[32:33], v[14:15], v[8:9] op_sel:[0,0,1] op_sel_hi:[1,1,0] neg_lo:[0,0,1] neg_hi:[0,0,1]
	v_pk_fma_f32 v[8:9], v[32:33], v[14:15], v[8:9] op_sel:[0,0,1] op_sel_hi:[1,0,0]
	v_mov_b32_e32 v11, v9
	v_pk_add_f32 v[8:9], v[36:37], v[10:11]
	v_mul_f32_e32 v10, v35, v25
	v_mul_f32_e32 v11, v34, v25
	v_add_f32_e32 v50, v50, v80
	v_fma_f32 v10, v34, v24, -v10
	v_fmac_f32_e32 v11, v35, v24
	v_add_f32_e32 v32, v50, v10
	v_add_f32_e32 v33, v51, v11
	v_mul_f32_e32 v10, v35, v27
	v_mul_f32_e32 v11, v34, v27
	v_fma_f32 v10, v34, v26, -v10
	v_fmac_f32_e32 v11, v35, v26
	v_add_f32_e32 v24, v48, v10
	v_add_f32_e32 v25, v49, v11
	v_mul_f32_e32 v10, v35, v29
	v_mul_f32_e32 v11, v34, v29
	v_fma_f32 v10, v34, v28, -v10
	v_fmac_f32_e32 v11, v35, v28
	v_add_f32_e32 v14, v12, v10
	v_add_f32_e32 v15, v13, v11
	v_pk_mul_f32 v[10:11], v[34:35], v[30:31] op_sel:[0,1]
	v_pk_fma_f32 v[12:13], v[34:35], v[30:31], v[10:11] op_sel:[0,0,1] op_sel_hi:[1,1,0] neg_lo:[0,0,1] neg_hi:[0,0,1]
	v_pk_fma_f32 v[10:11], v[34:35], v[30:31], v[10:11] op_sel:[0,0,1] op_sel_hi:[1,0,0]
	v_mov_b32_e32 v13, v11
	v_pk_add_f32 v[12:13], v[8:9], v[12:13]
	ds_read_b128 v[8:11], v55 offset:1552
	s_waitcnt lgkmcnt(0)
	s_barrier
	v_mul_f32_e32 v26, v9, v5
	v_mul_f32_e32 v5, v8, v5
	v_fma_f32 v26, v8, v4, -v26
	v_fmac_f32_e32 v5, v9, v4
	v_mul_f32_e32 v4, v9, v7
	v_add_f32_e32 v27, v33, v5
	v_fma_f32 v4, v8, v6, -v4
	v_mul_f32_e32 v5, v8, v7
	v_fmac_f32_e32 v5, v9, v6
	v_add_f32_e32 v6, v24, v4
	v_mul_f32_e32 v4, v9, v1
	v_mul_f32_e32 v1, v8, v1
	v_fmac_f32_e32 v1, v9, v0
	v_fma_f32 v4, v8, v0, -v4
	v_add_f32_e32 v15, v15, v1
	v_pk_mul_f32 v[0:1], v[8:9], v[2:3] op_sel:[0,1]
	v_add_f32_e32 v7, v25, v5
	v_add_f32_e32 v14, v14, v4
	v_pk_fma_f32 v[4:5], v[8:9], v[2:3], v[0:1] op_sel:[0,0,1] op_sel_hi:[1,1,0] neg_lo:[0,0,1] neg_hi:[0,0,1]
	v_pk_fma_f32 v[0:1], v[8:9], v[2:3], v[0:1] op_sel:[0,0,1] op_sel_hi:[1,0,0]
	v_mul_f32_e32 v2, v11, v21
	v_mul_f32_e32 v3, v10, v21
	v_add_f32_e32 v26, v32, v26
	v_fma_f32 v2, v10, v20, -v2
	v_fmac_f32_e32 v3, v11, v20
	v_add_f32_e32 v50, v26, v2
	v_add_f32_e32 v51, v27, v3
	v_mul_f32_e32 v2, v11, v23
	v_mul_f32_e32 v3, v10, v23
	v_fma_f32 v2, v10, v22, -v2
	v_fmac_f32_e32 v3, v11, v22
	v_add_f32_e32 v48, v6, v2
	v_add_f32_e32 v49, v7, v3
	v_mul_f32_e32 v2, v11, v17
	v_mul_f32_e32 v3, v10, v17
	v_fma_f32 v2, v10, v16, -v2
	v_fmac_f32_e32 v3, v11, v16
	v_mov_b32_e32 v5, v1
	v_add_f32_e32 v47, v14, v2
	v_add_f32_e32 v46, v15, v3
	v_pk_mul_f32 v[2:3], v[10:11], v[18:19] op_sel:[0,1]
	v_pk_add_f32 v[0:1], v[12:13], v[4:5]
	v_pk_fma_f32 v[4:5], v[10:11], v[18:19], v[2:3] op_sel:[0,0,1] op_sel_hi:[1,1,0] neg_lo:[0,0,1] neg_hi:[0,0,1]
	v_pk_fma_f32 v[2:3], v[10:11], v[18:19], v[2:3] op_sel:[0,0,1] op_sel_hi:[1,0,0]
	v_mov_b32_e32 v5, v3
	v_pk_add_f32 v[36:37], v[0:1], v[4:5]
	s_cbranch_vccnz .LBB239_2
	s_branch .LBB239_4
.LBB239_3:
	v_mov_b32_e32 v37, 0
	v_mov_b32_e32 v36, v37
	;; [unrolled: 1-line block ×32, first 2 shown]
.LBB239_4:
	s_lshl_b64 s[2:3], s[2:3], 3
	s_waitcnt lgkmcnt(0)
	s_add_u32 s8, s8, s2
	v_mov_b32_e32 v0, s29
	v_add_co_u32_e32 v4, vcc, s28, v45
	s_addc_u32 s9, s9, s3
	v_addc_co_u32_e32 v5, vcc, 0, v0, vcc
	s_or_b32 s2, s10, s11
	s_bitset0_b32 s2, 31
	v_mov_b32_e32 v1, s7
	v_add_co_u32_e32 v0, vcc, s6, v44
	s_cmp_lg_u32 s2, 0
	v_addc_co_u32_e32 v1, vcc, 0, v1, vcc
	s_mov_b32 s2, s15
	s_mov_b32 s3, s14
	s_cbranch_scc1 .LBB239_6
; %bb.5:
	v_mul_lo_u32 v6, v5, s0
	v_mul_lo_u32 v7, v4, s1
	v_mad_u64_u32 v[2:3], s[6:7], v4, s0, 0
	v_add3_u32 v3, v3, v7, v6
	v_lshlrev_b64 v[2:3], 3, v[2:3]
	v_mov_b32_e32 v6, s9
	v_add_co_u32_e32 v8, vcc, s8, v2
	v_addc_co_u32_e32 v9, vcc, v6, v3, vcc
	v_lshlrev_b64 v[6:7], 3, v[0:1]
	v_mul_f32_e32 v2, s15, v79
	v_mul_f32_e32 v3, s14, v79
	v_add_co_u32_e32 v6, vcc, v8, v6
	v_fma_f32 v2, v78, s14, -v2
	v_fmac_f32_e32 v3, s15, v78
	v_addc_co_u32_e32 v7, vcc, v9, v7, vcc
	global_store_dwordx2 v[6:7], v[2:3], off
	v_mul_f32_e32 v2, s15, v77
	v_mul_f32_e32 v3, s14, v77
	v_fma_f32 v2, v76, s14, -v2
	v_fmac_f32_e32 v3, s15, v76
	global_store_dwordx2 v[6:7], v[2:3], off offset:128
	v_mul_f32_e32 v2, s15, v75
	v_mul_f32_e32 v3, s14, v75
	v_fma_f32 v2, v74, s14, -v2
	v_fmac_f32_e32 v3, s15, v74
	global_store_dwordx2 v[6:7], v[2:3], off offset:256
	v_mul_f32_e32 v2, s15, v73
	v_mul_f32_e32 v3, s14, v73
	v_fma_f32 v2, v72, s14, -v2
	v_fmac_f32_e32 v3, s15, v72
	s_lshl_b64 s[6:7], s[0:1], 7
	global_store_dwordx2 v[6:7], v[2:3], off offset:384
	v_mul_f32_e32 v2, s15, v71
	v_mul_f32_e32 v3, s14, v71
	v_mov_b32_e32 v9, s7
	v_add_co_u32_e32 v6, vcc, s6, v6
	v_fma_f32 v2, v70, s14, -v2
	v_fmac_f32_e32 v3, s15, v70
	v_addc_co_u32_e32 v7, vcc, v7, v9, vcc
	global_store_dwordx2 v[6:7], v[2:3], off
	v_mul_f32_e32 v2, s15, v69
	v_mul_f32_e32 v3, s14, v69
	v_fma_f32 v2, v68, s14, -v2
	v_fmac_f32_e32 v3, s15, v68
	global_store_dwordx2 v[6:7], v[2:3], off offset:128
	v_mul_f32_e32 v2, s15, v67
	v_mul_f32_e32 v3, s14, v67
	v_fma_f32 v2, v66, s14, -v2
	v_fmac_f32_e32 v3, s15, v66
	global_store_dwordx2 v[6:7], v[2:3], off offset:256
	;; [unrolled: 5-line block ×3, first 2 shown]
	v_mul_f32_e32 v2, s15, v63
	v_mul_f32_e32 v3, s14, v63
	v_add_co_u32_e32 v6, vcc, s6, v6
	v_fma_f32 v2, v62, s14, -v2
	v_fmac_f32_e32 v3, s15, v62
	v_addc_co_u32_e32 v7, vcc, v7, v9, vcc
	global_store_dwordx2 v[6:7], v[2:3], off
	v_mul_f32_e32 v2, s15, v61
	v_mul_f32_e32 v3, s14, v61
	v_fma_f32 v2, v60, s14, -v2
	v_fmac_f32_e32 v3, s15, v60
	global_store_dwordx2 v[6:7], v[2:3], off offset:128
	v_mul_f32_e32 v2, s15, v59
	v_mul_f32_e32 v3, s14, v59
	v_fma_f32 v2, v58, s14, -v2
	v_fmac_f32_e32 v3, s15, v58
	global_store_dwordx2 v[6:7], v[2:3], off offset:256
	v_mul_f32_e32 v2, s15, v57
	v_mul_f32_e32 v3, s14, v57
	v_fma_f32 v2, v56, s14, -v2
	v_fmac_f32_e32 v3, s15, v56
	global_store_dwordx2 v[6:7], v[2:3], off offset:384
	v_mul_f32_e32 v2, s15, v51
	v_mul_f32_e32 v3, s14, v51
	v_add_co_u32_e32 v8, vcc, s6, v6
	v_fma_f32 v2, v50, s14, -v2
	v_fmac_f32_e32 v3, s15, v50
	v_addc_co_u32_e32 v9, vcc, v7, v9, vcc
	global_store_dwordx2 v[8:9], v[2:3], off
	v_mul_f32_e32 v2, s15, v49
	v_mul_f32_e32 v3, s14, v49
	v_fma_f32 v2, v48, s14, -v2
	v_fmac_f32_e32 v3, s15, v48
	global_store_dwordx2 v[8:9], v[2:3], off offset:128
	v_mul_f32_e32 v2, s15, v46
	v_mul_f32_e32 v3, s14, v46
	v_fma_f32 v2, v47, s14, -v2
	v_fmac_f32_e32 v3, s15, v47
	global_store_dwordx2 v[8:9], v[2:3], off offset:256
	v_mul_f32_e32 v2, s3, v36
	v_fma_f32 v7, -v37, s2, v2
	v_pk_mul_f32 v[2:3], v[36:37], s[2:3]
	v_add_f32_e32 v6, v2, v3
	v_add_co_u32_e32 v2, vcc, 0x180, v8
	v_addc_co_u32_e32 v3, vcc, 0, v9, vcc
	global_store_dword v[8:9], v7, off offset:384
	s_cbranch_execz .LBB239_7
	s_branch .LBB239_8
.LBB239_6:
                                        ; implicit-def: $vgpr6
                                        ; implicit-def: $vgpr2_vgpr3
.LBB239_7:
	s_lshl_b64 s[6:7], s[40:41], 3
	s_add_u32 s6, s4, s6
	s_addc_u32 s7, s5, s7
	v_mul_lo_u32 v6, v5, s38
	v_mul_lo_u32 v7, v4, s39
	v_mad_u64_u32 v[2:3], s[4:5], v4, s38, 0
	v_add3_u32 v3, v3, v7, v6
	v_lshlrev_b64 v[2:3], 3, v[2:3]
	v_mov_b32_e32 v6, s7
	v_add_co_u32_e32 v2, vcc, s6, v2
	v_addc_co_u32_e32 v3, vcc, v6, v3, vcc
	v_lshlrev_b64 v[0:1], 3, v[0:1]
	v_add_co_u32_e32 v2, vcc, v2, v0
	v_addc_co_u32_e32 v3, vcc, v3, v1, vcc
	global_load_dwordx2 v[6:7], v[2:3], off
	v_mul_lo_u32 v8, v5, s0
	v_mul_lo_u32 v9, v4, s1
	v_mad_u64_u32 v[4:5], s[4:5], v4, s0, 0
	v_add3_u32 v5, v5, v9, v8
	v_lshlrev_b64 v[4:5], 3, v[4:5]
	v_mov_b32_e32 v10, s9
	v_add_co_u32_e32 v4, vcc, s8, v4
	v_addc_co_u32_e32 v5, vcc, v10, v5, vcc
	v_add_co_u32_e32 v0, vcc, v4, v0
	v_mul_f32_e32 v11, s15, v79
	v_mul_f32_e32 v12, s14, v79
	v_addc_co_u32_e32 v1, vcc, v5, v1, vcc
	v_fma_f32 v8, v78, s14, -v11
	v_fmac_f32_e32 v12, s15, v78
	s_lshl_b64 s[4:5], s[38:39], 7
	s_lshl_b64 s[0:1], s[0:1], 7
	s_waitcnt vmcnt(0)
	v_mul_f32_e32 v4, s11, v7
	v_mul_f32_e32 v5, s10, v7
	v_fma_f32 v4, v6, s10, -v4
	v_fmac_f32_e32 v5, s11, v6
	v_add_f32_e32 v4, v8, v4
	v_add_f32_e32 v5, v12, v5
	global_store_dwordx2 v[0:1], v[4:5], off
	global_load_dwordx2 v[4:5], v[2:3], off offset:128
	v_mul_f32_e32 v6, s15, v77
	v_mul_f32_e32 v7, s14, v77
	v_fma_f32 v6, v76, s14, -v6
	v_fmac_f32_e32 v7, s15, v76
	s_waitcnt vmcnt(0)
	v_mul_f32_e32 v8, s11, v5
	v_mul_f32_e32 v5, s10, v5
	v_fma_f32 v8, v4, s10, -v8
	v_fmac_f32_e32 v5, s11, v4
	v_add_f32_e32 v4, v6, v8
	v_add_f32_e32 v5, v7, v5
	global_store_dwordx2 v[0:1], v[4:5], off offset:128
	global_load_dwordx2 v[4:5], v[2:3], off offset:256
	v_mul_f32_e32 v6, s15, v75
	v_mul_f32_e32 v7, s14, v75
	v_fma_f32 v6, v74, s14, -v6
	v_fmac_f32_e32 v7, s15, v74
	s_waitcnt vmcnt(0)
	v_mul_f32_e32 v8, s11, v5
	v_mul_f32_e32 v5, s10, v5
	v_fma_f32 v8, v4, s10, -v8
	v_fmac_f32_e32 v5, s11, v4
	v_add_f32_e32 v4, v6, v8
	v_add_f32_e32 v5, v7, v5
	global_store_dwordx2 v[0:1], v[4:5], off offset:256
	global_load_dwordx2 v[4:5], v[2:3], off offset:384
	v_mul_f32_e32 v6, s15, v73
	v_mul_f32_e32 v7, s14, v73
	v_fma_f32 v6, v72, s14, -v6
	v_fmac_f32_e32 v7, s15, v72
	v_mov_b32_e32 v8, s5
	v_add_co_u32_e32 v2, vcc, s4, v2
	v_addc_co_u32_e32 v3, vcc, v3, v8, vcc
	s_waitcnt vmcnt(0)
	v_mul_f32_e32 v9, s11, v5
	v_mul_f32_e32 v5, s10, v5
	v_fma_f32 v9, v4, s10, -v9
	v_fmac_f32_e32 v5, s11, v4
	v_add_f32_e32 v4, v6, v9
	v_add_f32_e32 v5, v7, v5
	global_store_dwordx2 v[0:1], v[4:5], off offset:384
	global_load_dwordx2 v[4:5], v[2:3], off
	v_mul_f32_e32 v6, s15, v71
	v_mul_f32_e32 v7, s14, v71
	v_fma_f32 v6, v70, s14, -v6
	v_fmac_f32_e32 v7, s15, v70
	v_mov_b32_e32 v9, s1
	v_add_co_u32_e32 v0, vcc, s0, v0
	v_addc_co_u32_e32 v1, vcc, v1, v9, vcc
	s_waitcnt vmcnt(0)
	v_mul_f32_e32 v10, s11, v5
	v_mul_f32_e32 v5, s10, v5
	v_fma_f32 v10, v4, s10, -v10
	v_fmac_f32_e32 v5, s11, v4
	v_add_f32_e32 v4, v6, v10
	v_add_f32_e32 v5, v7, v5
	global_store_dwordx2 v[0:1], v[4:5], off
	global_load_dwordx2 v[4:5], v[2:3], off offset:128
	v_mul_f32_e32 v6, s15, v69
	v_mul_f32_e32 v7, s14, v69
	v_fma_f32 v6, v68, s14, -v6
	v_fmac_f32_e32 v7, s15, v68
	s_waitcnt vmcnt(0)
	v_mul_f32_e32 v10, s11, v5
	v_mul_f32_e32 v5, s10, v5
	v_fma_f32 v10, v4, s10, -v10
	v_fmac_f32_e32 v5, s11, v4
	v_add_f32_e32 v4, v6, v10
	v_add_f32_e32 v5, v7, v5
	global_store_dwordx2 v[0:1], v[4:5], off offset:128
	global_load_dwordx2 v[4:5], v[2:3], off offset:256
	v_mul_f32_e32 v6, s15, v67
	v_mul_f32_e32 v7, s14, v67
	v_fma_f32 v6, v66, s14, -v6
	v_fmac_f32_e32 v7, s15, v66
	s_waitcnt vmcnt(0)
	v_mul_f32_e32 v10, s11, v5
	v_mul_f32_e32 v5, s10, v5
	v_fma_f32 v10, v4, s10, -v10
	v_fmac_f32_e32 v5, s11, v4
	v_add_f32_e32 v4, v6, v10
	v_add_f32_e32 v5, v7, v5
	global_store_dwordx2 v[0:1], v[4:5], off offset:256
	global_load_dwordx2 v[4:5], v[2:3], off offset:384
	v_mul_f32_e32 v6, s15, v65
	v_mul_f32_e32 v7, s14, v65
	v_fma_f32 v6, v64, s14, -v6
	v_fmac_f32_e32 v7, s15, v64
	v_add_co_u32_e32 v2, vcc, s4, v2
	v_addc_co_u32_e32 v3, vcc, v3, v8, vcc
	s_waitcnt vmcnt(0)
	v_mul_f32_e32 v10, s11, v5
	v_mul_f32_e32 v5, s10, v5
	v_fma_f32 v10, v4, s10, -v10
	v_fmac_f32_e32 v5, s11, v4
	v_add_f32_e32 v4, v6, v10
	v_add_f32_e32 v5, v7, v5
	global_store_dwordx2 v[0:1], v[4:5], off offset:384
	global_load_dwordx2 v[4:5], v[2:3], off
	v_mul_f32_e32 v6, s15, v63
	v_mul_f32_e32 v7, s14, v63
	v_fma_f32 v6, v62, s14, -v6
	v_fmac_f32_e32 v7, s15, v62
	v_add_co_u32_e32 v0, vcc, s0, v0
	v_addc_co_u32_e32 v1, vcc, v1, v9, vcc
	s_waitcnt vmcnt(0)
	v_mul_f32_e32 v10, s11, v5
	v_mul_f32_e32 v5, s10, v5
	v_fma_f32 v10, v4, s10, -v10
	v_fmac_f32_e32 v5, s11, v4
	v_add_f32_e32 v4, v6, v10
	v_add_f32_e32 v5, v7, v5
	global_store_dwordx2 v[0:1], v[4:5], off
	global_load_dwordx2 v[4:5], v[2:3], off offset:128
	v_mul_f32_e32 v6, s15, v61
	v_mul_f32_e32 v7, s14, v61
	v_fma_f32 v6, v60, s14, -v6
	v_fmac_f32_e32 v7, s15, v60
	s_waitcnt vmcnt(0)
	v_mul_f32_e32 v10, s11, v5
	v_mul_f32_e32 v5, s10, v5
	v_fma_f32 v10, v4, s10, -v10
	v_fmac_f32_e32 v5, s11, v4
	v_add_f32_e32 v4, v6, v10
	v_add_f32_e32 v5, v7, v5
	global_store_dwordx2 v[0:1], v[4:5], off offset:128
	global_load_dwordx2 v[4:5], v[2:3], off offset:256
	v_mul_f32_e32 v6, s15, v59
	v_mul_f32_e32 v7, s14, v59
	v_fma_f32 v6, v58, s14, -v6
	v_fmac_f32_e32 v7, s15, v58
	s_waitcnt vmcnt(0)
	v_mul_f32_e32 v10, s11, v5
	v_mul_f32_e32 v5, s10, v5
	v_fma_f32 v10, v4, s10, -v10
	v_fmac_f32_e32 v5, s11, v4
	v_add_f32_e32 v4, v6, v10
	v_add_f32_e32 v5, v7, v5
	global_store_dwordx2 v[0:1], v[4:5], off offset:256
	global_load_dwordx2 v[4:5], v[2:3], off offset:384
	v_add_co_u32_e32 v2, vcc, s4, v2
	v_mul_f32_e32 v6, s15, v57
	v_mul_f32_e32 v7, s14, v57
	v_addc_co_u32_e32 v3, vcc, v3, v8, vcc
	v_fma_f32 v6, v56, s14, -v6
	v_fmac_f32_e32 v7, s15, v56
	s_waitcnt vmcnt(0)
	v_mul_f32_e32 v8, s11, v5
	v_mul_f32_e32 v5, s10, v5
	v_fma_f32 v8, v4, s10, -v8
	v_fmac_f32_e32 v5, s11, v4
	v_add_f32_e32 v4, v6, v8
	v_add_f32_e32 v5, v7, v5
	global_store_dwordx2 v[0:1], v[4:5], off offset:384
	global_load_dwordx2 v[4:5], v[2:3], off
	v_mul_f32_e32 v6, s15, v51
	v_mul_f32_e32 v7, s14, v51
	v_fma_f32 v6, v50, s14, -v6
	v_fmac_f32_e32 v7, s15, v50
	v_add_co_u32_e32 v0, vcc, s0, v0
	v_addc_co_u32_e32 v1, vcc, v1, v9, vcc
	s_waitcnt vmcnt(0)
	v_mul_f32_e32 v8, s11, v5
	v_mul_f32_e32 v5, s10, v5
	v_fma_f32 v8, v4, s10, -v8
	v_fmac_f32_e32 v5, s11, v4
	v_add_f32_e32 v4, v6, v8
	v_add_f32_e32 v5, v7, v5
	global_store_dwordx2 v[0:1], v[4:5], off
	global_load_dwordx2 v[4:5], v[2:3], off offset:128
	v_mul_f32_e32 v6, s15, v49
	v_mul_f32_e32 v7, s14, v49
	v_fma_f32 v6, v48, s14, -v6
	v_fmac_f32_e32 v7, s15, v48
	s_waitcnt vmcnt(0)
	v_mul_f32_e32 v8, s11, v5
	v_mul_f32_e32 v5, s10, v5
	v_fma_f32 v8, v4, s10, -v8
	v_fmac_f32_e32 v5, s11, v4
	v_add_f32_e32 v4, v6, v8
	v_add_f32_e32 v5, v7, v5
	global_store_dwordx2 v[0:1], v[4:5], off offset:128
	global_load_dwordx2 v[4:5], v[2:3], off offset:256
	v_mul_f32_e32 v6, s15, v46
	v_mul_f32_e32 v7, s14, v46
	v_fma_f32 v6, v47, s14, -v6
	v_fmac_f32_e32 v7, s15, v47
	s_waitcnt vmcnt(0)
	v_mul_f32_e32 v8, s11, v5
	v_mul_f32_e32 v5, s10, v5
	v_fma_f32 v8, v4, s10, -v8
	v_fmac_f32_e32 v5, s11, v4
	v_add_f32_e32 v4, v6, v8
	v_add_f32_e32 v5, v7, v5
	global_store_dwordx2 v[0:1], v[4:5], off offset:256
	global_load_dwordx2 v[4:5], v[2:3], off offset:384
	v_mul_f32_e32 v6, s3, v36
	v_pk_mul_f32 v[2:3], v[36:37], s[2:3]
	v_fma_f32 v8, -v37, s2, v6
	v_add_f32_e32 v3, v2, v3
	v_add_co_u32_e32 v2, vcc, 0x180, v0
	s_waitcnt vmcnt(0)
	v_pk_mul_f32 v[6:7], v[4:5], s[10:11] op_sel:[0,1] op_sel_hi:[1,0]
	v_mul_f32_e32 v4, s10, v4
	v_fma_f32 v4, -v5, s11, v4
	v_add_f32_e32 v5, v6, v7
	v_add_f32_e32 v4, v8, v4
	;; [unrolled: 1-line block ×3, first 2 shown]
	v_addc_co_u32_e32 v3, vcc, 0, v1, vcc
	global_store_dword v[0:1], v4, off offset:384
.LBB239_8:
	global_store_dword v[2:3], v6, off offset:4
	s_endpgm
	.section	.rodata,"a",@progbits
	.p2align	6, 0x0
	.amdhsa_kernel _ZN12_GLOBAL__N_127rocblas_gemm_batched_kernelI19rocblas_complex_numIfELi16ELi16ELi64ELi64ELi4ELi64ELi4ELi4ELi64ELc67ELc78EKPKS2_S5_KPS2_EEvlllT_PT11_llSA_llS8_PT12_llPT13_lli
		.amdhsa_group_segment_fixed_size 4096
		.amdhsa_private_segment_fixed_size 0
		.amdhsa_kernarg_size 140
		.amdhsa_user_sgpr_count 6
		.amdhsa_user_sgpr_private_segment_buffer 1
		.amdhsa_user_sgpr_dispatch_ptr 0
		.amdhsa_user_sgpr_queue_ptr 0
		.amdhsa_user_sgpr_kernarg_segment_ptr 1
		.amdhsa_user_sgpr_dispatch_id 0
		.amdhsa_user_sgpr_flat_scratch_init 0
		.amdhsa_user_sgpr_kernarg_preload_length 0
		.amdhsa_user_sgpr_kernarg_preload_offset 0
		.amdhsa_user_sgpr_private_segment_size 0
		.amdhsa_uses_dynamic_stack 0
		.amdhsa_system_sgpr_private_segment_wavefront_offset 0
		.amdhsa_system_sgpr_workgroup_id_x 1
		.amdhsa_system_sgpr_workgroup_id_y 1
		.amdhsa_system_sgpr_workgroup_id_z 1
		.amdhsa_system_sgpr_workgroup_info 0
		.amdhsa_system_vgpr_workitem_id 1
		.amdhsa_next_free_vgpr 88
		.amdhsa_next_free_sgpr 44
		.amdhsa_accum_offset 88
		.amdhsa_reserve_vcc 1
		.amdhsa_reserve_flat_scratch 0
		.amdhsa_float_round_mode_32 0
		.amdhsa_float_round_mode_16_64 0
		.amdhsa_float_denorm_mode_32 3
		.amdhsa_float_denorm_mode_16_64 3
		.amdhsa_dx10_clamp 1
		.amdhsa_ieee_mode 1
		.amdhsa_fp16_overflow 0
		.amdhsa_tg_split 0
		.amdhsa_exception_fp_ieee_invalid_op 0
		.amdhsa_exception_fp_denorm_src 0
		.amdhsa_exception_fp_ieee_div_zero 0
		.amdhsa_exception_fp_ieee_overflow 0
		.amdhsa_exception_fp_ieee_underflow 0
		.amdhsa_exception_fp_ieee_inexact 0
		.amdhsa_exception_int_div_zero 0
	.end_amdhsa_kernel
	.section	.text._ZN12_GLOBAL__N_127rocblas_gemm_batched_kernelI19rocblas_complex_numIfELi16ELi16ELi64ELi64ELi4ELi64ELi4ELi4ELi64ELc67ELc78EKPKS2_S5_KPS2_EEvlllT_PT11_llSA_llS8_PT12_llPT13_lli,"axG",@progbits,_ZN12_GLOBAL__N_127rocblas_gemm_batched_kernelI19rocblas_complex_numIfELi16ELi16ELi64ELi64ELi4ELi64ELi4ELi4ELi64ELc67ELc78EKPKS2_S5_KPS2_EEvlllT_PT11_llSA_llS8_PT12_llPT13_lli,comdat
.Lfunc_end239:
	.size	_ZN12_GLOBAL__N_127rocblas_gemm_batched_kernelI19rocblas_complex_numIfELi16ELi16ELi64ELi64ELi4ELi64ELi4ELi4ELi64ELc67ELc78EKPKS2_S5_KPS2_EEvlllT_PT11_llSA_llS8_PT12_llPT13_lli, .Lfunc_end239-_ZN12_GLOBAL__N_127rocblas_gemm_batched_kernelI19rocblas_complex_numIfELi16ELi16ELi64ELi64ELi4ELi64ELi4ELi4ELi64ELc67ELc78EKPKS2_S5_KPS2_EEvlllT_PT11_llSA_llS8_PT12_llPT13_lli
                                        ; -- End function
	.section	.AMDGPU.csdata,"",@progbits
; Kernel info:
; codeLenInByte = 4764
; NumSgprs: 48
; NumVgprs: 88
; NumAgprs: 0
; TotalNumVgprs: 88
; ScratchSize: 0
; MemoryBound: 0
; FloatMode: 240
; IeeeMode: 1
; LDSByteSize: 4096 bytes/workgroup (compile time only)
; SGPRBlocks: 5
; VGPRBlocks: 10
; NumSGPRsForWavesPerEU: 48
; NumVGPRsForWavesPerEU: 88
; AccumOffset: 88
; Occupancy: 5
; WaveLimiterHint : 1
; COMPUTE_PGM_RSRC2:SCRATCH_EN: 0
; COMPUTE_PGM_RSRC2:USER_SGPR: 6
; COMPUTE_PGM_RSRC2:TRAP_HANDLER: 0
; COMPUTE_PGM_RSRC2:TGID_X_EN: 1
; COMPUTE_PGM_RSRC2:TGID_Y_EN: 1
; COMPUTE_PGM_RSRC2:TGID_Z_EN: 1
; COMPUTE_PGM_RSRC2:TIDIG_COMP_CNT: 1
; COMPUTE_PGM_RSRC3_GFX90A:ACCUM_OFFSET: 21
; COMPUTE_PGM_RSRC3_GFX90A:TG_SPLIT: 0
	.section	.text._ZN12_GLOBAL__N_127rocblas_gemm_batched_kernelI19rocblas_complex_numIfELi16ELi16ELi64ELi64ELi4ELi64ELi4ELi4ELi64ELc67ELc84EKPKS2_S5_KPS2_EEvlllT_PT11_llSA_llS8_PT12_llPT13_lli,"axG",@progbits,_ZN12_GLOBAL__N_127rocblas_gemm_batched_kernelI19rocblas_complex_numIfELi16ELi16ELi64ELi64ELi4ELi64ELi4ELi4ELi64ELc67ELc84EKPKS2_S5_KPS2_EEvlllT_PT11_llSA_llS8_PT12_llPT13_lli,comdat
	.globl	_ZN12_GLOBAL__N_127rocblas_gemm_batched_kernelI19rocblas_complex_numIfELi16ELi16ELi64ELi64ELi4ELi64ELi4ELi4ELi64ELc67ELc84EKPKS2_S5_KPS2_EEvlllT_PT11_llSA_llS8_PT12_llPT13_lli ; -- Begin function _ZN12_GLOBAL__N_127rocblas_gemm_batched_kernelI19rocblas_complex_numIfELi16ELi16ELi64ELi64ELi4ELi64ELi4ELi4ELi64ELc67ELc84EKPKS2_S5_KPS2_EEvlllT_PT11_llSA_llS8_PT12_llPT13_lli
	.p2align	8
	.type	_ZN12_GLOBAL__N_127rocblas_gemm_batched_kernelI19rocblas_complex_numIfELi16ELi16ELi64ELi64ELi4ELi64ELi4ELi4ELi64ELc67ELc84EKPKS2_S5_KPS2_EEvlllT_PT11_llSA_llS8_PT12_llPT13_lli,@function
_ZN12_GLOBAL__N_127rocblas_gemm_batched_kernelI19rocblas_complex_numIfELi16ELi16ELi64ELi64ELi4ELi64ELi4ELi4ELi64ELc67ELc84EKPKS2_S5_KPS2_EEvlllT_PT11_llSA_llS8_PT12_llPT13_lli: ; @_ZN12_GLOBAL__N_127rocblas_gemm_batched_kernelI19rocblas_complex_numIfELi16ELi16ELi64ELi64ELi4ELi64ELi4ELi4ELi64ELc67ELc84EKPKS2_S5_KPS2_EEvlllT_PT11_llSA_llS8_PT12_llPT13_lli
; %bb.0:
	s_load_dwordx16 s[12:27], s[4:5], 0x10
	s_load_dwordx4 s[0:3], s[4:5], 0x78
	s_load_dwordx8 s[36:43], s[4:5], 0x58
	s_load_dwordx2 s[10:11], s[4:5], 0x50
	s_mov_b32 s9, 0
	s_lshl_b64 s[30:31], s[8:9], 3
	s_mov_b32 s28, s7
	s_waitcnt lgkmcnt(0)
	s_add_u32 s4, s36, s30
	s_addc_u32 s5, s37, s31
	s_add_u32 s8, s42, s30
	s_addc_u32 s9, s43, s31
	s_load_dwordx2 s[4:5], s[4:5], 0x0
	s_ashr_i32 s7, s6, 31
	s_load_dwordx2 s[8:9], s[8:9], 0x0
	s_ashr_i32 s29, s28, 31
	v_cmp_lt_i64_e64 s[34:35], s[12:13], 1
	v_bfe_u32 v45, v0, 10, 10
	v_and_b32_e32 v44, 0x3ff, v0
	s_lshl_b64 s[6:7], s[6:7], 6
	s_lshl_b64 s[28:29], s[28:29], 6
	s_and_b64 vcc, exec, s[34:35]
	s_cbranch_vccnz .LBB240_3
; %bb.1:
	v_lshl_add_u32 v4, v45, 4, v44
	s_add_u32 s16, s16, s30
	v_lshrrev_b32_e32 v5, 2, v4
	s_addc_u32 s17, s17, s31
	v_mov_b32_e32 v1, s29
	v_add_co_u32_e32 v0, vcc, s28, v5
	s_add_u32 s22, s22, s30
	v_addc_co_u32_e32 v1, vcc, 0, v1, vcc
	v_and_b32_e32 v6, 3, v44
	s_addc_u32 s23, s23, s31
	v_mad_u64_u32 v[0:1], s[30:31], v6, s24, v[0:1]
	v_mov_b32_e32 v2, v1
	v_mad_u64_u32 v[2:3], s[30:31], v6, s25, v[2:3]
	v_mov_b32_e32 v1, v2
	v_and_b32_e32 v2, 63, v4
	v_lshrrev_b32_e32 v4, 6, v4
	v_lshlrev_b32_e32 v3, 3, v2
	v_lshl_or_b32 v52, v4, 9, v3
	v_lshlrev_b32_e32 v3, 3, v6
	v_lshl_or_b32 v3, v5, 5, v3
	v_add_u32_e32 v53, 0x800, v3
	v_mov_b32_e32 v3, 0x800
	v_lshl_add_u32 v55, v45, 5, v3
	v_mov_b32_e32 v3, s7
	v_add_co_u32_e32 v2, vcc, s6, v2
	v_addc_co_u32_e32 v3, vcc, 0, v3, vcc
	v_mul_lo_u32 v5, s19, v2
	v_mul_lo_u32 v6, s18, v3
	v_mad_u64_u32 v[2:3], s[18:19], s18, v2, 0
	v_add3_u32 v3, v3, v6, v5
	s_load_dwordx2 s[16:17], s[16:17], 0x0
	v_lshlrev_b64 v[2:3], 3, v[2:3]
	s_lshl_b64 s[18:19], s[20:21], 3
	v_mov_b32_e32 v5, s19
	v_add_co_u32_e32 v2, vcc, s18, v2
	s_load_dwordx2 s[22:23], s[22:23], 0x0
	v_addc_co_u32_e32 v3, vcc, v3, v5, vcc
	v_lshlrev_b32_e32 v4, 3, v4
	v_add_co_u32_e32 v2, vcc, v2, v4
	v_addc_co_u32_e32 v3, vcc, 0, v3, vcc
	s_waitcnt lgkmcnt(0)
	v_mov_b32_e32 v4, s17
	v_add_co_u32_e32 v2, vcc, s16, v2
	v_addc_co_u32_e32 v3, vcc, v3, v4, vcc
	s_lshl_b64 s[16:17], s[26:27], 3
	v_add_co_u32_e32 v38, vcc, 4, v2
	s_add_u32 s16, s22, s16
	v_addc_co_u32_e32 v39, vcc, 0, v3, vcc
	v_lshlrev_b64 v[0:1], 3, v[0:1]
	s_addc_u32 s17, s23, s17
	v_mov_b32_e32 v2, s17
	v_add_co_u32_e32 v40, vcc, s16, v0
	s_lshl_b64 s[16:17], s[24:25], 5
	v_mov_b32_e32 v46, 0
	v_lshlrev_b32_e32 v54, 3, v44
	v_addc_co_u32_e32 v41, vcc, v2, v1, vcc
	s_mov_b64 s[18:19], 0
	v_mov_b32_e32 v56, s17
	v_pk_mov_b32 v[42:43], s[12:13], s[12:13] op_sel:[0,1]
	v_mov_b32_e32 v47, 0
	v_mov_b32_e32 v49, 0
	;; [unrolled: 1-line block ×31, first 2 shown]
.LBB240_2:                              ; =>This Inner Loop Header: Depth=1
	global_load_dwordx2 v[0:1], v[38:39], off offset:-4
	v_add_co_u32_e32 v38, vcc, 32, v38
	v_addc_co_u32_e32 v39, vcc, 0, v39, vcc
	s_add_u32 s18, s18, 4
	s_addc_u32 s19, s19, 0
	s_waitcnt vmcnt(0)
	v_xor_b32_e32 v1, 0x80000000, v1
	ds_write_b64 v52, v[0:1]
	global_load_dwordx2 v[0:1], v[40:41], off
	v_add_co_u32_e32 v40, vcc, s16, v40
	v_addc_co_u32_e32 v41, vcc, v41, v56, vcc
	v_cmp_lt_i64_e32 vcc, s[18:19], v[42:43]
	s_and_b64 vcc, exec, vcc
	s_waitcnt vmcnt(0)
	ds_write_b64 v53, v[0:1]
	s_waitcnt lgkmcnt(0)
	s_barrier
	ds_read_b128 v[0:3], v55
	ds_read_b128 v[32:35], v55 offset:16
	ds_read2_b64 v[8:11], v54 offset1:16
	ds_read2_b64 v[12:15], v54 offset0:32 offset1:48
	s_waitcnt lgkmcnt(1)
	v_mul_f32_e32 v4, v1, v9
	v_fma_f32 v4, v0, v8, -v4
	v_mul_f32_e32 v5, v0, v9
	v_add_f32_e32 v20, v79, v4
	v_mul_f32_e32 v4, v1, v11
	v_fmac_f32_e32 v5, v1, v8
	v_fma_f32 v4, v0, v10, -v4
	v_add_f32_e32 v21, v80, v5
	v_mul_f32_e32 v5, v0, v11
	v_add_f32_e32 v22, v77, v4
	s_waitcnt lgkmcnt(0)
	v_mul_f32_e32 v4, v1, v13
	v_fmac_f32_e32 v5, v1, v10
	v_fma_f32 v4, v0, v12, -v4
	v_add_f32_e32 v23, v78, v5
	v_mul_f32_e32 v5, v0, v13
	v_add_f32_e32 v75, v75, v4
	v_mul_f32_e32 v4, v1, v15
	v_fmac_f32_e32 v5, v1, v12
	v_fma_f32 v4, v0, v14, -v4
	v_mul_f32_e32 v0, v0, v15
	v_add_f32_e32 v76, v76, v5
	v_fmac_f32_e32 v0, v1, v14
	v_add_f32_e32 v1, v73, v4
	ds_read_b128 v[4:7], v55 offset:512
	ds_read_b128 v[80:83], v55 offset:1040
	v_add_f32_e32 v0, v74, v0
	s_waitcnt lgkmcnt(1)
	v_mul_f32_e32 v16, v5, v9
	v_fma_f32 v16, v4, v8, -v16
	v_mul_f32_e32 v17, v4, v9
	v_add_f32_e32 v71, v71, v16
	v_mul_f32_e32 v16, v5, v11
	v_fmac_f32_e32 v17, v5, v8
	v_fma_f32 v16, v4, v10, -v16
	v_add_f32_e32 v72, v72, v17
	v_mul_f32_e32 v17, v4, v11
	v_add_f32_e32 v69, v69, v16
	v_mul_f32_e32 v16, v5, v13
	v_fmac_f32_e32 v17, v5, v10
	v_fma_f32 v16, v4, v12, -v16
	v_add_f32_e32 v70, v70, v17
	v_mul_f32_e32 v17, v4, v13
	v_add_f32_e32 v67, v67, v16
	v_mul_f32_e32 v16, v5, v15
	v_fmac_f32_e32 v17, v5, v12
	v_fma_f32 v16, v4, v14, -v16
	v_mul_f32_e32 v4, v4, v15
	v_add_f32_e32 v68, v68, v17
	v_fmac_f32_e32 v4, v5, v14
	v_add_f32_e32 v5, v65, v16
	ds_read_b128 v[16:19], v55 offset:1024
	v_add_f32_e32 v4, v66, v4
	s_waitcnt lgkmcnt(0)
	v_mul_f32_e32 v24, v17, v9
	v_fma_f32 v24, v16, v8, -v24
	v_mul_f32_e32 v25, v16, v9
	v_add_f32_e32 v63, v63, v24
	v_mul_f32_e32 v24, v17, v11
	v_fmac_f32_e32 v25, v17, v8
	v_fma_f32 v24, v16, v10, -v24
	v_add_f32_e32 v64, v64, v25
	v_mul_f32_e32 v25, v16, v11
	v_add_f32_e32 v61, v61, v24
	v_mul_f32_e32 v24, v17, v13
	v_fmac_f32_e32 v25, v17, v10
	v_fma_f32 v24, v16, v12, -v24
	v_add_f32_e32 v62, v62, v25
	v_mul_f32_e32 v25, v16, v13
	v_add_f32_e32 v59, v59, v24
	v_mul_f32_e32 v24, v17, v15
	v_fmac_f32_e32 v25, v17, v12
	v_fma_f32 v24, v16, v14, -v24
	v_mul_f32_e32 v16, v16, v15
	v_add_f32_e32 v60, v60, v25
	v_fmac_f32_e32 v16, v17, v14
	v_add_f32_e32 v17, v57, v24
	ds_read2_b64 v[24:27], v54 offset0:64 offset1:80
	v_add_f32_e32 v16, v58, v16
	s_waitcnt lgkmcnt(0)
	v_mul_f32_e32 v28, v3, v25
	v_mul_f32_e32 v29, v2, v25
	v_fma_f32 v28, v2, v24, -v28
	v_fmac_f32_e32 v29, v3, v24
	v_add_f32_e32 v20, v20, v28
	v_add_f32_e32 v21, v21, v29
	v_mul_f32_e32 v28, v3, v27
	v_mul_f32_e32 v29, v2, v27
	v_fma_f32 v28, v2, v26, -v28
	v_fmac_f32_e32 v29, v3, v26
	v_add_f32_e32 v22, v22, v28
	v_add_f32_e32 v23, v23, v29
	ds_read2_b64 v[28:31], v54 offset0:96 offset1:112
	s_waitcnt lgkmcnt(0)
	v_mul_f32_e32 v57, v3, v29
	v_mul_f32_e32 v65, v3, v31
	v_fma_f32 v57, v2, v28, -v57
	v_mul_f32_e32 v58, v2, v29
	v_fma_f32 v65, v2, v30, -v65
	v_mul_f32_e32 v2, v2, v31
	v_fmac_f32_e32 v2, v3, v30
	v_add_f32_e32 v65, v1, v65
	v_add_f32_e32 v66, v0, v2
	v_mul_f32_e32 v0, v7, v25
	v_mul_f32_e32 v1, v6, v25
	v_fma_f32 v0, v6, v24, -v0
	v_fmac_f32_e32 v1, v7, v24
	v_add_f32_e32 v71, v71, v0
	v_add_f32_e32 v72, v72, v1
	v_mul_f32_e32 v0, v7, v27
	v_mul_f32_e32 v1, v6, v27
	v_fma_f32 v0, v6, v26, -v0
	;; [unrolled: 6-line block ×6, first 2 shown]
	v_fmac_f32_e32 v1, v19, v26
	ds_read2_b64 v[4:7], v54 offset0:128 offset1:144
	v_add_f32_e32 v57, v75, v57
	v_add_f32_e32 v75, v61, v0
	;; [unrolled: 1-line block ×3, first 2 shown]
	v_mul_f32_e32 v0, v19, v29
	v_mul_f32_e32 v1, v18, v29
	v_fmac_f32_e32 v58, v3, v28
	v_fma_f32 v0, v18, v28, -v0
	v_fmac_f32_e32 v1, v19, v28
	v_add_f32_e32 v58, v76, v58
	v_add_f32_e32 v76, v59, v0
	;; [unrolled: 1-line block ×3, first 2 shown]
	v_mul_f32_e32 v0, v19, v31
	v_mul_f32_e32 v1, v18, v31
	v_fma_f32 v0, v18, v30, -v0
	v_fmac_f32_e32 v1, v19, v30
	v_add_f32_e32 v17, v17, v0
	v_add_f32_e32 v16, v16, v1
	s_waitcnt lgkmcnt(0)
	v_mul_f32_e32 v0, v33, v5
	v_mul_f32_e32 v1, v32, v5
	v_fma_f32 v0, v32, v4, -v0
	v_fmac_f32_e32 v1, v33, v4
	v_add_f32_e32 v18, v20, v0
	v_add_f32_e32 v19, v21, v1
	v_mul_f32_e32 v0, v33, v7
	v_mul_f32_e32 v1, v32, v7
	v_fma_f32 v0, v32, v6, -v0
	v_fmac_f32_e32 v1, v33, v6
	v_add_f32_e32 v78, v22, v0
	v_add_f32_e32 v84, v23, v1
	ds_read2_b64 v[0:3], v54 offset0:160 offset1:176
	s_waitcnt lgkmcnt(0)
	v_mul_f32_e32 v21, v32, v1
	v_fmac_f32_e32 v21, v33, v0
	v_add_f32_e32 v85, v58, v21
	ds_read_b128 v[58:61], v55 offset:528
	v_mul_f32_e32 v20, v33, v1
	v_fma_f32 v20, v32, v0, -v20
	v_add_f32_e32 v57, v57, v20
	v_mul_f32_e32 v20, v33, v3
	v_mul_f32_e32 v21, v32, v3
	v_fma_f32 v20, v32, v2, -v20
	v_fmac_f32_e32 v21, v33, v2
	v_add_f32_e32 v32, v65, v20
	v_add_f32_e32 v33, v66, v21
	s_waitcnt lgkmcnt(0)
	v_mul_f32_e32 v20, v59, v5
	v_mul_f32_e32 v21, v58, v5
	v_fma_f32 v20, v58, v4, -v20
	v_fmac_f32_e32 v21, v59, v4
	v_add_f32_e32 v65, v71, v20
	v_add_f32_e32 v66, v72, v21
	v_mul_f32_e32 v20, v59, v7
	v_mul_f32_e32 v21, v58, v7
	v_fma_f32 v20, v58, v6, -v20
	v_fmac_f32_e32 v21, v59, v6
	v_add_f32_e32 v69, v69, v20
	v_add_f32_e32 v70, v70, v21
	;; [unrolled: 6-line block ×8, first 2 shown]
	ds_read2_b64 v[20:23], v54 offset0:192 offset1:208
	s_waitcnt lgkmcnt(0)
	v_mul_f32_e32 v16, v35, v21
	v_mul_f32_e32 v17, v34, v21
	v_fma_f32 v16, v34, v20, -v16
	v_fmac_f32_e32 v17, v35, v20
	v_add_f32_e32 v79, v18, v16
	v_add_f32_e32 v80, v19, v17
	v_mul_f32_e32 v16, v35, v23
	v_mul_f32_e32 v17, v34, v23
	v_fma_f32 v16, v34, v22, -v16
	v_fmac_f32_e32 v17, v35, v22
	v_add_f32_e32 v77, v78, v16
	v_add_f32_e32 v78, v84, v17
	ds_read2_b64 v[16:19], v54 offset0:224 offset1:240
	s_waitcnt lgkmcnt(0)
	v_mul_f32_e32 v71, v35, v17
	v_fma_f32 v71, v34, v16, -v71
	v_add_f32_e32 v75, v57, v71
	v_mul_f32_e32 v57, v35, v19
	v_mul_f32_e32 v72, v34, v17
	v_fma_f32 v57, v34, v18, -v57
	v_mul_f32_e32 v34, v34, v19
	v_fmac_f32_e32 v34, v35, v18
	v_add_f32_e32 v73, v32, v57
	v_add_f32_e32 v74, v33, v34
	v_mul_f32_e32 v32, v61, v21
	v_mul_f32_e32 v33, v60, v21
	v_fmac_f32_e32 v72, v35, v16
	v_fma_f32 v32, v60, v20, -v32
	v_fmac_f32_e32 v33, v61, v20
	v_add_f32_e32 v76, v85, v72
	v_add_f32_e32 v71, v65, v32
	;; [unrolled: 1-line block ×3, first 2 shown]
	v_mul_f32_e32 v32, v61, v23
	v_mul_f32_e32 v33, v60, v23
	v_fma_f32 v32, v60, v22, -v32
	v_fmac_f32_e32 v33, v61, v22
	v_add_f32_e32 v69, v69, v32
	v_add_f32_e32 v70, v70, v33
	v_mul_f32_e32 v32, v61, v17
	v_mul_f32_e32 v33, v60, v17
	v_fma_f32 v32, v60, v16, -v32
	v_fmac_f32_e32 v33, v61, v16
	v_add_f32_e32 v67, v67, v32
	v_add_f32_e32 v68, v68, v33
	;; [unrolled: 6-line block ×7, first 2 shown]
	ds_read_b128 v[32:35], v55 offset:1536
	s_waitcnt lgkmcnt(0)
	v_mul_f32_e32 v81, v33, v9
	v_mul_f32_e32 v9, v32, v9
	v_fmac_f32_e32 v9, v33, v8
	v_fma_f32 v81, v32, v8, -v81
	v_add_f32_e32 v51, v51, v9
	v_mul_f32_e32 v8, v33, v11
	v_mul_f32_e32 v9, v32, v11
	v_fma_f32 v8, v32, v10, -v8
	v_fmac_f32_e32 v9, v33, v10
	v_add_f32_e32 v48, v48, v8
	v_add_f32_e32 v49, v49, v9
	v_mul_f32_e32 v8, v33, v13
	v_mul_f32_e32 v9, v32, v13
	v_fma_f32 v8, v32, v12, -v8
	v_fmac_f32_e32 v9, v33, v12
	v_add_f32_e32 v12, v47, v8
	v_add_f32_e32 v13, v46, v9
	v_pk_mul_f32 v[8:9], v[32:33], v[14:15] op_sel:[0,1]
	v_pk_fma_f32 v[10:11], v[32:33], v[14:15], v[8:9] op_sel:[0,0,1] op_sel_hi:[1,1,0] neg_lo:[0,0,1] neg_hi:[0,0,1]
	v_pk_fma_f32 v[8:9], v[32:33], v[14:15], v[8:9] op_sel:[0,0,1] op_sel_hi:[1,0,0]
	v_mov_b32_e32 v11, v9
	v_pk_add_f32 v[8:9], v[36:37], v[10:11]
	v_mul_f32_e32 v10, v35, v25
	v_mul_f32_e32 v11, v34, v25
	v_add_f32_e32 v50, v50, v81
	v_fma_f32 v10, v34, v24, -v10
	v_fmac_f32_e32 v11, v35, v24
	v_add_f32_e32 v32, v50, v10
	v_add_f32_e32 v33, v51, v11
	v_mul_f32_e32 v10, v35, v27
	v_mul_f32_e32 v11, v34, v27
	v_fma_f32 v10, v34, v26, -v10
	v_fmac_f32_e32 v11, v35, v26
	v_add_f32_e32 v24, v48, v10
	v_add_f32_e32 v25, v49, v11
	v_mul_f32_e32 v10, v35, v29
	v_mul_f32_e32 v11, v34, v29
	v_fma_f32 v10, v34, v28, -v10
	v_fmac_f32_e32 v11, v35, v28
	v_add_f32_e32 v14, v12, v10
	v_add_f32_e32 v15, v13, v11
	v_pk_mul_f32 v[10:11], v[34:35], v[30:31] op_sel:[0,1]
	v_pk_fma_f32 v[12:13], v[34:35], v[30:31], v[10:11] op_sel:[0,0,1] op_sel_hi:[1,1,0] neg_lo:[0,0,1] neg_hi:[0,0,1]
	v_pk_fma_f32 v[10:11], v[34:35], v[30:31], v[10:11] op_sel:[0,0,1] op_sel_hi:[1,0,0]
	v_mov_b32_e32 v13, v11
	v_pk_add_f32 v[12:13], v[8:9], v[12:13]
	ds_read_b128 v[8:11], v55 offset:1552
	s_waitcnt lgkmcnt(0)
	s_barrier
	v_mul_f32_e32 v26, v9, v5
	v_mul_f32_e32 v5, v8, v5
	v_fma_f32 v26, v8, v4, -v26
	v_fmac_f32_e32 v5, v9, v4
	v_mul_f32_e32 v4, v9, v7
	v_add_f32_e32 v27, v33, v5
	v_fma_f32 v4, v8, v6, -v4
	v_mul_f32_e32 v5, v8, v7
	v_fmac_f32_e32 v5, v9, v6
	v_add_f32_e32 v6, v24, v4
	v_mul_f32_e32 v4, v9, v1
	v_mul_f32_e32 v1, v8, v1
	v_fmac_f32_e32 v1, v9, v0
	v_fma_f32 v4, v8, v0, -v4
	v_add_f32_e32 v15, v15, v1
	v_pk_mul_f32 v[0:1], v[8:9], v[2:3] op_sel:[0,1]
	v_add_f32_e32 v7, v25, v5
	v_add_f32_e32 v14, v14, v4
	v_pk_fma_f32 v[4:5], v[8:9], v[2:3], v[0:1] op_sel:[0,0,1] op_sel_hi:[1,1,0] neg_lo:[0,0,1] neg_hi:[0,0,1]
	v_pk_fma_f32 v[0:1], v[8:9], v[2:3], v[0:1] op_sel:[0,0,1] op_sel_hi:[1,0,0]
	v_mul_f32_e32 v2, v11, v21
	v_mul_f32_e32 v3, v10, v21
	v_add_f32_e32 v26, v32, v26
	v_fma_f32 v2, v10, v20, -v2
	v_fmac_f32_e32 v3, v11, v20
	v_add_f32_e32 v50, v26, v2
	v_add_f32_e32 v51, v27, v3
	v_mul_f32_e32 v2, v11, v23
	v_mul_f32_e32 v3, v10, v23
	v_fma_f32 v2, v10, v22, -v2
	v_fmac_f32_e32 v3, v11, v22
	v_add_f32_e32 v48, v6, v2
	v_add_f32_e32 v49, v7, v3
	v_mul_f32_e32 v2, v11, v17
	v_mul_f32_e32 v3, v10, v17
	v_fma_f32 v2, v10, v16, -v2
	v_fmac_f32_e32 v3, v11, v16
	v_mov_b32_e32 v5, v1
	v_add_f32_e32 v47, v14, v2
	v_add_f32_e32 v46, v15, v3
	v_pk_mul_f32 v[2:3], v[10:11], v[18:19] op_sel:[0,1]
	v_pk_add_f32 v[0:1], v[12:13], v[4:5]
	v_pk_fma_f32 v[4:5], v[10:11], v[18:19], v[2:3] op_sel:[0,0,1] op_sel_hi:[1,1,0] neg_lo:[0,0,1] neg_hi:[0,0,1]
	v_pk_fma_f32 v[2:3], v[10:11], v[18:19], v[2:3] op_sel:[0,0,1] op_sel_hi:[1,0,0]
	v_mov_b32_e32 v5, v3
	v_pk_add_f32 v[36:37], v[0:1], v[4:5]
	s_cbranch_vccnz .LBB240_2
	s_branch .LBB240_4
.LBB240_3:
	v_mov_b32_e32 v37, 0
	v_mov_b32_e32 v36, v37
	;; [unrolled: 1-line block ×32, first 2 shown]
.LBB240_4:
	s_lshl_b64 s[2:3], s[2:3], 3
	s_waitcnt lgkmcnt(0)
	s_add_u32 s8, s8, s2
	v_mov_b32_e32 v0, s29
	v_add_co_u32_e32 v4, vcc, s28, v45
	s_addc_u32 s9, s9, s3
	v_addc_co_u32_e32 v5, vcc, 0, v0, vcc
	s_or_b32 s2, s10, s11
	s_bitset0_b32 s2, 31
	v_mov_b32_e32 v1, s7
	v_add_co_u32_e32 v0, vcc, s6, v44
	s_cmp_lg_u32 s2, 0
	v_addc_co_u32_e32 v1, vcc, 0, v1, vcc
	s_mov_b32 s2, s15
	s_mov_b32 s3, s14
	s_cbranch_scc1 .LBB240_6
; %bb.5:
	v_mul_lo_u32 v6, v5, s0
	v_mul_lo_u32 v7, v4, s1
	v_mad_u64_u32 v[2:3], s[6:7], v4, s0, 0
	v_add3_u32 v3, v3, v7, v6
	v_lshlrev_b64 v[2:3], 3, v[2:3]
	v_mov_b32_e32 v6, s9
	v_add_co_u32_e32 v8, vcc, s8, v2
	v_addc_co_u32_e32 v9, vcc, v6, v3, vcc
	v_lshlrev_b64 v[6:7], 3, v[0:1]
	v_mul_f32_e32 v2, s15, v80
	v_mul_f32_e32 v3, s14, v80
	v_add_co_u32_e32 v6, vcc, v8, v6
	v_fma_f32 v2, v79, s14, -v2
	v_fmac_f32_e32 v3, s15, v79
	v_addc_co_u32_e32 v7, vcc, v9, v7, vcc
	global_store_dwordx2 v[6:7], v[2:3], off
	v_mul_f32_e32 v2, s15, v78
	v_mul_f32_e32 v3, s14, v78
	v_fma_f32 v2, v77, s14, -v2
	v_fmac_f32_e32 v3, s15, v77
	global_store_dwordx2 v[6:7], v[2:3], off offset:128
	v_mul_f32_e32 v2, s15, v76
	v_mul_f32_e32 v3, s14, v76
	v_fma_f32 v2, v75, s14, -v2
	v_fmac_f32_e32 v3, s15, v75
	global_store_dwordx2 v[6:7], v[2:3], off offset:256
	v_mul_f32_e32 v2, s15, v74
	v_mul_f32_e32 v3, s14, v74
	v_fma_f32 v2, v73, s14, -v2
	v_fmac_f32_e32 v3, s15, v73
	s_lshl_b64 s[6:7], s[0:1], 7
	global_store_dwordx2 v[6:7], v[2:3], off offset:384
	v_mul_f32_e32 v2, s15, v72
	v_mul_f32_e32 v3, s14, v72
	v_mov_b32_e32 v9, s7
	v_add_co_u32_e32 v6, vcc, s6, v6
	v_fma_f32 v2, v71, s14, -v2
	v_fmac_f32_e32 v3, s15, v71
	v_addc_co_u32_e32 v7, vcc, v7, v9, vcc
	global_store_dwordx2 v[6:7], v[2:3], off
	v_mul_f32_e32 v2, s15, v70
	v_mul_f32_e32 v3, s14, v70
	v_fma_f32 v2, v69, s14, -v2
	v_fmac_f32_e32 v3, s15, v69
	global_store_dwordx2 v[6:7], v[2:3], off offset:128
	v_mul_f32_e32 v2, s15, v68
	v_mul_f32_e32 v3, s14, v68
	v_fma_f32 v2, v67, s14, -v2
	v_fmac_f32_e32 v3, s15, v67
	global_store_dwordx2 v[6:7], v[2:3], off offset:256
	;; [unrolled: 5-line block ×3, first 2 shown]
	v_mul_f32_e32 v2, s15, v64
	v_mul_f32_e32 v3, s14, v64
	v_add_co_u32_e32 v6, vcc, s6, v6
	v_fma_f32 v2, v63, s14, -v2
	v_fmac_f32_e32 v3, s15, v63
	v_addc_co_u32_e32 v7, vcc, v7, v9, vcc
	global_store_dwordx2 v[6:7], v[2:3], off
	v_mul_f32_e32 v2, s15, v62
	v_mul_f32_e32 v3, s14, v62
	v_fma_f32 v2, v61, s14, -v2
	v_fmac_f32_e32 v3, s15, v61
	global_store_dwordx2 v[6:7], v[2:3], off offset:128
	v_mul_f32_e32 v2, s15, v60
	v_mul_f32_e32 v3, s14, v60
	v_fma_f32 v2, v59, s14, -v2
	v_fmac_f32_e32 v3, s15, v59
	global_store_dwordx2 v[6:7], v[2:3], off offset:256
	;; [unrolled: 5-line block ×3, first 2 shown]
	v_mul_f32_e32 v2, s15, v51
	v_mul_f32_e32 v3, s14, v51
	v_add_co_u32_e32 v8, vcc, s6, v6
	v_fma_f32 v2, v50, s14, -v2
	v_fmac_f32_e32 v3, s15, v50
	v_addc_co_u32_e32 v9, vcc, v7, v9, vcc
	global_store_dwordx2 v[8:9], v[2:3], off
	v_mul_f32_e32 v2, s15, v49
	v_mul_f32_e32 v3, s14, v49
	v_fma_f32 v2, v48, s14, -v2
	v_fmac_f32_e32 v3, s15, v48
	global_store_dwordx2 v[8:9], v[2:3], off offset:128
	v_mul_f32_e32 v2, s15, v46
	v_mul_f32_e32 v3, s14, v46
	v_fma_f32 v2, v47, s14, -v2
	v_fmac_f32_e32 v3, s15, v47
	global_store_dwordx2 v[8:9], v[2:3], off offset:256
	v_mul_f32_e32 v2, s3, v36
	v_fma_f32 v7, -v37, s2, v2
	v_pk_mul_f32 v[2:3], v[36:37], s[2:3]
	v_add_f32_e32 v6, v2, v3
	v_add_co_u32_e32 v2, vcc, 0x180, v8
	v_addc_co_u32_e32 v3, vcc, 0, v9, vcc
	global_store_dword v[8:9], v7, off offset:384
	s_cbranch_execz .LBB240_7
	s_branch .LBB240_8
.LBB240_6:
                                        ; implicit-def: $vgpr6
                                        ; implicit-def: $vgpr2_vgpr3
.LBB240_7:
	s_lshl_b64 s[6:7], s[40:41], 3
	s_add_u32 s6, s4, s6
	s_addc_u32 s7, s5, s7
	v_mul_lo_u32 v6, v5, s38
	v_mul_lo_u32 v7, v4, s39
	v_mad_u64_u32 v[2:3], s[4:5], v4, s38, 0
	v_add3_u32 v3, v3, v7, v6
	v_lshlrev_b64 v[2:3], 3, v[2:3]
	v_mov_b32_e32 v6, s7
	v_add_co_u32_e32 v2, vcc, s6, v2
	v_addc_co_u32_e32 v3, vcc, v6, v3, vcc
	v_lshlrev_b64 v[0:1], 3, v[0:1]
	v_add_co_u32_e32 v2, vcc, v2, v0
	v_addc_co_u32_e32 v3, vcc, v3, v1, vcc
	global_load_dwordx2 v[6:7], v[2:3], off
	v_mul_lo_u32 v8, v5, s0
	v_mul_lo_u32 v9, v4, s1
	v_mad_u64_u32 v[4:5], s[4:5], v4, s0, 0
	v_add3_u32 v5, v5, v9, v8
	v_lshlrev_b64 v[4:5], 3, v[4:5]
	v_mov_b32_e32 v10, s9
	v_add_co_u32_e32 v4, vcc, s8, v4
	v_addc_co_u32_e32 v5, vcc, v10, v5, vcc
	v_add_co_u32_e32 v0, vcc, v4, v0
	v_mul_f32_e32 v11, s15, v80
	v_mul_f32_e32 v12, s14, v80
	v_addc_co_u32_e32 v1, vcc, v5, v1, vcc
	v_fma_f32 v8, v79, s14, -v11
	v_fmac_f32_e32 v12, s15, v79
	s_lshl_b64 s[4:5], s[38:39], 7
	s_lshl_b64 s[0:1], s[0:1], 7
	s_waitcnt vmcnt(0)
	v_mul_f32_e32 v4, s11, v7
	v_mul_f32_e32 v5, s10, v7
	v_fma_f32 v4, v6, s10, -v4
	v_fmac_f32_e32 v5, s11, v6
	v_add_f32_e32 v4, v8, v4
	v_add_f32_e32 v5, v12, v5
	global_store_dwordx2 v[0:1], v[4:5], off
	global_load_dwordx2 v[4:5], v[2:3], off offset:128
	v_mul_f32_e32 v6, s15, v78
	v_mul_f32_e32 v7, s14, v78
	v_fma_f32 v6, v77, s14, -v6
	v_fmac_f32_e32 v7, s15, v77
	s_waitcnt vmcnt(0)
	v_mul_f32_e32 v8, s11, v5
	v_mul_f32_e32 v5, s10, v5
	v_fma_f32 v8, v4, s10, -v8
	v_fmac_f32_e32 v5, s11, v4
	v_add_f32_e32 v4, v6, v8
	v_add_f32_e32 v5, v7, v5
	global_store_dwordx2 v[0:1], v[4:5], off offset:128
	global_load_dwordx2 v[4:5], v[2:3], off offset:256
	v_mul_f32_e32 v6, s15, v76
	v_mul_f32_e32 v7, s14, v76
	v_fma_f32 v6, v75, s14, -v6
	v_fmac_f32_e32 v7, s15, v75
	s_waitcnt vmcnt(0)
	v_mul_f32_e32 v8, s11, v5
	v_mul_f32_e32 v5, s10, v5
	v_fma_f32 v8, v4, s10, -v8
	v_fmac_f32_e32 v5, s11, v4
	v_add_f32_e32 v4, v6, v8
	v_add_f32_e32 v5, v7, v5
	global_store_dwordx2 v[0:1], v[4:5], off offset:256
	global_load_dwordx2 v[4:5], v[2:3], off offset:384
	v_mul_f32_e32 v6, s15, v74
	v_mul_f32_e32 v7, s14, v74
	v_fma_f32 v6, v73, s14, -v6
	v_fmac_f32_e32 v7, s15, v73
	v_mov_b32_e32 v8, s5
	v_add_co_u32_e32 v2, vcc, s4, v2
	v_addc_co_u32_e32 v3, vcc, v3, v8, vcc
	s_waitcnt vmcnt(0)
	v_mul_f32_e32 v9, s11, v5
	v_mul_f32_e32 v5, s10, v5
	v_fma_f32 v9, v4, s10, -v9
	v_fmac_f32_e32 v5, s11, v4
	v_add_f32_e32 v4, v6, v9
	v_add_f32_e32 v5, v7, v5
	global_store_dwordx2 v[0:1], v[4:5], off offset:384
	global_load_dwordx2 v[4:5], v[2:3], off
	v_mul_f32_e32 v6, s15, v72
	v_mul_f32_e32 v7, s14, v72
	v_fma_f32 v6, v71, s14, -v6
	v_fmac_f32_e32 v7, s15, v71
	v_mov_b32_e32 v9, s1
	v_add_co_u32_e32 v0, vcc, s0, v0
	v_addc_co_u32_e32 v1, vcc, v1, v9, vcc
	s_waitcnt vmcnt(0)
	v_mul_f32_e32 v10, s11, v5
	v_mul_f32_e32 v5, s10, v5
	v_fma_f32 v10, v4, s10, -v10
	v_fmac_f32_e32 v5, s11, v4
	v_add_f32_e32 v4, v6, v10
	v_add_f32_e32 v5, v7, v5
	global_store_dwordx2 v[0:1], v[4:5], off
	global_load_dwordx2 v[4:5], v[2:3], off offset:128
	v_mul_f32_e32 v6, s15, v70
	v_mul_f32_e32 v7, s14, v70
	v_fma_f32 v6, v69, s14, -v6
	v_fmac_f32_e32 v7, s15, v69
	s_waitcnt vmcnt(0)
	v_mul_f32_e32 v10, s11, v5
	v_mul_f32_e32 v5, s10, v5
	v_fma_f32 v10, v4, s10, -v10
	v_fmac_f32_e32 v5, s11, v4
	v_add_f32_e32 v4, v6, v10
	v_add_f32_e32 v5, v7, v5
	global_store_dwordx2 v[0:1], v[4:5], off offset:128
	global_load_dwordx2 v[4:5], v[2:3], off offset:256
	v_mul_f32_e32 v6, s15, v68
	v_mul_f32_e32 v7, s14, v68
	v_fma_f32 v6, v67, s14, -v6
	v_fmac_f32_e32 v7, s15, v67
	s_waitcnt vmcnt(0)
	v_mul_f32_e32 v10, s11, v5
	v_mul_f32_e32 v5, s10, v5
	v_fma_f32 v10, v4, s10, -v10
	v_fmac_f32_e32 v5, s11, v4
	v_add_f32_e32 v4, v6, v10
	v_add_f32_e32 v5, v7, v5
	global_store_dwordx2 v[0:1], v[4:5], off offset:256
	global_load_dwordx2 v[4:5], v[2:3], off offset:384
	v_mul_f32_e32 v6, s15, v66
	v_mul_f32_e32 v7, s14, v66
	v_fma_f32 v6, v65, s14, -v6
	v_fmac_f32_e32 v7, s15, v65
	v_add_co_u32_e32 v2, vcc, s4, v2
	v_addc_co_u32_e32 v3, vcc, v3, v8, vcc
	s_waitcnt vmcnt(0)
	v_mul_f32_e32 v10, s11, v5
	v_mul_f32_e32 v5, s10, v5
	v_fma_f32 v10, v4, s10, -v10
	v_fmac_f32_e32 v5, s11, v4
	v_add_f32_e32 v4, v6, v10
	v_add_f32_e32 v5, v7, v5
	global_store_dwordx2 v[0:1], v[4:5], off offset:384
	global_load_dwordx2 v[4:5], v[2:3], off
	v_mul_f32_e32 v6, s15, v64
	v_mul_f32_e32 v7, s14, v64
	v_fma_f32 v6, v63, s14, -v6
	v_fmac_f32_e32 v7, s15, v63
	v_add_co_u32_e32 v0, vcc, s0, v0
	v_addc_co_u32_e32 v1, vcc, v1, v9, vcc
	s_waitcnt vmcnt(0)
	v_mul_f32_e32 v10, s11, v5
	v_mul_f32_e32 v5, s10, v5
	v_fma_f32 v10, v4, s10, -v10
	v_fmac_f32_e32 v5, s11, v4
	v_add_f32_e32 v4, v6, v10
	v_add_f32_e32 v5, v7, v5
	global_store_dwordx2 v[0:1], v[4:5], off
	global_load_dwordx2 v[4:5], v[2:3], off offset:128
	v_mul_f32_e32 v6, s15, v62
	v_mul_f32_e32 v7, s14, v62
	v_fma_f32 v6, v61, s14, -v6
	v_fmac_f32_e32 v7, s15, v61
	s_waitcnt vmcnt(0)
	v_mul_f32_e32 v10, s11, v5
	v_mul_f32_e32 v5, s10, v5
	v_fma_f32 v10, v4, s10, -v10
	v_fmac_f32_e32 v5, s11, v4
	v_add_f32_e32 v4, v6, v10
	v_add_f32_e32 v5, v7, v5
	global_store_dwordx2 v[0:1], v[4:5], off offset:128
	global_load_dwordx2 v[4:5], v[2:3], off offset:256
	v_mul_f32_e32 v6, s15, v60
	v_mul_f32_e32 v7, s14, v60
	v_fma_f32 v6, v59, s14, -v6
	v_fmac_f32_e32 v7, s15, v59
	s_waitcnt vmcnt(0)
	v_mul_f32_e32 v10, s11, v5
	v_mul_f32_e32 v5, s10, v5
	v_fma_f32 v10, v4, s10, -v10
	v_fmac_f32_e32 v5, s11, v4
	v_add_f32_e32 v4, v6, v10
	v_add_f32_e32 v5, v7, v5
	global_store_dwordx2 v[0:1], v[4:5], off offset:256
	global_load_dwordx2 v[4:5], v[2:3], off offset:384
	v_add_co_u32_e32 v2, vcc, s4, v2
	v_mul_f32_e32 v6, s15, v58
	v_mul_f32_e32 v7, s14, v58
	v_addc_co_u32_e32 v3, vcc, v3, v8, vcc
	v_fma_f32 v6, v57, s14, -v6
	v_fmac_f32_e32 v7, s15, v57
	s_waitcnt vmcnt(0)
	v_mul_f32_e32 v8, s11, v5
	v_mul_f32_e32 v5, s10, v5
	v_fma_f32 v8, v4, s10, -v8
	v_fmac_f32_e32 v5, s11, v4
	v_add_f32_e32 v4, v6, v8
	v_add_f32_e32 v5, v7, v5
	global_store_dwordx2 v[0:1], v[4:5], off offset:384
	global_load_dwordx2 v[4:5], v[2:3], off
	v_mul_f32_e32 v6, s15, v51
	v_mul_f32_e32 v7, s14, v51
	v_fma_f32 v6, v50, s14, -v6
	v_fmac_f32_e32 v7, s15, v50
	v_add_co_u32_e32 v0, vcc, s0, v0
	v_addc_co_u32_e32 v1, vcc, v1, v9, vcc
	s_waitcnt vmcnt(0)
	v_mul_f32_e32 v8, s11, v5
	v_mul_f32_e32 v5, s10, v5
	v_fma_f32 v8, v4, s10, -v8
	v_fmac_f32_e32 v5, s11, v4
	v_add_f32_e32 v4, v6, v8
	v_add_f32_e32 v5, v7, v5
	global_store_dwordx2 v[0:1], v[4:5], off
	global_load_dwordx2 v[4:5], v[2:3], off offset:128
	v_mul_f32_e32 v6, s15, v49
	v_mul_f32_e32 v7, s14, v49
	v_fma_f32 v6, v48, s14, -v6
	v_fmac_f32_e32 v7, s15, v48
	s_waitcnt vmcnt(0)
	v_mul_f32_e32 v8, s11, v5
	v_mul_f32_e32 v5, s10, v5
	v_fma_f32 v8, v4, s10, -v8
	v_fmac_f32_e32 v5, s11, v4
	v_add_f32_e32 v4, v6, v8
	v_add_f32_e32 v5, v7, v5
	global_store_dwordx2 v[0:1], v[4:5], off offset:128
	global_load_dwordx2 v[4:5], v[2:3], off offset:256
	v_mul_f32_e32 v6, s15, v46
	v_mul_f32_e32 v7, s14, v46
	v_fma_f32 v6, v47, s14, -v6
	v_fmac_f32_e32 v7, s15, v47
	s_waitcnt vmcnt(0)
	v_mul_f32_e32 v8, s11, v5
	v_mul_f32_e32 v5, s10, v5
	v_fma_f32 v8, v4, s10, -v8
	v_fmac_f32_e32 v5, s11, v4
	v_add_f32_e32 v4, v6, v8
	v_add_f32_e32 v5, v7, v5
	global_store_dwordx2 v[0:1], v[4:5], off offset:256
	global_load_dwordx2 v[4:5], v[2:3], off offset:384
	v_mul_f32_e32 v6, s3, v36
	v_pk_mul_f32 v[2:3], v[36:37], s[2:3]
	v_fma_f32 v8, -v37, s2, v6
	v_add_f32_e32 v3, v2, v3
	v_add_co_u32_e32 v2, vcc, 0x180, v0
	s_waitcnt vmcnt(0)
	v_pk_mul_f32 v[6:7], v[4:5], s[10:11] op_sel:[0,1] op_sel_hi:[1,0]
	v_mul_f32_e32 v4, s10, v4
	v_fma_f32 v4, -v5, s11, v4
	v_add_f32_e32 v5, v6, v7
	v_add_f32_e32 v4, v8, v4
	;; [unrolled: 1-line block ×3, first 2 shown]
	v_addc_co_u32_e32 v3, vcc, 0, v1, vcc
	global_store_dword v[0:1], v4, off offset:384
.LBB240_8:
	global_store_dword v[2:3], v6, off offset:4
	s_endpgm
	.section	.rodata,"a",@progbits
	.p2align	6, 0x0
	.amdhsa_kernel _ZN12_GLOBAL__N_127rocblas_gemm_batched_kernelI19rocblas_complex_numIfELi16ELi16ELi64ELi64ELi4ELi64ELi4ELi4ELi64ELc67ELc84EKPKS2_S5_KPS2_EEvlllT_PT11_llSA_llS8_PT12_llPT13_lli
		.amdhsa_group_segment_fixed_size 4096
		.amdhsa_private_segment_fixed_size 0
		.amdhsa_kernarg_size 140
		.amdhsa_user_sgpr_count 6
		.amdhsa_user_sgpr_private_segment_buffer 1
		.amdhsa_user_sgpr_dispatch_ptr 0
		.amdhsa_user_sgpr_queue_ptr 0
		.amdhsa_user_sgpr_kernarg_segment_ptr 1
		.amdhsa_user_sgpr_dispatch_id 0
		.amdhsa_user_sgpr_flat_scratch_init 0
		.amdhsa_user_sgpr_kernarg_preload_length 0
		.amdhsa_user_sgpr_kernarg_preload_offset 0
		.amdhsa_user_sgpr_private_segment_size 0
		.amdhsa_uses_dynamic_stack 0
		.amdhsa_system_sgpr_private_segment_wavefront_offset 0
		.amdhsa_system_sgpr_workgroup_id_x 1
		.amdhsa_system_sgpr_workgroup_id_y 1
		.amdhsa_system_sgpr_workgroup_id_z 1
		.amdhsa_system_sgpr_workgroup_info 0
		.amdhsa_system_vgpr_workitem_id 1
		.amdhsa_next_free_vgpr 90
		.amdhsa_next_free_sgpr 44
		.amdhsa_accum_offset 92
		.amdhsa_reserve_vcc 1
		.amdhsa_reserve_flat_scratch 0
		.amdhsa_float_round_mode_32 0
		.amdhsa_float_round_mode_16_64 0
		.amdhsa_float_denorm_mode_32 3
		.amdhsa_float_denorm_mode_16_64 3
		.amdhsa_dx10_clamp 1
		.amdhsa_ieee_mode 1
		.amdhsa_fp16_overflow 0
		.amdhsa_tg_split 0
		.amdhsa_exception_fp_ieee_invalid_op 0
		.amdhsa_exception_fp_denorm_src 0
		.amdhsa_exception_fp_ieee_div_zero 0
		.amdhsa_exception_fp_ieee_overflow 0
		.amdhsa_exception_fp_ieee_underflow 0
		.amdhsa_exception_fp_ieee_inexact 0
		.amdhsa_exception_int_div_zero 0
	.end_amdhsa_kernel
	.section	.text._ZN12_GLOBAL__N_127rocblas_gemm_batched_kernelI19rocblas_complex_numIfELi16ELi16ELi64ELi64ELi4ELi64ELi4ELi4ELi64ELc67ELc84EKPKS2_S5_KPS2_EEvlllT_PT11_llSA_llS8_PT12_llPT13_lli,"axG",@progbits,_ZN12_GLOBAL__N_127rocblas_gemm_batched_kernelI19rocblas_complex_numIfELi16ELi16ELi64ELi64ELi4ELi64ELi4ELi4ELi64ELc67ELc84EKPKS2_S5_KPS2_EEvlllT_PT11_llSA_llS8_PT12_llPT13_lli,comdat
.Lfunc_end240:
	.size	_ZN12_GLOBAL__N_127rocblas_gemm_batched_kernelI19rocblas_complex_numIfELi16ELi16ELi64ELi64ELi4ELi64ELi4ELi4ELi64ELc67ELc84EKPKS2_S5_KPS2_EEvlllT_PT11_llSA_llS8_PT12_llPT13_lli, .Lfunc_end240-_ZN12_GLOBAL__N_127rocblas_gemm_batched_kernelI19rocblas_complex_numIfELi16ELi16ELi64ELi64ELi4ELi64ELi4ELi4ELi64ELc67ELc84EKPKS2_S5_KPS2_EEvlllT_PT11_llSA_llS8_PT12_llPT13_lli
                                        ; -- End function
	.section	.AMDGPU.csdata,"",@progbits
; Kernel info:
; codeLenInByte = 4748
; NumSgprs: 48
; NumVgprs: 90
; NumAgprs: 0
; TotalNumVgprs: 90
; ScratchSize: 0
; MemoryBound: 0
; FloatMode: 240
; IeeeMode: 1
; LDSByteSize: 4096 bytes/workgroup (compile time only)
; SGPRBlocks: 5
; VGPRBlocks: 11
; NumSGPRsForWavesPerEU: 48
; NumVGPRsForWavesPerEU: 90
; AccumOffset: 92
; Occupancy: 5
; WaveLimiterHint : 1
; COMPUTE_PGM_RSRC2:SCRATCH_EN: 0
; COMPUTE_PGM_RSRC2:USER_SGPR: 6
; COMPUTE_PGM_RSRC2:TRAP_HANDLER: 0
; COMPUTE_PGM_RSRC2:TGID_X_EN: 1
; COMPUTE_PGM_RSRC2:TGID_Y_EN: 1
; COMPUTE_PGM_RSRC2:TGID_Z_EN: 1
; COMPUTE_PGM_RSRC2:TIDIG_COMP_CNT: 1
; COMPUTE_PGM_RSRC3_GFX90A:ACCUM_OFFSET: 22
; COMPUTE_PGM_RSRC3_GFX90A:TG_SPLIT: 0
	.section	.text._ZN12_GLOBAL__N_127rocblas_gemm_batched_kernelI19rocblas_complex_numIfELi16ELi16ELi64ELi64ELi4ELi64ELi4ELi4ELi64ELc78ELc67EKPKS2_S5_KPS2_EEvlllT_PT11_llSA_llS8_PT12_llPT13_lli,"axG",@progbits,_ZN12_GLOBAL__N_127rocblas_gemm_batched_kernelI19rocblas_complex_numIfELi16ELi16ELi64ELi64ELi4ELi64ELi4ELi4ELi64ELc78ELc67EKPKS2_S5_KPS2_EEvlllT_PT11_llSA_llS8_PT12_llPT13_lli,comdat
	.globl	_ZN12_GLOBAL__N_127rocblas_gemm_batched_kernelI19rocblas_complex_numIfELi16ELi16ELi64ELi64ELi4ELi64ELi4ELi4ELi64ELc78ELc67EKPKS2_S5_KPS2_EEvlllT_PT11_llSA_llS8_PT12_llPT13_lli ; -- Begin function _ZN12_GLOBAL__N_127rocblas_gemm_batched_kernelI19rocblas_complex_numIfELi16ELi16ELi64ELi64ELi4ELi64ELi4ELi4ELi64ELc78ELc67EKPKS2_S5_KPS2_EEvlllT_PT11_llSA_llS8_PT12_llPT13_lli
	.p2align	8
	.type	_ZN12_GLOBAL__N_127rocblas_gemm_batched_kernelI19rocblas_complex_numIfELi16ELi16ELi64ELi64ELi4ELi64ELi4ELi4ELi64ELc78ELc67EKPKS2_S5_KPS2_EEvlllT_PT11_llSA_llS8_PT12_llPT13_lli,@function
_ZN12_GLOBAL__N_127rocblas_gemm_batched_kernelI19rocblas_complex_numIfELi16ELi16ELi64ELi64ELi4ELi64ELi4ELi4ELi64ELc78ELc67EKPKS2_S5_KPS2_EEvlllT_PT11_llSA_llS8_PT12_llPT13_lli: ; @_ZN12_GLOBAL__N_127rocblas_gemm_batched_kernelI19rocblas_complex_numIfELi16ELi16ELi64ELi64ELi4ELi64ELi4ELi4ELi64ELc78ELc67EKPKS2_S5_KPS2_EEvlllT_PT11_llSA_llS8_PT12_llPT13_lli
; %bb.0:
	s_load_dwordx16 s[12:27], s[4:5], 0x10
	s_load_dwordx4 s[0:3], s[4:5], 0x78
	s_load_dwordx8 s[36:43], s[4:5], 0x58
	s_load_dwordx2 s[10:11], s[4:5], 0x50
	s_mov_b32 s9, 0
	s_lshl_b64 s[30:31], s[8:9], 3
	s_mov_b32 s28, s7
	s_waitcnt lgkmcnt(0)
	s_add_u32 s4, s36, s30
	s_addc_u32 s5, s37, s31
	s_add_u32 s8, s42, s30
	s_addc_u32 s9, s43, s31
	s_load_dwordx2 s[4:5], s[4:5], 0x0
	s_ashr_i32 s7, s6, 31
	s_load_dwordx2 s[8:9], s[8:9], 0x0
	s_ashr_i32 s29, s28, 31
	v_cmp_lt_i64_e64 s[34:35], s[12:13], 1
	v_bfe_u32 v45, v0, 10, 10
	v_and_b32_e32 v44, 0x3ff, v0
	s_lshl_b64 s[6:7], s[6:7], 6
	s_lshl_b64 s[28:29], s[28:29], 6
	s_and_b64 vcc, exec, s[34:35]
	s_cbranch_vccnz .LBB241_3
; %bb.1:
	v_lshl_add_u32 v4, v45, 4, v44
	s_add_u32 s16, s16, s30
	v_lshrrev_b32_e32 v5, 2, v4
	s_addc_u32 s17, s17, s31
	v_mov_b32_e32 v1, s29
	v_add_co_u32_e32 v0, vcc, s28, v5
	s_add_u32 s22, s22, s30
	v_addc_co_u32_e32 v1, vcc, 0, v1, vcc
	v_and_b32_e32 v6, 3, v44
	s_addc_u32 s23, s23, s31
	v_mad_u64_u32 v[0:1], s[30:31], v6, s24, v[0:1]
	v_mov_b32_e32 v2, v1
	v_mad_u64_u32 v[2:3], s[30:31], v6, s25, v[2:3]
	v_and_b32_e32 v7, 63, v4
	v_mov_b32_e32 v1, v2
	v_lshrrev_b32_e32 v8, 6, v4
	v_lshlrev_b32_e32 v2, 3, v7
	v_lshl_or_b32 v52, v8, 9, v2
	v_lshlrev_b32_e32 v2, 3, v6
	v_lshl_or_b32 v2, v5, 5, v2
	v_add_u32_e32 v53, 0x800, v2
	v_mov_b32_e32 v2, 0x800
	s_load_dwordx2 s[16:17], s[16:17], 0x0
	v_lshl_add_u32 v55, v45, 5, v2
	v_pk_mov_b32 v[2:3], s[6:7], s[6:7] op_sel:[0,1]
	v_mad_u64_u32 v[2:3], s[30:31], v8, s18, v[2:3]
	v_mov_b32_e32 v4, v3
	s_load_dwordx2 s[22:23], s[22:23], 0x0
	v_mad_u64_u32 v[4:5], s[30:31], v8, s19, v[4:5]
	s_lshl_b64 s[20:21], s[20:21], 3
	v_mov_b32_e32 v3, v4
	v_add_co_u32_e32 v2, vcc, v2, v7
	v_addc_co_u32_e32 v3, vcc, 0, v3, vcc
	s_waitcnt lgkmcnt(0)
	s_add_u32 s16, s16, s20
	v_lshlrev_b64 v[2:3], 3, v[2:3]
	s_addc_u32 s17, s17, s21
	v_mov_b32_e32 v4, s17
	v_add_co_u32_e32 v38, vcc, s16, v2
	s_lshl_b64 s[16:17], s[18:19], 5
	s_lshl_b64 s[18:19], s[26:27], 3
	s_add_u32 s18, s22, s18
	v_addc_co_u32_e32 v39, vcc, v4, v3, vcc
	v_lshlrev_b64 v[0:1], 3, v[0:1]
	s_addc_u32 s19, s23, s19
	v_mov_b32_e32 v2, s19
	v_add_co_u32_e32 v0, vcc, s18, v0
	v_addc_co_u32_e32 v1, vcc, v2, v1, vcc
	v_add_co_u32_e32 v40, vcc, 4, v0
	s_lshl_b64 s[18:19], s[24:25], 5
	v_mov_b32_e32 v46, 0
	v_lshlrev_b32_e32 v54, 3, v44
	v_addc_co_u32_e32 v41, vcc, 0, v1, vcc
	s_mov_b64 s[20:21], 0
	v_mov_b32_e32 v56, s17
	v_mov_b32_e32 v57, s19
	v_pk_mov_b32 v[42:43], s[12:13], s[12:13] op_sel:[0,1]
	v_mov_b32_e32 v47, 0
	v_mov_b32_e32 v49, 0
	;; [unrolled: 1-line block ×31, first 2 shown]
.LBB241_2:                              ; =>This Inner Loop Header: Depth=1
	global_load_dwordx2 v[0:1], v[38:39], off
	v_add_co_u32_e32 v38, vcc, s16, v38
	v_addc_co_u32_e32 v39, vcc, v39, v56, vcc
	s_add_u32 s20, s20, 4
	s_addc_u32 s21, s21, 0
	s_waitcnt vmcnt(0)
	ds_write_b64 v52, v[0:1]
	global_load_dwordx2 v[0:1], v[40:41], off offset:-4
	v_add_co_u32_e32 v40, vcc, s18, v40
	v_addc_co_u32_e32 v41, vcc, v41, v57, vcc
	v_cmp_lt_i64_e32 vcc, s[20:21], v[42:43]
	s_and_b64 vcc, exec, vcc
	s_waitcnt vmcnt(0)
	v_xor_b32_e32 v1, 0x80000000, v1
	ds_write_b64 v53, v[0:1]
	s_waitcnt lgkmcnt(0)
	s_barrier
	ds_read_b128 v[0:3], v55
	ds_read_b128 v[32:35], v55 offset:16
	ds_read2_b64 v[8:11], v54 offset1:16
	ds_read2_b64 v[12:15], v54 offset0:32 offset1:48
	s_waitcnt lgkmcnt(1)
	v_mul_f32_e32 v4, v1, v9
	v_fma_f32 v4, v0, v8, -v4
	v_mul_f32_e32 v5, v0, v9
	v_add_f32_e32 v20, v80, v4
	v_mul_f32_e32 v4, v1, v11
	v_fmac_f32_e32 v5, v1, v8
	v_fma_f32 v4, v0, v10, -v4
	v_add_f32_e32 v21, v81, v5
	v_mul_f32_e32 v5, v0, v11
	v_add_f32_e32 v22, v78, v4
	s_waitcnt lgkmcnt(0)
	v_mul_f32_e32 v4, v1, v13
	v_fmac_f32_e32 v5, v1, v10
	v_fma_f32 v4, v0, v12, -v4
	v_add_f32_e32 v23, v79, v5
	v_mul_f32_e32 v5, v0, v13
	v_add_f32_e32 v76, v76, v4
	v_mul_f32_e32 v4, v1, v15
	v_fmac_f32_e32 v5, v1, v12
	v_fma_f32 v4, v0, v14, -v4
	v_mul_f32_e32 v0, v0, v15
	v_add_f32_e32 v77, v77, v5
	v_fmac_f32_e32 v0, v1, v14
	v_add_f32_e32 v1, v74, v4
	ds_read_b128 v[4:7], v55 offset:512
	ds_read_b128 v[80:83], v55 offset:1040
	v_add_f32_e32 v0, v75, v0
	s_waitcnt lgkmcnt(1)
	v_mul_f32_e32 v16, v5, v9
	v_fma_f32 v16, v4, v8, -v16
	v_mul_f32_e32 v17, v4, v9
	v_add_f32_e32 v72, v72, v16
	v_mul_f32_e32 v16, v5, v11
	v_fmac_f32_e32 v17, v5, v8
	v_fma_f32 v16, v4, v10, -v16
	v_add_f32_e32 v73, v73, v17
	v_mul_f32_e32 v17, v4, v11
	v_add_f32_e32 v70, v70, v16
	v_mul_f32_e32 v16, v5, v13
	v_fmac_f32_e32 v17, v5, v10
	v_fma_f32 v16, v4, v12, -v16
	v_add_f32_e32 v71, v71, v17
	v_mul_f32_e32 v17, v4, v13
	v_add_f32_e32 v68, v68, v16
	v_mul_f32_e32 v16, v5, v15
	v_fmac_f32_e32 v17, v5, v12
	v_fma_f32 v16, v4, v14, -v16
	v_mul_f32_e32 v4, v4, v15
	v_add_f32_e32 v69, v69, v17
	v_fmac_f32_e32 v4, v5, v14
	v_add_f32_e32 v5, v66, v16
	ds_read_b128 v[16:19], v55 offset:1024
	v_add_f32_e32 v4, v67, v4
	s_waitcnt lgkmcnt(0)
	v_mul_f32_e32 v24, v17, v9
	v_fma_f32 v24, v16, v8, -v24
	v_mul_f32_e32 v25, v16, v9
	v_add_f32_e32 v64, v64, v24
	v_mul_f32_e32 v24, v17, v11
	v_fmac_f32_e32 v25, v17, v8
	v_fma_f32 v24, v16, v10, -v24
	v_add_f32_e32 v65, v65, v25
	v_mul_f32_e32 v25, v16, v11
	v_add_f32_e32 v62, v62, v24
	v_mul_f32_e32 v24, v17, v13
	v_fmac_f32_e32 v25, v17, v10
	v_fma_f32 v24, v16, v12, -v24
	v_add_f32_e32 v63, v63, v25
	v_mul_f32_e32 v25, v16, v13
	v_add_f32_e32 v60, v60, v24
	v_mul_f32_e32 v24, v17, v15
	v_fmac_f32_e32 v25, v17, v12
	v_fma_f32 v24, v16, v14, -v24
	v_mul_f32_e32 v16, v16, v15
	v_add_f32_e32 v61, v61, v25
	v_fmac_f32_e32 v16, v17, v14
	v_add_f32_e32 v17, v58, v24
	ds_read2_b64 v[24:27], v54 offset0:64 offset1:80
	v_add_f32_e32 v16, v59, v16
	s_waitcnt lgkmcnt(0)
	v_mul_f32_e32 v28, v3, v25
	v_mul_f32_e32 v29, v2, v25
	v_fma_f32 v28, v2, v24, -v28
	v_fmac_f32_e32 v29, v3, v24
	v_add_f32_e32 v20, v20, v28
	v_add_f32_e32 v21, v21, v29
	v_mul_f32_e32 v28, v3, v27
	v_mul_f32_e32 v29, v2, v27
	v_fma_f32 v28, v2, v26, -v28
	v_fmac_f32_e32 v29, v3, v26
	v_add_f32_e32 v22, v22, v28
	v_add_f32_e32 v23, v23, v29
	ds_read2_b64 v[28:31], v54 offset0:96 offset1:112
	s_waitcnt lgkmcnt(0)
	v_mul_f32_e32 v58, v3, v29
	v_mul_f32_e32 v66, v3, v31
	v_fma_f32 v58, v2, v28, -v58
	v_mul_f32_e32 v59, v2, v29
	v_fma_f32 v66, v2, v30, -v66
	v_mul_f32_e32 v2, v2, v31
	v_fmac_f32_e32 v2, v3, v30
	v_add_f32_e32 v66, v1, v66
	v_add_f32_e32 v67, v0, v2
	v_mul_f32_e32 v0, v7, v25
	v_mul_f32_e32 v1, v6, v25
	v_fma_f32 v0, v6, v24, -v0
	v_fmac_f32_e32 v1, v7, v24
	v_add_f32_e32 v72, v72, v0
	v_add_f32_e32 v73, v73, v1
	v_mul_f32_e32 v0, v7, v27
	v_mul_f32_e32 v1, v6, v27
	v_fma_f32 v0, v6, v26, -v0
	;; [unrolled: 6-line block ×6, first 2 shown]
	v_fmac_f32_e32 v1, v19, v26
	ds_read2_b64 v[4:7], v54 offset0:128 offset1:144
	v_add_f32_e32 v62, v62, v0
	v_add_f32_e32 v63, v63, v1
	v_mul_f32_e32 v0, v19, v29
	v_mul_f32_e32 v1, v18, v29
	v_fmac_f32_e32 v59, v3, v28
	v_fma_f32 v0, v18, v28, -v0
	v_fmac_f32_e32 v1, v19, v28
	v_add_f32_e32 v58, v76, v58
	v_add_f32_e32 v59, v77, v59
	v_add_f32_e32 v76, v60, v0
	v_add_f32_e32 v77, v61, v1
	v_mul_f32_e32 v0, v19, v31
	v_mul_f32_e32 v1, v18, v31
	v_fma_f32 v0, v18, v30, -v0
	v_fmac_f32_e32 v1, v19, v30
	v_add_f32_e32 v17, v17, v0
	v_add_f32_e32 v16, v16, v1
	s_waitcnt lgkmcnt(0)
	v_mul_f32_e32 v0, v33, v5
	v_mul_f32_e32 v1, v32, v5
	v_fma_f32 v0, v32, v4, -v0
	v_fmac_f32_e32 v1, v33, v4
	v_add_f32_e32 v18, v20, v0
	v_add_f32_e32 v19, v21, v1
	v_mul_f32_e32 v0, v33, v7
	v_mul_f32_e32 v1, v32, v7
	v_fma_f32 v0, v32, v6, -v0
	v_fmac_f32_e32 v1, v33, v6
	v_add_f32_e32 v78, v22, v0
	v_add_f32_e32 v79, v23, v1
	ds_read2_b64 v[0:3], v54 offset0:160 offset1:176
	s_waitcnt lgkmcnt(0)
	v_mul_f32_e32 v20, v33, v1
	v_mul_f32_e32 v21, v32, v1
	v_fma_f32 v20, v32, v0, -v20
	v_fmac_f32_e32 v21, v33, v0
	v_add_f32_e32 v84, v58, v20
	v_add_f32_e32 v85, v59, v21
	ds_read_b128 v[58:61], v55 offset:528
	v_mul_f32_e32 v20, v33, v3
	v_mul_f32_e32 v21, v32, v3
	v_fma_f32 v20, v32, v2, -v20
	v_fmac_f32_e32 v21, v33, v2
	v_add_f32_e32 v32, v66, v20
	v_add_f32_e32 v33, v67, v21
	s_waitcnt lgkmcnt(0)
	v_mul_f32_e32 v20, v59, v5
	v_mul_f32_e32 v21, v58, v5
	v_fma_f32 v20, v58, v4, -v20
	v_fmac_f32_e32 v21, v59, v4
	v_add_f32_e32 v66, v72, v20
	v_add_f32_e32 v67, v73, v21
	v_mul_f32_e32 v20, v59, v7
	v_mul_f32_e32 v21, v58, v7
	v_fma_f32 v20, v58, v6, -v20
	v_fmac_f32_e32 v21, v59, v6
	v_add_f32_e32 v70, v70, v20
	v_add_f32_e32 v71, v71, v21
	v_mul_f32_e32 v20, v59, v1
	v_mul_f32_e32 v21, v58, v1
	v_fma_f32 v20, v58, v0, -v20
	v_fmac_f32_e32 v21, v59, v0
	v_add_f32_e32 v68, v68, v20
	v_add_f32_e32 v69, v69, v21
	v_mul_f32_e32 v20, v59, v3
	v_mul_f32_e32 v21, v58, v3
	v_fma_f32 v20, v58, v2, -v20
	v_fmac_f32_e32 v21, v59, v2
	v_add_f32_e32 v58, v74, v20
	v_add_f32_e32 v59, v75, v21
	v_mul_f32_e32 v20, v81, v5
	v_mul_f32_e32 v21, v80, v5
	v_fma_f32 v20, v80, v4, -v20
	v_fmac_f32_e32 v21, v81, v4
	v_add_f32_e32 v64, v64, v20
	v_add_f32_e32 v65, v65, v21
	v_mul_f32_e32 v20, v81, v7
	v_mul_f32_e32 v21, v80, v7
	v_fma_f32 v20, v80, v6, -v20
	v_fmac_f32_e32 v21, v81, v6
	v_add_f32_e32 v62, v62, v20
	v_add_f32_e32 v63, v63, v21
	v_mul_f32_e32 v20, v81, v1
	v_mul_f32_e32 v21, v80, v1
	v_fma_f32 v20, v80, v0, -v20
	v_fmac_f32_e32 v21, v81, v0
	v_add_f32_e32 v86, v76, v20
	v_add_f32_e32 v87, v77, v21
	v_mul_f32_e32 v20, v81, v3
	v_mul_f32_e32 v21, v80, v3
	v_fma_f32 v20, v80, v2, -v20
	v_fmac_f32_e32 v21, v81, v2
	v_add_f32_e32 v88, v17, v20
	v_add_f32_e32 v89, v16, v21
	ds_read2_b64 v[20:23], v54 offset0:192 offset1:208
	s_waitcnt lgkmcnt(0)
	v_mul_f32_e32 v16, v35, v21
	v_mul_f32_e32 v17, v34, v21
	v_fma_f32 v16, v34, v20, -v16
	v_fmac_f32_e32 v17, v35, v20
	v_add_f32_e32 v80, v18, v16
	v_add_f32_e32 v81, v19, v17
	v_mul_f32_e32 v16, v35, v23
	v_mul_f32_e32 v17, v34, v23
	v_fma_f32 v16, v34, v22, -v16
	v_fmac_f32_e32 v17, v35, v22
	v_add_f32_e32 v78, v78, v16
	v_add_f32_e32 v79, v79, v17
	ds_read2_b64 v[16:19], v54 offset0:224 offset1:240
	s_waitcnt lgkmcnt(0)
	v_mul_f32_e32 v72, v35, v17
	v_fma_f32 v72, v34, v16, -v72
	v_add_f32_e32 v76, v84, v72
	v_mul_f32_e32 v72, v35, v19
	v_mul_f32_e32 v73, v34, v17
	v_fma_f32 v72, v34, v18, -v72
	v_mul_f32_e32 v34, v34, v19
	v_fmac_f32_e32 v34, v35, v18
	v_add_f32_e32 v74, v32, v72
	v_add_f32_e32 v75, v33, v34
	v_mul_f32_e32 v32, v61, v21
	v_mul_f32_e32 v33, v60, v21
	v_fmac_f32_e32 v73, v35, v16
	v_fma_f32 v32, v60, v20, -v32
	v_fmac_f32_e32 v33, v61, v20
	v_add_f32_e32 v77, v85, v73
	v_add_f32_e32 v72, v66, v32
	;; [unrolled: 1-line block ×3, first 2 shown]
	v_mul_f32_e32 v32, v61, v23
	v_mul_f32_e32 v33, v60, v23
	v_fma_f32 v32, v60, v22, -v32
	v_fmac_f32_e32 v33, v61, v22
	v_add_f32_e32 v70, v70, v32
	v_add_f32_e32 v71, v71, v33
	v_mul_f32_e32 v32, v61, v17
	v_mul_f32_e32 v33, v60, v17
	v_fma_f32 v32, v60, v16, -v32
	v_fmac_f32_e32 v33, v61, v16
	v_add_f32_e32 v68, v68, v32
	v_add_f32_e32 v69, v69, v33
	;; [unrolled: 6-line block ×7, first 2 shown]
	ds_read_b128 v[32:35], v55 offset:1536
	s_waitcnt lgkmcnt(0)
	v_mul_f32_e32 v82, v33, v9
	v_mul_f32_e32 v9, v32, v9
	v_fmac_f32_e32 v9, v33, v8
	v_fma_f32 v82, v32, v8, -v82
	v_add_f32_e32 v51, v51, v9
	v_mul_f32_e32 v8, v33, v11
	v_mul_f32_e32 v9, v32, v11
	v_fma_f32 v8, v32, v10, -v8
	v_fmac_f32_e32 v9, v33, v10
	v_add_f32_e32 v48, v48, v8
	v_add_f32_e32 v49, v49, v9
	v_mul_f32_e32 v8, v33, v13
	v_mul_f32_e32 v9, v32, v13
	v_fma_f32 v8, v32, v12, -v8
	v_fmac_f32_e32 v9, v33, v12
	v_add_f32_e32 v12, v47, v8
	v_add_f32_e32 v13, v46, v9
	v_pk_mul_f32 v[8:9], v[32:33], v[14:15] op_sel:[0,1]
	v_pk_fma_f32 v[10:11], v[32:33], v[14:15], v[8:9] op_sel:[0,0,1] op_sel_hi:[1,1,0] neg_lo:[0,0,1] neg_hi:[0,0,1]
	v_pk_fma_f32 v[8:9], v[32:33], v[14:15], v[8:9] op_sel:[0,0,1] op_sel_hi:[1,0,0]
	v_mov_b32_e32 v11, v9
	v_pk_add_f32 v[8:9], v[36:37], v[10:11]
	v_mul_f32_e32 v10, v35, v25
	v_mul_f32_e32 v11, v34, v25
	v_add_f32_e32 v50, v50, v82
	v_fma_f32 v10, v34, v24, -v10
	v_fmac_f32_e32 v11, v35, v24
	v_add_f32_e32 v32, v50, v10
	v_add_f32_e32 v33, v51, v11
	v_mul_f32_e32 v10, v35, v27
	v_mul_f32_e32 v11, v34, v27
	v_fma_f32 v10, v34, v26, -v10
	v_fmac_f32_e32 v11, v35, v26
	v_add_f32_e32 v24, v48, v10
	v_add_f32_e32 v25, v49, v11
	v_mul_f32_e32 v10, v35, v29
	v_mul_f32_e32 v11, v34, v29
	v_fma_f32 v10, v34, v28, -v10
	v_fmac_f32_e32 v11, v35, v28
	v_add_f32_e32 v14, v12, v10
	v_add_f32_e32 v15, v13, v11
	v_pk_mul_f32 v[10:11], v[34:35], v[30:31] op_sel:[0,1]
	v_pk_fma_f32 v[12:13], v[34:35], v[30:31], v[10:11] op_sel:[0,0,1] op_sel_hi:[1,1,0] neg_lo:[0,0,1] neg_hi:[0,0,1]
	v_pk_fma_f32 v[10:11], v[34:35], v[30:31], v[10:11] op_sel:[0,0,1] op_sel_hi:[1,0,0]
	v_mov_b32_e32 v13, v11
	v_pk_add_f32 v[12:13], v[8:9], v[12:13]
	ds_read_b128 v[8:11], v55 offset:1552
	s_waitcnt lgkmcnt(0)
	s_barrier
	v_mul_f32_e32 v26, v9, v5
	v_mul_f32_e32 v5, v8, v5
	v_fma_f32 v26, v8, v4, -v26
	v_fmac_f32_e32 v5, v9, v4
	v_mul_f32_e32 v4, v9, v7
	v_add_f32_e32 v27, v33, v5
	v_fma_f32 v4, v8, v6, -v4
	v_mul_f32_e32 v5, v8, v7
	v_fmac_f32_e32 v5, v9, v6
	v_add_f32_e32 v6, v24, v4
	v_mul_f32_e32 v4, v9, v1
	v_mul_f32_e32 v1, v8, v1
	v_fmac_f32_e32 v1, v9, v0
	v_fma_f32 v4, v8, v0, -v4
	v_add_f32_e32 v15, v15, v1
	v_pk_mul_f32 v[0:1], v[8:9], v[2:3] op_sel:[0,1]
	v_add_f32_e32 v7, v25, v5
	v_add_f32_e32 v14, v14, v4
	v_pk_fma_f32 v[4:5], v[8:9], v[2:3], v[0:1] op_sel:[0,0,1] op_sel_hi:[1,1,0] neg_lo:[0,0,1] neg_hi:[0,0,1]
	v_pk_fma_f32 v[0:1], v[8:9], v[2:3], v[0:1] op_sel:[0,0,1] op_sel_hi:[1,0,0]
	v_mul_f32_e32 v2, v11, v21
	v_mul_f32_e32 v3, v10, v21
	v_add_f32_e32 v26, v32, v26
	v_fma_f32 v2, v10, v20, -v2
	v_fmac_f32_e32 v3, v11, v20
	v_add_f32_e32 v50, v26, v2
	v_add_f32_e32 v51, v27, v3
	v_mul_f32_e32 v2, v11, v23
	v_mul_f32_e32 v3, v10, v23
	v_fma_f32 v2, v10, v22, -v2
	v_fmac_f32_e32 v3, v11, v22
	v_add_f32_e32 v48, v6, v2
	v_add_f32_e32 v49, v7, v3
	v_mul_f32_e32 v2, v11, v17
	v_mul_f32_e32 v3, v10, v17
	v_fma_f32 v2, v10, v16, -v2
	v_fmac_f32_e32 v3, v11, v16
	v_mov_b32_e32 v5, v1
	v_add_f32_e32 v47, v14, v2
	v_add_f32_e32 v46, v15, v3
	v_pk_mul_f32 v[2:3], v[10:11], v[18:19] op_sel:[0,1]
	v_pk_add_f32 v[0:1], v[12:13], v[4:5]
	v_pk_fma_f32 v[4:5], v[10:11], v[18:19], v[2:3] op_sel:[0,0,1] op_sel_hi:[1,1,0] neg_lo:[0,0,1] neg_hi:[0,0,1]
	v_pk_fma_f32 v[2:3], v[10:11], v[18:19], v[2:3] op_sel:[0,0,1] op_sel_hi:[1,0,0]
	v_mov_b32_e32 v5, v3
	v_pk_add_f32 v[36:37], v[0:1], v[4:5]
	s_cbranch_vccnz .LBB241_2
	s_branch .LBB241_4
.LBB241_3:
	v_mov_b32_e32 v37, 0
	v_mov_b32_e32 v36, v37
	;; [unrolled: 1-line block ×32, first 2 shown]
.LBB241_4:
	s_lshl_b64 s[2:3], s[2:3], 3
	s_waitcnt lgkmcnt(0)
	s_add_u32 s8, s8, s2
	v_mov_b32_e32 v0, s29
	v_add_co_u32_e32 v4, vcc, s28, v45
	s_addc_u32 s9, s9, s3
	v_addc_co_u32_e32 v5, vcc, 0, v0, vcc
	s_or_b32 s2, s10, s11
	s_bitset0_b32 s2, 31
	v_mov_b32_e32 v1, s7
	v_add_co_u32_e32 v0, vcc, s6, v44
	s_cmp_lg_u32 s2, 0
	v_addc_co_u32_e32 v1, vcc, 0, v1, vcc
	s_mov_b32 s2, s15
	s_mov_b32 s3, s14
	s_cbranch_scc1 .LBB241_6
; %bb.5:
	v_mul_lo_u32 v6, v5, s0
	v_mul_lo_u32 v7, v4, s1
	v_mad_u64_u32 v[2:3], s[6:7], v4, s0, 0
	v_add3_u32 v3, v3, v7, v6
	v_lshlrev_b64 v[2:3], 3, v[2:3]
	v_mov_b32_e32 v6, s9
	v_add_co_u32_e32 v8, vcc, s8, v2
	v_addc_co_u32_e32 v9, vcc, v6, v3, vcc
	v_lshlrev_b64 v[6:7], 3, v[0:1]
	v_mul_f32_e32 v2, s15, v81
	v_mul_f32_e32 v3, s14, v81
	v_add_co_u32_e32 v6, vcc, v8, v6
	v_fma_f32 v2, v80, s14, -v2
	v_fmac_f32_e32 v3, s15, v80
	v_addc_co_u32_e32 v7, vcc, v9, v7, vcc
	global_store_dwordx2 v[6:7], v[2:3], off
	v_mul_f32_e32 v2, s15, v79
	v_mul_f32_e32 v3, s14, v79
	v_fma_f32 v2, v78, s14, -v2
	v_fmac_f32_e32 v3, s15, v78
	global_store_dwordx2 v[6:7], v[2:3], off offset:128
	v_mul_f32_e32 v2, s15, v77
	v_mul_f32_e32 v3, s14, v77
	v_fma_f32 v2, v76, s14, -v2
	v_fmac_f32_e32 v3, s15, v76
	global_store_dwordx2 v[6:7], v[2:3], off offset:256
	v_mul_f32_e32 v2, s15, v75
	v_mul_f32_e32 v3, s14, v75
	v_fma_f32 v2, v74, s14, -v2
	v_fmac_f32_e32 v3, s15, v74
	s_lshl_b64 s[6:7], s[0:1], 7
	global_store_dwordx2 v[6:7], v[2:3], off offset:384
	v_mul_f32_e32 v2, s15, v73
	v_mul_f32_e32 v3, s14, v73
	v_mov_b32_e32 v9, s7
	v_add_co_u32_e32 v6, vcc, s6, v6
	v_fma_f32 v2, v72, s14, -v2
	v_fmac_f32_e32 v3, s15, v72
	v_addc_co_u32_e32 v7, vcc, v7, v9, vcc
	global_store_dwordx2 v[6:7], v[2:3], off
	v_mul_f32_e32 v2, s15, v71
	v_mul_f32_e32 v3, s14, v71
	v_fma_f32 v2, v70, s14, -v2
	v_fmac_f32_e32 v3, s15, v70
	global_store_dwordx2 v[6:7], v[2:3], off offset:128
	v_mul_f32_e32 v2, s15, v69
	v_mul_f32_e32 v3, s14, v69
	v_fma_f32 v2, v68, s14, -v2
	v_fmac_f32_e32 v3, s15, v68
	global_store_dwordx2 v[6:7], v[2:3], off offset:256
	;; [unrolled: 5-line block ×3, first 2 shown]
	v_mul_f32_e32 v2, s15, v65
	v_mul_f32_e32 v3, s14, v65
	v_add_co_u32_e32 v6, vcc, s6, v6
	v_fma_f32 v2, v64, s14, -v2
	v_fmac_f32_e32 v3, s15, v64
	v_addc_co_u32_e32 v7, vcc, v7, v9, vcc
	global_store_dwordx2 v[6:7], v[2:3], off
	v_mul_f32_e32 v2, s15, v63
	v_mul_f32_e32 v3, s14, v63
	v_fma_f32 v2, v62, s14, -v2
	v_fmac_f32_e32 v3, s15, v62
	global_store_dwordx2 v[6:7], v[2:3], off offset:128
	v_mul_f32_e32 v2, s15, v61
	v_mul_f32_e32 v3, s14, v61
	v_fma_f32 v2, v60, s14, -v2
	v_fmac_f32_e32 v3, s15, v60
	global_store_dwordx2 v[6:7], v[2:3], off offset:256
	;; [unrolled: 5-line block ×3, first 2 shown]
	v_mul_f32_e32 v2, s15, v51
	v_mul_f32_e32 v3, s14, v51
	v_add_co_u32_e32 v8, vcc, s6, v6
	v_fma_f32 v2, v50, s14, -v2
	v_fmac_f32_e32 v3, s15, v50
	v_addc_co_u32_e32 v9, vcc, v7, v9, vcc
	global_store_dwordx2 v[8:9], v[2:3], off
	v_mul_f32_e32 v2, s15, v49
	v_mul_f32_e32 v3, s14, v49
	v_fma_f32 v2, v48, s14, -v2
	v_fmac_f32_e32 v3, s15, v48
	global_store_dwordx2 v[8:9], v[2:3], off offset:128
	v_mul_f32_e32 v2, s15, v46
	v_mul_f32_e32 v3, s14, v46
	v_fma_f32 v2, v47, s14, -v2
	v_fmac_f32_e32 v3, s15, v47
	global_store_dwordx2 v[8:9], v[2:3], off offset:256
	v_mul_f32_e32 v2, s3, v36
	v_fma_f32 v7, -v37, s2, v2
	v_pk_mul_f32 v[2:3], v[36:37], s[2:3]
	v_add_f32_e32 v6, v2, v3
	v_add_co_u32_e32 v2, vcc, 0x180, v8
	v_addc_co_u32_e32 v3, vcc, 0, v9, vcc
	global_store_dword v[8:9], v7, off offset:384
	s_cbranch_execz .LBB241_7
	s_branch .LBB241_8
.LBB241_6:
                                        ; implicit-def: $vgpr6
                                        ; implicit-def: $vgpr2_vgpr3
.LBB241_7:
	s_lshl_b64 s[6:7], s[40:41], 3
	s_add_u32 s6, s4, s6
	s_addc_u32 s7, s5, s7
	v_mul_lo_u32 v6, v5, s38
	v_mul_lo_u32 v7, v4, s39
	v_mad_u64_u32 v[2:3], s[4:5], v4, s38, 0
	v_add3_u32 v3, v3, v7, v6
	v_lshlrev_b64 v[2:3], 3, v[2:3]
	v_mov_b32_e32 v6, s7
	v_add_co_u32_e32 v2, vcc, s6, v2
	v_addc_co_u32_e32 v3, vcc, v6, v3, vcc
	v_lshlrev_b64 v[0:1], 3, v[0:1]
	v_add_co_u32_e32 v2, vcc, v2, v0
	v_addc_co_u32_e32 v3, vcc, v3, v1, vcc
	global_load_dwordx2 v[6:7], v[2:3], off
	v_mul_lo_u32 v8, v5, s0
	v_mul_lo_u32 v9, v4, s1
	v_mad_u64_u32 v[4:5], s[4:5], v4, s0, 0
	v_add3_u32 v5, v5, v9, v8
	v_lshlrev_b64 v[4:5], 3, v[4:5]
	v_mov_b32_e32 v10, s9
	v_add_co_u32_e32 v4, vcc, s8, v4
	v_addc_co_u32_e32 v5, vcc, v10, v5, vcc
	v_add_co_u32_e32 v0, vcc, v4, v0
	v_mul_f32_e32 v11, s15, v81
	v_mul_f32_e32 v12, s14, v81
	v_addc_co_u32_e32 v1, vcc, v5, v1, vcc
	v_fma_f32 v8, v80, s14, -v11
	v_fmac_f32_e32 v12, s15, v80
	s_lshl_b64 s[4:5], s[38:39], 7
	s_lshl_b64 s[0:1], s[0:1], 7
	s_waitcnt vmcnt(0)
	v_mul_f32_e32 v4, s11, v7
	v_mul_f32_e32 v5, s10, v7
	v_fma_f32 v4, v6, s10, -v4
	v_fmac_f32_e32 v5, s11, v6
	v_add_f32_e32 v4, v8, v4
	v_add_f32_e32 v5, v12, v5
	global_store_dwordx2 v[0:1], v[4:5], off
	global_load_dwordx2 v[4:5], v[2:3], off offset:128
	v_mul_f32_e32 v6, s15, v79
	v_mul_f32_e32 v7, s14, v79
	v_fma_f32 v6, v78, s14, -v6
	v_fmac_f32_e32 v7, s15, v78
	s_waitcnt vmcnt(0)
	v_mul_f32_e32 v8, s11, v5
	v_mul_f32_e32 v5, s10, v5
	v_fma_f32 v8, v4, s10, -v8
	v_fmac_f32_e32 v5, s11, v4
	v_add_f32_e32 v4, v6, v8
	v_add_f32_e32 v5, v7, v5
	global_store_dwordx2 v[0:1], v[4:5], off offset:128
	global_load_dwordx2 v[4:5], v[2:3], off offset:256
	v_mul_f32_e32 v6, s15, v77
	v_mul_f32_e32 v7, s14, v77
	v_fma_f32 v6, v76, s14, -v6
	v_fmac_f32_e32 v7, s15, v76
	s_waitcnt vmcnt(0)
	v_mul_f32_e32 v8, s11, v5
	v_mul_f32_e32 v5, s10, v5
	v_fma_f32 v8, v4, s10, -v8
	v_fmac_f32_e32 v5, s11, v4
	v_add_f32_e32 v4, v6, v8
	v_add_f32_e32 v5, v7, v5
	global_store_dwordx2 v[0:1], v[4:5], off offset:256
	global_load_dwordx2 v[4:5], v[2:3], off offset:384
	v_mul_f32_e32 v6, s15, v75
	v_mul_f32_e32 v7, s14, v75
	v_fma_f32 v6, v74, s14, -v6
	v_fmac_f32_e32 v7, s15, v74
	v_mov_b32_e32 v8, s5
	v_add_co_u32_e32 v2, vcc, s4, v2
	v_addc_co_u32_e32 v3, vcc, v3, v8, vcc
	s_waitcnt vmcnt(0)
	v_mul_f32_e32 v9, s11, v5
	v_mul_f32_e32 v5, s10, v5
	v_fma_f32 v9, v4, s10, -v9
	v_fmac_f32_e32 v5, s11, v4
	v_add_f32_e32 v4, v6, v9
	v_add_f32_e32 v5, v7, v5
	global_store_dwordx2 v[0:1], v[4:5], off offset:384
	global_load_dwordx2 v[4:5], v[2:3], off
	v_mul_f32_e32 v6, s15, v73
	v_mul_f32_e32 v7, s14, v73
	v_fma_f32 v6, v72, s14, -v6
	v_fmac_f32_e32 v7, s15, v72
	v_mov_b32_e32 v9, s1
	v_add_co_u32_e32 v0, vcc, s0, v0
	v_addc_co_u32_e32 v1, vcc, v1, v9, vcc
	s_waitcnt vmcnt(0)
	v_mul_f32_e32 v10, s11, v5
	v_mul_f32_e32 v5, s10, v5
	v_fma_f32 v10, v4, s10, -v10
	v_fmac_f32_e32 v5, s11, v4
	v_add_f32_e32 v4, v6, v10
	v_add_f32_e32 v5, v7, v5
	global_store_dwordx2 v[0:1], v[4:5], off
	global_load_dwordx2 v[4:5], v[2:3], off offset:128
	v_mul_f32_e32 v6, s15, v71
	v_mul_f32_e32 v7, s14, v71
	v_fma_f32 v6, v70, s14, -v6
	v_fmac_f32_e32 v7, s15, v70
	s_waitcnt vmcnt(0)
	v_mul_f32_e32 v10, s11, v5
	v_mul_f32_e32 v5, s10, v5
	v_fma_f32 v10, v4, s10, -v10
	v_fmac_f32_e32 v5, s11, v4
	v_add_f32_e32 v4, v6, v10
	v_add_f32_e32 v5, v7, v5
	global_store_dwordx2 v[0:1], v[4:5], off offset:128
	global_load_dwordx2 v[4:5], v[2:3], off offset:256
	v_mul_f32_e32 v6, s15, v69
	v_mul_f32_e32 v7, s14, v69
	v_fma_f32 v6, v68, s14, -v6
	v_fmac_f32_e32 v7, s15, v68
	s_waitcnt vmcnt(0)
	v_mul_f32_e32 v10, s11, v5
	v_mul_f32_e32 v5, s10, v5
	v_fma_f32 v10, v4, s10, -v10
	v_fmac_f32_e32 v5, s11, v4
	v_add_f32_e32 v4, v6, v10
	v_add_f32_e32 v5, v7, v5
	global_store_dwordx2 v[0:1], v[4:5], off offset:256
	global_load_dwordx2 v[4:5], v[2:3], off offset:384
	v_mul_f32_e32 v6, s15, v67
	v_mul_f32_e32 v7, s14, v67
	v_fma_f32 v6, v66, s14, -v6
	v_fmac_f32_e32 v7, s15, v66
	v_add_co_u32_e32 v2, vcc, s4, v2
	v_addc_co_u32_e32 v3, vcc, v3, v8, vcc
	s_waitcnt vmcnt(0)
	v_mul_f32_e32 v10, s11, v5
	v_mul_f32_e32 v5, s10, v5
	v_fma_f32 v10, v4, s10, -v10
	v_fmac_f32_e32 v5, s11, v4
	v_add_f32_e32 v4, v6, v10
	v_add_f32_e32 v5, v7, v5
	global_store_dwordx2 v[0:1], v[4:5], off offset:384
	global_load_dwordx2 v[4:5], v[2:3], off
	v_mul_f32_e32 v6, s15, v65
	v_mul_f32_e32 v7, s14, v65
	v_fma_f32 v6, v64, s14, -v6
	v_fmac_f32_e32 v7, s15, v64
	v_add_co_u32_e32 v0, vcc, s0, v0
	v_addc_co_u32_e32 v1, vcc, v1, v9, vcc
	s_waitcnt vmcnt(0)
	v_mul_f32_e32 v10, s11, v5
	v_mul_f32_e32 v5, s10, v5
	v_fma_f32 v10, v4, s10, -v10
	v_fmac_f32_e32 v5, s11, v4
	v_add_f32_e32 v4, v6, v10
	v_add_f32_e32 v5, v7, v5
	global_store_dwordx2 v[0:1], v[4:5], off
	global_load_dwordx2 v[4:5], v[2:3], off offset:128
	v_mul_f32_e32 v6, s15, v63
	v_mul_f32_e32 v7, s14, v63
	v_fma_f32 v6, v62, s14, -v6
	v_fmac_f32_e32 v7, s15, v62
	s_waitcnt vmcnt(0)
	v_mul_f32_e32 v10, s11, v5
	v_mul_f32_e32 v5, s10, v5
	v_fma_f32 v10, v4, s10, -v10
	v_fmac_f32_e32 v5, s11, v4
	v_add_f32_e32 v4, v6, v10
	v_add_f32_e32 v5, v7, v5
	global_store_dwordx2 v[0:1], v[4:5], off offset:128
	global_load_dwordx2 v[4:5], v[2:3], off offset:256
	v_mul_f32_e32 v6, s15, v61
	v_mul_f32_e32 v7, s14, v61
	v_fma_f32 v6, v60, s14, -v6
	v_fmac_f32_e32 v7, s15, v60
	s_waitcnt vmcnt(0)
	v_mul_f32_e32 v10, s11, v5
	v_mul_f32_e32 v5, s10, v5
	v_fma_f32 v10, v4, s10, -v10
	v_fmac_f32_e32 v5, s11, v4
	v_add_f32_e32 v4, v6, v10
	v_add_f32_e32 v5, v7, v5
	global_store_dwordx2 v[0:1], v[4:5], off offset:256
	global_load_dwordx2 v[4:5], v[2:3], off offset:384
	v_add_co_u32_e32 v2, vcc, s4, v2
	v_mul_f32_e32 v6, s15, v59
	v_mul_f32_e32 v7, s14, v59
	v_addc_co_u32_e32 v3, vcc, v3, v8, vcc
	v_fma_f32 v6, v58, s14, -v6
	v_fmac_f32_e32 v7, s15, v58
	s_waitcnt vmcnt(0)
	v_mul_f32_e32 v8, s11, v5
	v_mul_f32_e32 v5, s10, v5
	v_fma_f32 v8, v4, s10, -v8
	v_fmac_f32_e32 v5, s11, v4
	v_add_f32_e32 v4, v6, v8
	v_add_f32_e32 v5, v7, v5
	global_store_dwordx2 v[0:1], v[4:5], off offset:384
	global_load_dwordx2 v[4:5], v[2:3], off
	v_mul_f32_e32 v6, s15, v51
	v_mul_f32_e32 v7, s14, v51
	v_fma_f32 v6, v50, s14, -v6
	v_fmac_f32_e32 v7, s15, v50
	v_add_co_u32_e32 v0, vcc, s0, v0
	v_addc_co_u32_e32 v1, vcc, v1, v9, vcc
	s_waitcnt vmcnt(0)
	v_mul_f32_e32 v8, s11, v5
	v_mul_f32_e32 v5, s10, v5
	v_fma_f32 v8, v4, s10, -v8
	v_fmac_f32_e32 v5, s11, v4
	v_add_f32_e32 v4, v6, v8
	v_add_f32_e32 v5, v7, v5
	global_store_dwordx2 v[0:1], v[4:5], off
	global_load_dwordx2 v[4:5], v[2:3], off offset:128
	v_mul_f32_e32 v6, s15, v49
	v_mul_f32_e32 v7, s14, v49
	v_fma_f32 v6, v48, s14, -v6
	v_fmac_f32_e32 v7, s15, v48
	s_waitcnt vmcnt(0)
	v_mul_f32_e32 v8, s11, v5
	v_mul_f32_e32 v5, s10, v5
	v_fma_f32 v8, v4, s10, -v8
	v_fmac_f32_e32 v5, s11, v4
	v_add_f32_e32 v4, v6, v8
	v_add_f32_e32 v5, v7, v5
	global_store_dwordx2 v[0:1], v[4:5], off offset:128
	global_load_dwordx2 v[4:5], v[2:3], off offset:256
	v_mul_f32_e32 v6, s15, v46
	v_mul_f32_e32 v7, s14, v46
	v_fma_f32 v6, v47, s14, -v6
	v_fmac_f32_e32 v7, s15, v47
	s_waitcnt vmcnt(0)
	v_mul_f32_e32 v8, s11, v5
	v_mul_f32_e32 v5, s10, v5
	v_fma_f32 v8, v4, s10, -v8
	v_fmac_f32_e32 v5, s11, v4
	v_add_f32_e32 v4, v6, v8
	v_add_f32_e32 v5, v7, v5
	global_store_dwordx2 v[0:1], v[4:5], off offset:256
	global_load_dwordx2 v[4:5], v[2:3], off offset:384
	v_mul_f32_e32 v6, s3, v36
	v_pk_mul_f32 v[2:3], v[36:37], s[2:3]
	v_fma_f32 v8, -v37, s2, v6
	v_add_f32_e32 v3, v2, v3
	v_add_co_u32_e32 v2, vcc, 0x180, v0
	s_waitcnt vmcnt(0)
	v_pk_mul_f32 v[6:7], v[4:5], s[10:11] op_sel:[0,1] op_sel_hi:[1,0]
	v_mul_f32_e32 v4, s10, v4
	v_fma_f32 v4, -v5, s11, v4
	v_add_f32_e32 v5, v6, v7
	v_add_f32_e32 v4, v8, v4
	;; [unrolled: 1-line block ×3, first 2 shown]
	v_addc_co_u32_e32 v3, vcc, 0, v1, vcc
	global_store_dword v[0:1], v4, off offset:384
.LBB241_8:
	global_store_dword v[2:3], v6, off offset:4
	s_endpgm
	.section	.rodata,"a",@progbits
	.p2align	6, 0x0
	.amdhsa_kernel _ZN12_GLOBAL__N_127rocblas_gemm_batched_kernelI19rocblas_complex_numIfELi16ELi16ELi64ELi64ELi4ELi64ELi4ELi4ELi64ELc78ELc67EKPKS2_S5_KPS2_EEvlllT_PT11_llSA_llS8_PT12_llPT13_lli
		.amdhsa_group_segment_fixed_size 4096
		.amdhsa_private_segment_fixed_size 0
		.amdhsa_kernarg_size 140
		.amdhsa_user_sgpr_count 6
		.amdhsa_user_sgpr_private_segment_buffer 1
		.amdhsa_user_sgpr_dispatch_ptr 0
		.amdhsa_user_sgpr_queue_ptr 0
		.amdhsa_user_sgpr_kernarg_segment_ptr 1
		.amdhsa_user_sgpr_dispatch_id 0
		.amdhsa_user_sgpr_flat_scratch_init 0
		.amdhsa_user_sgpr_kernarg_preload_length 0
		.amdhsa_user_sgpr_kernarg_preload_offset 0
		.amdhsa_user_sgpr_private_segment_size 0
		.amdhsa_uses_dynamic_stack 0
		.amdhsa_system_sgpr_private_segment_wavefront_offset 0
		.amdhsa_system_sgpr_workgroup_id_x 1
		.amdhsa_system_sgpr_workgroup_id_y 1
		.amdhsa_system_sgpr_workgroup_id_z 1
		.amdhsa_system_sgpr_workgroup_info 0
		.amdhsa_system_vgpr_workitem_id 1
		.amdhsa_next_free_vgpr 90
		.amdhsa_next_free_sgpr 44
		.amdhsa_accum_offset 92
		.amdhsa_reserve_vcc 1
		.amdhsa_reserve_flat_scratch 0
		.amdhsa_float_round_mode_32 0
		.amdhsa_float_round_mode_16_64 0
		.amdhsa_float_denorm_mode_32 3
		.amdhsa_float_denorm_mode_16_64 3
		.amdhsa_dx10_clamp 1
		.amdhsa_ieee_mode 1
		.amdhsa_fp16_overflow 0
		.amdhsa_tg_split 0
		.amdhsa_exception_fp_ieee_invalid_op 0
		.amdhsa_exception_fp_denorm_src 0
		.amdhsa_exception_fp_ieee_div_zero 0
		.amdhsa_exception_fp_ieee_overflow 0
		.amdhsa_exception_fp_ieee_underflow 0
		.amdhsa_exception_fp_ieee_inexact 0
		.amdhsa_exception_int_div_zero 0
	.end_amdhsa_kernel
	.section	.text._ZN12_GLOBAL__N_127rocblas_gemm_batched_kernelI19rocblas_complex_numIfELi16ELi16ELi64ELi64ELi4ELi64ELi4ELi4ELi64ELc78ELc67EKPKS2_S5_KPS2_EEvlllT_PT11_llSA_llS8_PT12_llPT13_lli,"axG",@progbits,_ZN12_GLOBAL__N_127rocblas_gemm_batched_kernelI19rocblas_complex_numIfELi16ELi16ELi64ELi64ELi4ELi64ELi4ELi4ELi64ELc78ELc67EKPKS2_S5_KPS2_EEvlllT_PT11_llSA_llS8_PT12_llPT13_lli,comdat
.Lfunc_end241:
	.size	_ZN12_GLOBAL__N_127rocblas_gemm_batched_kernelI19rocblas_complex_numIfELi16ELi16ELi64ELi64ELi4ELi64ELi4ELi4ELi64ELc78ELc67EKPKS2_S5_KPS2_EEvlllT_PT11_llSA_llS8_PT12_llPT13_lli, .Lfunc_end241-_ZN12_GLOBAL__N_127rocblas_gemm_batched_kernelI19rocblas_complex_numIfELi16ELi16ELi64ELi64ELi4ELi64ELi4ELi4ELi64ELc78ELc67EKPKS2_S5_KPS2_EEvlllT_PT11_llSA_llS8_PT12_llPT13_lli
                                        ; -- End function
	.section	.AMDGPU.csdata,"",@progbits
; Kernel info:
; codeLenInByte = 4736
; NumSgprs: 48
; NumVgprs: 90
; NumAgprs: 0
; TotalNumVgprs: 90
; ScratchSize: 0
; MemoryBound: 0
; FloatMode: 240
; IeeeMode: 1
; LDSByteSize: 4096 bytes/workgroup (compile time only)
; SGPRBlocks: 5
; VGPRBlocks: 11
; NumSGPRsForWavesPerEU: 48
; NumVGPRsForWavesPerEU: 90
; AccumOffset: 92
; Occupancy: 5
; WaveLimiterHint : 1
; COMPUTE_PGM_RSRC2:SCRATCH_EN: 0
; COMPUTE_PGM_RSRC2:USER_SGPR: 6
; COMPUTE_PGM_RSRC2:TRAP_HANDLER: 0
; COMPUTE_PGM_RSRC2:TGID_X_EN: 1
; COMPUTE_PGM_RSRC2:TGID_Y_EN: 1
; COMPUTE_PGM_RSRC2:TGID_Z_EN: 1
; COMPUTE_PGM_RSRC2:TIDIG_COMP_CNT: 1
; COMPUTE_PGM_RSRC3_GFX90A:ACCUM_OFFSET: 22
; COMPUTE_PGM_RSRC3_GFX90A:TG_SPLIT: 0
	.section	.text._ZN12_GLOBAL__N_127rocblas_gemm_batched_kernelI19rocblas_complex_numIfELi16ELi16ELi64ELi64ELi4ELi64ELi4ELi4ELi64ELc84ELc67EKPKS2_S5_KPS2_EEvlllT_PT11_llSA_llS8_PT12_llPT13_lli,"axG",@progbits,_ZN12_GLOBAL__N_127rocblas_gemm_batched_kernelI19rocblas_complex_numIfELi16ELi16ELi64ELi64ELi4ELi64ELi4ELi4ELi64ELc84ELc67EKPKS2_S5_KPS2_EEvlllT_PT11_llSA_llS8_PT12_llPT13_lli,comdat
	.globl	_ZN12_GLOBAL__N_127rocblas_gemm_batched_kernelI19rocblas_complex_numIfELi16ELi16ELi64ELi64ELi4ELi64ELi4ELi4ELi64ELc84ELc67EKPKS2_S5_KPS2_EEvlllT_PT11_llSA_llS8_PT12_llPT13_lli ; -- Begin function _ZN12_GLOBAL__N_127rocblas_gemm_batched_kernelI19rocblas_complex_numIfELi16ELi16ELi64ELi64ELi4ELi64ELi4ELi4ELi64ELc84ELc67EKPKS2_S5_KPS2_EEvlllT_PT11_llSA_llS8_PT12_llPT13_lli
	.p2align	8
	.type	_ZN12_GLOBAL__N_127rocblas_gemm_batched_kernelI19rocblas_complex_numIfELi16ELi16ELi64ELi64ELi4ELi64ELi4ELi4ELi64ELc84ELc67EKPKS2_S5_KPS2_EEvlllT_PT11_llSA_llS8_PT12_llPT13_lli,@function
_ZN12_GLOBAL__N_127rocblas_gemm_batched_kernelI19rocblas_complex_numIfELi16ELi16ELi64ELi64ELi4ELi64ELi4ELi4ELi64ELc84ELc67EKPKS2_S5_KPS2_EEvlllT_PT11_llSA_llS8_PT12_llPT13_lli: ; @_ZN12_GLOBAL__N_127rocblas_gemm_batched_kernelI19rocblas_complex_numIfELi16ELi16ELi64ELi64ELi4ELi64ELi4ELi4ELi64ELc84ELc67EKPKS2_S5_KPS2_EEvlllT_PT11_llSA_llS8_PT12_llPT13_lli
; %bb.0:
	s_load_dwordx16 s[12:27], s[4:5], 0x10
	s_load_dwordx4 s[0:3], s[4:5], 0x78
	s_load_dwordx8 s[36:43], s[4:5], 0x58
	s_load_dwordx2 s[10:11], s[4:5], 0x50
	s_mov_b32 s9, 0
	s_lshl_b64 s[30:31], s[8:9], 3
	s_mov_b32 s28, s7
	s_waitcnt lgkmcnt(0)
	s_add_u32 s4, s36, s30
	s_addc_u32 s5, s37, s31
	s_add_u32 s8, s42, s30
	s_addc_u32 s9, s43, s31
	s_load_dwordx2 s[4:5], s[4:5], 0x0
	s_ashr_i32 s7, s6, 31
	s_load_dwordx2 s[8:9], s[8:9], 0x0
	s_ashr_i32 s29, s28, 31
	v_cmp_lt_i64_e64 s[34:35], s[12:13], 1
	v_bfe_u32 v45, v0, 10, 10
	v_and_b32_e32 v44, 0x3ff, v0
	s_lshl_b64 s[6:7], s[6:7], 6
	s_lshl_b64 s[28:29], s[28:29], 6
	s_and_b64 vcc, exec, s[34:35]
	s_cbranch_vccnz .LBB242_3
; %bb.1:
	v_lshl_add_u32 v4, v45, 4, v44
	s_add_u32 s16, s16, s30
	v_lshrrev_b32_e32 v5, 2, v4
	s_addc_u32 s17, s17, s31
	v_mov_b32_e32 v1, s29
	v_add_co_u32_e32 v0, vcc, s28, v5
	s_add_u32 s22, s22, s30
	v_addc_co_u32_e32 v1, vcc, 0, v1, vcc
	v_and_b32_e32 v6, 3, v44
	s_addc_u32 s23, s23, s31
	v_mad_u64_u32 v[0:1], s[30:31], v6, s24, v[0:1]
	v_mov_b32_e32 v2, v1
	v_mad_u64_u32 v[2:3], s[30:31], v6, s25, v[2:3]
	v_mov_b32_e32 v1, v2
	v_and_b32_e32 v2, 63, v4
	v_lshrrev_b32_e32 v4, 6, v4
	v_lshlrev_b32_e32 v3, 3, v2
	v_lshl_or_b32 v52, v4, 9, v3
	v_lshlrev_b32_e32 v3, 3, v6
	v_lshl_or_b32 v3, v5, 5, v3
	v_add_u32_e32 v53, 0x800, v3
	v_mov_b32_e32 v3, 0x800
	v_lshl_add_u32 v55, v45, 5, v3
	v_mov_b32_e32 v3, s7
	v_add_co_u32_e32 v2, vcc, s6, v2
	v_addc_co_u32_e32 v3, vcc, 0, v3, vcc
	v_mul_lo_u32 v5, s19, v2
	v_mul_lo_u32 v6, s18, v3
	v_mad_u64_u32 v[2:3], s[18:19], s18, v2, 0
	v_add3_u32 v3, v3, v6, v5
	s_load_dwordx2 s[16:17], s[16:17], 0x0
	v_lshlrev_b64 v[2:3], 3, v[2:3]
	s_lshl_b64 s[18:19], s[20:21], 3
	s_load_dwordx2 s[22:23], s[22:23], 0x0
	v_mov_b32_e32 v5, s19
	v_add_co_u32_e32 v2, vcc, s18, v2
	v_addc_co_u32_e32 v3, vcc, v3, v5, vcc
	v_lshlrev_b32_e32 v4, 3, v4
	v_add_co_u32_e32 v2, vcc, v2, v4
	v_addc_co_u32_e32 v3, vcc, 0, v3, vcc
	s_waitcnt lgkmcnt(0)
	v_mov_b32_e32 v4, s17
	v_add_co_u32_e32 v38, vcc, s16, v2
	s_lshl_b64 s[16:17], s[26:27], 3
	s_add_u32 s16, s22, s16
	v_addc_co_u32_e32 v39, vcc, v4, v3, vcc
	v_lshlrev_b64 v[0:1], 3, v[0:1]
	s_addc_u32 s17, s23, s17
	v_mov_b32_e32 v2, s17
	v_add_co_u32_e32 v0, vcc, s16, v0
	v_addc_co_u32_e32 v1, vcc, v2, v1, vcc
	v_add_co_u32_e32 v40, vcc, 4, v0
	s_lshl_b64 s[16:17], s[24:25], 5
	v_mov_b32_e32 v46, 0
	v_lshlrev_b32_e32 v54, 3, v44
	v_addc_co_u32_e32 v41, vcc, 0, v1, vcc
	s_mov_b64 s[18:19], 0
	v_mov_b32_e32 v56, s17
	v_pk_mov_b32 v[42:43], s[12:13], s[12:13] op_sel:[0,1]
	v_mov_b32_e32 v47, 0
	v_mov_b32_e32 v49, 0
	;; [unrolled: 1-line block ×31, first 2 shown]
.LBB242_2:                              ; =>This Inner Loop Header: Depth=1
	global_load_dwordx2 v[0:1], v[38:39], off
	v_add_co_u32_e32 v38, vcc, 32, v38
	v_addc_co_u32_e32 v39, vcc, 0, v39, vcc
	s_add_u32 s18, s18, 4
	s_addc_u32 s19, s19, 0
	s_waitcnt vmcnt(0)
	ds_write_b64 v52, v[0:1]
	global_load_dwordx2 v[0:1], v[40:41], off offset:-4
	v_add_co_u32_e32 v40, vcc, s16, v40
	v_addc_co_u32_e32 v41, vcc, v41, v56, vcc
	v_cmp_lt_i64_e32 vcc, s[18:19], v[42:43]
	s_and_b64 vcc, exec, vcc
	s_waitcnt vmcnt(0)
	v_xor_b32_e32 v1, 0x80000000, v1
	ds_write_b64 v53, v[0:1]
	s_waitcnt lgkmcnt(0)
	s_barrier
	ds_read_b128 v[0:3], v55
	ds_read_b128 v[32:35], v55 offset:16
	ds_read2_b64 v[8:11], v54 offset1:16
	ds_read2_b64 v[12:15], v54 offset0:32 offset1:48
	s_waitcnt lgkmcnt(1)
	v_mul_f32_e32 v4, v1, v9
	v_fma_f32 v4, v0, v8, -v4
	v_mul_f32_e32 v5, v0, v9
	v_add_f32_e32 v20, v79, v4
	v_mul_f32_e32 v4, v1, v11
	v_fmac_f32_e32 v5, v1, v8
	v_fma_f32 v4, v0, v10, -v4
	v_add_f32_e32 v21, v80, v5
	v_mul_f32_e32 v5, v0, v11
	v_add_f32_e32 v22, v77, v4
	s_waitcnt lgkmcnt(0)
	v_mul_f32_e32 v4, v1, v13
	v_fmac_f32_e32 v5, v1, v10
	v_fma_f32 v4, v0, v12, -v4
	v_add_f32_e32 v23, v78, v5
	v_mul_f32_e32 v5, v0, v13
	v_add_f32_e32 v75, v75, v4
	v_mul_f32_e32 v4, v1, v15
	v_fmac_f32_e32 v5, v1, v12
	v_fma_f32 v4, v0, v14, -v4
	v_mul_f32_e32 v0, v0, v15
	v_add_f32_e32 v76, v76, v5
	v_fmac_f32_e32 v0, v1, v14
	v_add_f32_e32 v1, v73, v4
	ds_read_b128 v[4:7], v55 offset:512
	ds_read_b128 v[80:83], v55 offset:1040
	v_add_f32_e32 v0, v74, v0
	s_waitcnt lgkmcnt(1)
	v_mul_f32_e32 v16, v5, v9
	v_fma_f32 v16, v4, v8, -v16
	v_mul_f32_e32 v17, v4, v9
	v_add_f32_e32 v71, v71, v16
	v_mul_f32_e32 v16, v5, v11
	v_fmac_f32_e32 v17, v5, v8
	v_fma_f32 v16, v4, v10, -v16
	v_add_f32_e32 v72, v72, v17
	v_mul_f32_e32 v17, v4, v11
	v_add_f32_e32 v69, v69, v16
	v_mul_f32_e32 v16, v5, v13
	v_fmac_f32_e32 v17, v5, v10
	v_fma_f32 v16, v4, v12, -v16
	v_add_f32_e32 v70, v70, v17
	v_mul_f32_e32 v17, v4, v13
	v_add_f32_e32 v67, v67, v16
	v_mul_f32_e32 v16, v5, v15
	v_fmac_f32_e32 v17, v5, v12
	v_fma_f32 v16, v4, v14, -v16
	v_mul_f32_e32 v4, v4, v15
	v_add_f32_e32 v68, v68, v17
	v_fmac_f32_e32 v4, v5, v14
	v_add_f32_e32 v5, v65, v16
	ds_read_b128 v[16:19], v55 offset:1024
	v_add_f32_e32 v4, v66, v4
	s_waitcnt lgkmcnt(0)
	v_mul_f32_e32 v24, v17, v9
	v_fma_f32 v24, v16, v8, -v24
	v_mul_f32_e32 v25, v16, v9
	v_add_f32_e32 v63, v63, v24
	v_mul_f32_e32 v24, v17, v11
	v_fmac_f32_e32 v25, v17, v8
	v_fma_f32 v24, v16, v10, -v24
	v_add_f32_e32 v64, v64, v25
	v_mul_f32_e32 v25, v16, v11
	v_add_f32_e32 v61, v61, v24
	v_mul_f32_e32 v24, v17, v13
	v_fmac_f32_e32 v25, v17, v10
	v_fma_f32 v24, v16, v12, -v24
	v_add_f32_e32 v62, v62, v25
	v_mul_f32_e32 v25, v16, v13
	v_add_f32_e32 v59, v59, v24
	v_mul_f32_e32 v24, v17, v15
	v_fmac_f32_e32 v25, v17, v12
	v_fma_f32 v24, v16, v14, -v24
	v_mul_f32_e32 v16, v16, v15
	v_add_f32_e32 v60, v60, v25
	v_fmac_f32_e32 v16, v17, v14
	v_add_f32_e32 v17, v57, v24
	ds_read2_b64 v[24:27], v54 offset0:64 offset1:80
	v_add_f32_e32 v16, v58, v16
	s_waitcnt lgkmcnt(0)
	v_mul_f32_e32 v28, v3, v25
	v_mul_f32_e32 v29, v2, v25
	v_fma_f32 v28, v2, v24, -v28
	v_fmac_f32_e32 v29, v3, v24
	v_add_f32_e32 v20, v20, v28
	v_add_f32_e32 v21, v21, v29
	v_mul_f32_e32 v28, v3, v27
	v_mul_f32_e32 v29, v2, v27
	v_fma_f32 v28, v2, v26, -v28
	v_fmac_f32_e32 v29, v3, v26
	v_add_f32_e32 v22, v22, v28
	v_add_f32_e32 v23, v23, v29
	ds_read2_b64 v[28:31], v54 offset0:96 offset1:112
	s_waitcnt lgkmcnt(0)
	v_mul_f32_e32 v57, v3, v29
	v_mul_f32_e32 v65, v3, v31
	v_fma_f32 v57, v2, v28, -v57
	v_mul_f32_e32 v58, v2, v29
	v_fma_f32 v65, v2, v30, -v65
	v_mul_f32_e32 v2, v2, v31
	v_fmac_f32_e32 v2, v3, v30
	v_add_f32_e32 v65, v1, v65
	v_add_f32_e32 v66, v0, v2
	v_mul_f32_e32 v0, v7, v25
	v_mul_f32_e32 v1, v6, v25
	v_fma_f32 v0, v6, v24, -v0
	v_fmac_f32_e32 v1, v7, v24
	v_add_f32_e32 v71, v71, v0
	v_add_f32_e32 v72, v72, v1
	v_mul_f32_e32 v0, v7, v27
	v_mul_f32_e32 v1, v6, v27
	v_fma_f32 v0, v6, v26, -v0
	;; [unrolled: 6-line block ×6, first 2 shown]
	v_fmac_f32_e32 v1, v19, v26
	ds_read2_b64 v[4:7], v54 offset0:128 offset1:144
	v_add_f32_e32 v57, v75, v57
	v_add_f32_e32 v75, v61, v0
	;; [unrolled: 1-line block ×3, first 2 shown]
	v_mul_f32_e32 v0, v19, v29
	v_mul_f32_e32 v1, v18, v29
	v_fmac_f32_e32 v58, v3, v28
	v_fma_f32 v0, v18, v28, -v0
	v_fmac_f32_e32 v1, v19, v28
	v_add_f32_e32 v58, v76, v58
	v_add_f32_e32 v76, v59, v0
	v_add_f32_e32 v77, v60, v1
	v_mul_f32_e32 v0, v19, v31
	v_mul_f32_e32 v1, v18, v31
	v_fma_f32 v0, v18, v30, -v0
	v_fmac_f32_e32 v1, v19, v30
	v_add_f32_e32 v17, v17, v0
	v_add_f32_e32 v16, v16, v1
	s_waitcnt lgkmcnt(0)
	v_mul_f32_e32 v0, v33, v5
	v_mul_f32_e32 v1, v32, v5
	v_fma_f32 v0, v32, v4, -v0
	v_fmac_f32_e32 v1, v33, v4
	v_add_f32_e32 v18, v20, v0
	v_add_f32_e32 v19, v21, v1
	v_mul_f32_e32 v0, v33, v7
	v_mul_f32_e32 v1, v32, v7
	v_fma_f32 v0, v32, v6, -v0
	v_fmac_f32_e32 v1, v33, v6
	v_add_f32_e32 v78, v22, v0
	v_add_f32_e32 v84, v23, v1
	ds_read2_b64 v[0:3], v54 offset0:160 offset1:176
	s_waitcnt lgkmcnt(0)
	v_mul_f32_e32 v21, v32, v1
	v_fmac_f32_e32 v21, v33, v0
	v_add_f32_e32 v85, v58, v21
	ds_read_b128 v[58:61], v55 offset:528
	v_mul_f32_e32 v20, v33, v1
	v_fma_f32 v20, v32, v0, -v20
	v_add_f32_e32 v57, v57, v20
	v_mul_f32_e32 v20, v33, v3
	v_mul_f32_e32 v21, v32, v3
	v_fma_f32 v20, v32, v2, -v20
	v_fmac_f32_e32 v21, v33, v2
	v_add_f32_e32 v32, v65, v20
	v_add_f32_e32 v33, v66, v21
	s_waitcnt lgkmcnt(0)
	v_mul_f32_e32 v20, v59, v5
	v_mul_f32_e32 v21, v58, v5
	v_fma_f32 v20, v58, v4, -v20
	v_fmac_f32_e32 v21, v59, v4
	v_add_f32_e32 v65, v71, v20
	v_add_f32_e32 v66, v72, v21
	v_mul_f32_e32 v20, v59, v7
	v_mul_f32_e32 v21, v58, v7
	v_fma_f32 v20, v58, v6, -v20
	v_fmac_f32_e32 v21, v59, v6
	v_add_f32_e32 v69, v69, v20
	v_add_f32_e32 v70, v70, v21
	v_mul_f32_e32 v20, v59, v1
	v_mul_f32_e32 v21, v58, v1
	v_fma_f32 v20, v58, v0, -v20
	v_fmac_f32_e32 v21, v59, v0
	v_add_f32_e32 v67, v67, v20
	v_add_f32_e32 v68, v68, v21
	v_mul_f32_e32 v20, v59, v3
	v_mul_f32_e32 v21, v58, v3
	v_fma_f32 v20, v58, v2, -v20
	v_fmac_f32_e32 v21, v59, v2
	v_add_f32_e32 v58, v73, v20
	v_add_f32_e32 v59, v74, v21
	v_mul_f32_e32 v20, v81, v5
	v_mul_f32_e32 v21, v80, v5
	v_fma_f32 v20, v80, v4, -v20
	v_fmac_f32_e32 v21, v81, v4
	v_add_f32_e32 v63, v63, v20
	v_add_f32_e32 v64, v64, v21
	v_mul_f32_e32 v20, v81, v7
	v_mul_f32_e32 v21, v80, v7
	v_fma_f32 v20, v80, v6, -v20
	v_fmac_f32_e32 v21, v81, v6
	v_add_f32_e32 v86, v75, v20
	v_add_f32_e32 v62, v62, v21
	v_mul_f32_e32 v20, v81, v1
	v_mul_f32_e32 v21, v80, v1
	v_fma_f32 v20, v80, v0, -v20
	v_fmac_f32_e32 v21, v81, v0
	v_add_f32_e32 v87, v76, v20
	v_add_f32_e32 v88, v77, v21
	v_mul_f32_e32 v20, v81, v3
	v_mul_f32_e32 v21, v80, v3
	v_fma_f32 v20, v80, v2, -v20
	v_fmac_f32_e32 v21, v81, v2
	v_add_f32_e32 v81, v17, v20
	v_add_f32_e32 v89, v16, v21
	ds_read2_b64 v[20:23], v54 offset0:192 offset1:208
	s_waitcnt lgkmcnt(0)
	v_mul_f32_e32 v16, v35, v21
	v_mul_f32_e32 v17, v34, v21
	v_fma_f32 v16, v34, v20, -v16
	v_fmac_f32_e32 v17, v35, v20
	v_add_f32_e32 v79, v18, v16
	v_add_f32_e32 v80, v19, v17
	v_mul_f32_e32 v16, v35, v23
	v_mul_f32_e32 v17, v34, v23
	v_fma_f32 v16, v34, v22, -v16
	v_fmac_f32_e32 v17, v35, v22
	v_add_f32_e32 v77, v78, v16
	v_add_f32_e32 v78, v84, v17
	ds_read2_b64 v[16:19], v54 offset0:224 offset1:240
	s_waitcnt lgkmcnt(0)
	v_mul_f32_e32 v71, v35, v17
	v_fma_f32 v71, v34, v16, -v71
	v_add_f32_e32 v75, v57, v71
	v_mul_f32_e32 v57, v35, v19
	v_mul_f32_e32 v72, v34, v17
	v_fma_f32 v57, v34, v18, -v57
	v_mul_f32_e32 v34, v34, v19
	v_fmac_f32_e32 v34, v35, v18
	v_add_f32_e32 v73, v32, v57
	v_add_f32_e32 v74, v33, v34
	v_mul_f32_e32 v32, v61, v21
	v_mul_f32_e32 v33, v60, v21
	v_fmac_f32_e32 v72, v35, v16
	v_fma_f32 v32, v60, v20, -v32
	v_fmac_f32_e32 v33, v61, v20
	v_add_f32_e32 v76, v85, v72
	v_add_f32_e32 v71, v65, v32
	;; [unrolled: 1-line block ×3, first 2 shown]
	v_mul_f32_e32 v32, v61, v23
	v_mul_f32_e32 v33, v60, v23
	v_fma_f32 v32, v60, v22, -v32
	v_fmac_f32_e32 v33, v61, v22
	v_add_f32_e32 v69, v69, v32
	v_add_f32_e32 v70, v70, v33
	v_mul_f32_e32 v32, v61, v17
	v_mul_f32_e32 v33, v60, v17
	v_fma_f32 v32, v60, v16, -v32
	v_fmac_f32_e32 v33, v61, v16
	v_add_f32_e32 v67, v67, v32
	v_add_f32_e32 v68, v68, v33
	;; [unrolled: 6-line block ×7, first 2 shown]
	ds_read_b128 v[32:35], v55 offset:1536
	s_waitcnt lgkmcnt(0)
	v_mul_f32_e32 v81, v33, v9
	v_mul_f32_e32 v9, v32, v9
	v_fmac_f32_e32 v9, v33, v8
	v_fma_f32 v81, v32, v8, -v81
	v_add_f32_e32 v51, v51, v9
	v_mul_f32_e32 v8, v33, v11
	v_mul_f32_e32 v9, v32, v11
	v_fma_f32 v8, v32, v10, -v8
	v_fmac_f32_e32 v9, v33, v10
	v_add_f32_e32 v48, v48, v8
	v_add_f32_e32 v49, v49, v9
	v_mul_f32_e32 v8, v33, v13
	v_mul_f32_e32 v9, v32, v13
	v_fma_f32 v8, v32, v12, -v8
	v_fmac_f32_e32 v9, v33, v12
	v_add_f32_e32 v12, v47, v8
	v_add_f32_e32 v13, v46, v9
	v_pk_mul_f32 v[8:9], v[32:33], v[14:15] op_sel:[0,1]
	v_pk_fma_f32 v[10:11], v[32:33], v[14:15], v[8:9] op_sel:[0,0,1] op_sel_hi:[1,1,0] neg_lo:[0,0,1] neg_hi:[0,0,1]
	v_pk_fma_f32 v[8:9], v[32:33], v[14:15], v[8:9] op_sel:[0,0,1] op_sel_hi:[1,0,0]
	v_mov_b32_e32 v11, v9
	v_pk_add_f32 v[8:9], v[36:37], v[10:11]
	v_mul_f32_e32 v10, v35, v25
	v_mul_f32_e32 v11, v34, v25
	v_add_f32_e32 v50, v50, v81
	v_fma_f32 v10, v34, v24, -v10
	v_fmac_f32_e32 v11, v35, v24
	v_add_f32_e32 v32, v50, v10
	v_add_f32_e32 v33, v51, v11
	v_mul_f32_e32 v10, v35, v27
	v_mul_f32_e32 v11, v34, v27
	v_fma_f32 v10, v34, v26, -v10
	v_fmac_f32_e32 v11, v35, v26
	v_add_f32_e32 v24, v48, v10
	v_add_f32_e32 v25, v49, v11
	v_mul_f32_e32 v10, v35, v29
	v_mul_f32_e32 v11, v34, v29
	v_fma_f32 v10, v34, v28, -v10
	v_fmac_f32_e32 v11, v35, v28
	v_add_f32_e32 v14, v12, v10
	v_add_f32_e32 v15, v13, v11
	v_pk_mul_f32 v[10:11], v[34:35], v[30:31] op_sel:[0,1]
	v_pk_fma_f32 v[12:13], v[34:35], v[30:31], v[10:11] op_sel:[0,0,1] op_sel_hi:[1,1,0] neg_lo:[0,0,1] neg_hi:[0,0,1]
	v_pk_fma_f32 v[10:11], v[34:35], v[30:31], v[10:11] op_sel:[0,0,1] op_sel_hi:[1,0,0]
	v_mov_b32_e32 v13, v11
	v_pk_add_f32 v[12:13], v[8:9], v[12:13]
	ds_read_b128 v[8:11], v55 offset:1552
	s_waitcnt lgkmcnt(0)
	s_barrier
	v_mul_f32_e32 v26, v9, v5
	v_mul_f32_e32 v5, v8, v5
	v_fma_f32 v26, v8, v4, -v26
	v_fmac_f32_e32 v5, v9, v4
	v_mul_f32_e32 v4, v9, v7
	v_add_f32_e32 v27, v33, v5
	v_fma_f32 v4, v8, v6, -v4
	v_mul_f32_e32 v5, v8, v7
	v_fmac_f32_e32 v5, v9, v6
	v_add_f32_e32 v6, v24, v4
	v_mul_f32_e32 v4, v9, v1
	v_mul_f32_e32 v1, v8, v1
	v_fmac_f32_e32 v1, v9, v0
	v_fma_f32 v4, v8, v0, -v4
	v_add_f32_e32 v15, v15, v1
	v_pk_mul_f32 v[0:1], v[8:9], v[2:3] op_sel:[0,1]
	v_add_f32_e32 v7, v25, v5
	v_add_f32_e32 v14, v14, v4
	v_pk_fma_f32 v[4:5], v[8:9], v[2:3], v[0:1] op_sel:[0,0,1] op_sel_hi:[1,1,0] neg_lo:[0,0,1] neg_hi:[0,0,1]
	v_pk_fma_f32 v[0:1], v[8:9], v[2:3], v[0:1] op_sel:[0,0,1] op_sel_hi:[1,0,0]
	v_mul_f32_e32 v2, v11, v21
	v_mul_f32_e32 v3, v10, v21
	v_add_f32_e32 v26, v32, v26
	v_fma_f32 v2, v10, v20, -v2
	v_fmac_f32_e32 v3, v11, v20
	v_add_f32_e32 v50, v26, v2
	v_add_f32_e32 v51, v27, v3
	v_mul_f32_e32 v2, v11, v23
	v_mul_f32_e32 v3, v10, v23
	v_fma_f32 v2, v10, v22, -v2
	v_fmac_f32_e32 v3, v11, v22
	v_add_f32_e32 v48, v6, v2
	v_add_f32_e32 v49, v7, v3
	v_mul_f32_e32 v2, v11, v17
	v_mul_f32_e32 v3, v10, v17
	v_fma_f32 v2, v10, v16, -v2
	v_fmac_f32_e32 v3, v11, v16
	v_mov_b32_e32 v5, v1
	v_add_f32_e32 v47, v14, v2
	v_add_f32_e32 v46, v15, v3
	v_pk_mul_f32 v[2:3], v[10:11], v[18:19] op_sel:[0,1]
	v_pk_add_f32 v[0:1], v[12:13], v[4:5]
	v_pk_fma_f32 v[4:5], v[10:11], v[18:19], v[2:3] op_sel:[0,0,1] op_sel_hi:[1,1,0] neg_lo:[0,0,1] neg_hi:[0,0,1]
	v_pk_fma_f32 v[2:3], v[10:11], v[18:19], v[2:3] op_sel:[0,0,1] op_sel_hi:[1,0,0]
	v_mov_b32_e32 v5, v3
	v_pk_add_f32 v[36:37], v[0:1], v[4:5]
	s_cbranch_vccnz .LBB242_2
	s_branch .LBB242_4
.LBB242_3:
	v_mov_b32_e32 v37, 0
	v_mov_b32_e32 v36, v37
	v_mov_b32_e32 v79, v37
	v_mov_b32_e32 v80, v37
	v_mov_b32_e32 v77, v37
	v_mov_b32_e32 v78, v37
	v_mov_b32_e32 v75, v37
	v_mov_b32_e32 v76, v37
	v_mov_b32_e32 v73, v37
	v_mov_b32_e32 v74, v37
	v_mov_b32_e32 v71, v37
	v_mov_b32_e32 v72, v37
	v_mov_b32_e32 v69, v37
	v_mov_b32_e32 v70, v37
	v_mov_b32_e32 v67, v37
	v_mov_b32_e32 v68, v37
	v_mov_b32_e32 v65, v37
	v_mov_b32_e32 v66, v37
	v_mov_b32_e32 v63, v37
	v_mov_b32_e32 v64, v37
	v_mov_b32_e32 v61, v37
	v_mov_b32_e32 v62, v37
	v_mov_b32_e32 v59, v37
	v_mov_b32_e32 v60, v37
	v_mov_b32_e32 v57, v37
	v_mov_b32_e32 v58, v37
	v_mov_b32_e32 v50, v37
	v_mov_b32_e32 v51, v37
	v_mov_b32_e32 v48, v37
	v_mov_b32_e32 v49, v37
	v_mov_b32_e32 v47, v37
	v_mov_b32_e32 v46, v37
.LBB242_4:
	s_lshl_b64 s[2:3], s[2:3], 3
	s_waitcnt lgkmcnt(0)
	s_add_u32 s8, s8, s2
	v_mov_b32_e32 v0, s29
	v_add_co_u32_e32 v4, vcc, s28, v45
	s_addc_u32 s9, s9, s3
	v_addc_co_u32_e32 v5, vcc, 0, v0, vcc
	s_or_b32 s2, s10, s11
	s_bitset0_b32 s2, 31
	v_mov_b32_e32 v1, s7
	v_add_co_u32_e32 v0, vcc, s6, v44
	s_cmp_lg_u32 s2, 0
	v_addc_co_u32_e32 v1, vcc, 0, v1, vcc
	s_mov_b32 s2, s15
	s_mov_b32 s3, s14
	s_cbranch_scc1 .LBB242_6
; %bb.5:
	v_mul_lo_u32 v6, v5, s0
	v_mul_lo_u32 v7, v4, s1
	v_mad_u64_u32 v[2:3], s[6:7], v4, s0, 0
	v_add3_u32 v3, v3, v7, v6
	v_lshlrev_b64 v[2:3], 3, v[2:3]
	v_mov_b32_e32 v6, s9
	v_add_co_u32_e32 v8, vcc, s8, v2
	v_addc_co_u32_e32 v9, vcc, v6, v3, vcc
	v_lshlrev_b64 v[6:7], 3, v[0:1]
	v_mul_f32_e32 v2, s15, v80
	v_mul_f32_e32 v3, s14, v80
	v_add_co_u32_e32 v6, vcc, v8, v6
	v_fma_f32 v2, v79, s14, -v2
	v_fmac_f32_e32 v3, s15, v79
	v_addc_co_u32_e32 v7, vcc, v9, v7, vcc
	global_store_dwordx2 v[6:7], v[2:3], off
	v_mul_f32_e32 v2, s15, v78
	v_mul_f32_e32 v3, s14, v78
	v_fma_f32 v2, v77, s14, -v2
	v_fmac_f32_e32 v3, s15, v77
	global_store_dwordx2 v[6:7], v[2:3], off offset:128
	v_mul_f32_e32 v2, s15, v76
	v_mul_f32_e32 v3, s14, v76
	v_fma_f32 v2, v75, s14, -v2
	v_fmac_f32_e32 v3, s15, v75
	global_store_dwordx2 v[6:7], v[2:3], off offset:256
	v_mul_f32_e32 v2, s15, v74
	v_mul_f32_e32 v3, s14, v74
	v_fma_f32 v2, v73, s14, -v2
	v_fmac_f32_e32 v3, s15, v73
	s_lshl_b64 s[6:7], s[0:1], 7
	global_store_dwordx2 v[6:7], v[2:3], off offset:384
	v_mul_f32_e32 v2, s15, v72
	v_mul_f32_e32 v3, s14, v72
	v_mov_b32_e32 v9, s7
	v_add_co_u32_e32 v6, vcc, s6, v6
	v_fma_f32 v2, v71, s14, -v2
	v_fmac_f32_e32 v3, s15, v71
	v_addc_co_u32_e32 v7, vcc, v7, v9, vcc
	global_store_dwordx2 v[6:7], v[2:3], off
	v_mul_f32_e32 v2, s15, v70
	v_mul_f32_e32 v3, s14, v70
	v_fma_f32 v2, v69, s14, -v2
	v_fmac_f32_e32 v3, s15, v69
	global_store_dwordx2 v[6:7], v[2:3], off offset:128
	v_mul_f32_e32 v2, s15, v68
	v_mul_f32_e32 v3, s14, v68
	v_fma_f32 v2, v67, s14, -v2
	v_fmac_f32_e32 v3, s15, v67
	global_store_dwordx2 v[6:7], v[2:3], off offset:256
	;; [unrolled: 5-line block ×3, first 2 shown]
	v_mul_f32_e32 v2, s15, v64
	v_mul_f32_e32 v3, s14, v64
	v_add_co_u32_e32 v6, vcc, s6, v6
	v_fma_f32 v2, v63, s14, -v2
	v_fmac_f32_e32 v3, s15, v63
	v_addc_co_u32_e32 v7, vcc, v7, v9, vcc
	global_store_dwordx2 v[6:7], v[2:3], off
	v_mul_f32_e32 v2, s15, v62
	v_mul_f32_e32 v3, s14, v62
	v_fma_f32 v2, v61, s14, -v2
	v_fmac_f32_e32 v3, s15, v61
	global_store_dwordx2 v[6:7], v[2:3], off offset:128
	v_mul_f32_e32 v2, s15, v60
	v_mul_f32_e32 v3, s14, v60
	v_fma_f32 v2, v59, s14, -v2
	v_fmac_f32_e32 v3, s15, v59
	global_store_dwordx2 v[6:7], v[2:3], off offset:256
	;; [unrolled: 5-line block ×3, first 2 shown]
	v_mul_f32_e32 v2, s15, v51
	v_mul_f32_e32 v3, s14, v51
	v_add_co_u32_e32 v8, vcc, s6, v6
	v_fma_f32 v2, v50, s14, -v2
	v_fmac_f32_e32 v3, s15, v50
	v_addc_co_u32_e32 v9, vcc, v7, v9, vcc
	global_store_dwordx2 v[8:9], v[2:3], off
	v_mul_f32_e32 v2, s15, v49
	v_mul_f32_e32 v3, s14, v49
	v_fma_f32 v2, v48, s14, -v2
	v_fmac_f32_e32 v3, s15, v48
	global_store_dwordx2 v[8:9], v[2:3], off offset:128
	v_mul_f32_e32 v2, s15, v46
	v_mul_f32_e32 v3, s14, v46
	v_fma_f32 v2, v47, s14, -v2
	v_fmac_f32_e32 v3, s15, v47
	global_store_dwordx2 v[8:9], v[2:3], off offset:256
	v_mul_f32_e32 v2, s3, v36
	v_fma_f32 v7, -v37, s2, v2
	v_pk_mul_f32 v[2:3], v[36:37], s[2:3]
	v_add_f32_e32 v6, v2, v3
	v_add_co_u32_e32 v2, vcc, 0x180, v8
	v_addc_co_u32_e32 v3, vcc, 0, v9, vcc
	global_store_dword v[8:9], v7, off offset:384
	s_cbranch_execz .LBB242_7
	s_branch .LBB242_8
.LBB242_6:
                                        ; implicit-def: $vgpr6
                                        ; implicit-def: $vgpr2_vgpr3
.LBB242_7:
	s_lshl_b64 s[6:7], s[40:41], 3
	s_add_u32 s6, s4, s6
	s_addc_u32 s7, s5, s7
	v_mul_lo_u32 v6, v5, s38
	v_mul_lo_u32 v7, v4, s39
	v_mad_u64_u32 v[2:3], s[4:5], v4, s38, 0
	v_add3_u32 v3, v3, v7, v6
	v_lshlrev_b64 v[2:3], 3, v[2:3]
	v_mov_b32_e32 v6, s7
	v_add_co_u32_e32 v2, vcc, s6, v2
	v_addc_co_u32_e32 v3, vcc, v6, v3, vcc
	v_lshlrev_b64 v[0:1], 3, v[0:1]
	v_add_co_u32_e32 v2, vcc, v2, v0
	v_addc_co_u32_e32 v3, vcc, v3, v1, vcc
	global_load_dwordx2 v[6:7], v[2:3], off
	v_mul_lo_u32 v8, v5, s0
	v_mul_lo_u32 v9, v4, s1
	v_mad_u64_u32 v[4:5], s[4:5], v4, s0, 0
	v_add3_u32 v5, v5, v9, v8
	v_lshlrev_b64 v[4:5], 3, v[4:5]
	v_mov_b32_e32 v10, s9
	v_add_co_u32_e32 v4, vcc, s8, v4
	v_addc_co_u32_e32 v5, vcc, v10, v5, vcc
	v_add_co_u32_e32 v0, vcc, v4, v0
	v_mul_f32_e32 v11, s15, v80
	v_mul_f32_e32 v12, s14, v80
	v_addc_co_u32_e32 v1, vcc, v5, v1, vcc
	v_fma_f32 v8, v79, s14, -v11
	v_fmac_f32_e32 v12, s15, v79
	s_lshl_b64 s[4:5], s[38:39], 7
	s_lshl_b64 s[0:1], s[0:1], 7
	s_waitcnt vmcnt(0)
	v_mul_f32_e32 v4, s11, v7
	v_mul_f32_e32 v5, s10, v7
	v_fma_f32 v4, v6, s10, -v4
	v_fmac_f32_e32 v5, s11, v6
	v_add_f32_e32 v4, v8, v4
	v_add_f32_e32 v5, v12, v5
	global_store_dwordx2 v[0:1], v[4:5], off
	global_load_dwordx2 v[4:5], v[2:3], off offset:128
	v_mul_f32_e32 v6, s15, v78
	v_mul_f32_e32 v7, s14, v78
	v_fma_f32 v6, v77, s14, -v6
	v_fmac_f32_e32 v7, s15, v77
	s_waitcnt vmcnt(0)
	v_mul_f32_e32 v8, s11, v5
	v_mul_f32_e32 v5, s10, v5
	v_fma_f32 v8, v4, s10, -v8
	v_fmac_f32_e32 v5, s11, v4
	v_add_f32_e32 v4, v6, v8
	v_add_f32_e32 v5, v7, v5
	global_store_dwordx2 v[0:1], v[4:5], off offset:128
	global_load_dwordx2 v[4:5], v[2:3], off offset:256
	v_mul_f32_e32 v6, s15, v76
	v_mul_f32_e32 v7, s14, v76
	v_fma_f32 v6, v75, s14, -v6
	v_fmac_f32_e32 v7, s15, v75
	s_waitcnt vmcnt(0)
	v_mul_f32_e32 v8, s11, v5
	v_mul_f32_e32 v5, s10, v5
	v_fma_f32 v8, v4, s10, -v8
	v_fmac_f32_e32 v5, s11, v4
	v_add_f32_e32 v4, v6, v8
	v_add_f32_e32 v5, v7, v5
	global_store_dwordx2 v[0:1], v[4:5], off offset:256
	global_load_dwordx2 v[4:5], v[2:3], off offset:384
	v_mul_f32_e32 v6, s15, v74
	v_mul_f32_e32 v7, s14, v74
	v_fma_f32 v6, v73, s14, -v6
	v_fmac_f32_e32 v7, s15, v73
	v_mov_b32_e32 v8, s5
	v_add_co_u32_e32 v2, vcc, s4, v2
	v_addc_co_u32_e32 v3, vcc, v3, v8, vcc
	s_waitcnt vmcnt(0)
	v_mul_f32_e32 v9, s11, v5
	v_mul_f32_e32 v5, s10, v5
	v_fma_f32 v9, v4, s10, -v9
	v_fmac_f32_e32 v5, s11, v4
	v_add_f32_e32 v4, v6, v9
	v_add_f32_e32 v5, v7, v5
	global_store_dwordx2 v[0:1], v[4:5], off offset:384
	global_load_dwordx2 v[4:5], v[2:3], off
	v_mul_f32_e32 v6, s15, v72
	v_mul_f32_e32 v7, s14, v72
	v_fma_f32 v6, v71, s14, -v6
	v_fmac_f32_e32 v7, s15, v71
	v_mov_b32_e32 v9, s1
	v_add_co_u32_e32 v0, vcc, s0, v0
	v_addc_co_u32_e32 v1, vcc, v1, v9, vcc
	s_waitcnt vmcnt(0)
	v_mul_f32_e32 v10, s11, v5
	v_mul_f32_e32 v5, s10, v5
	v_fma_f32 v10, v4, s10, -v10
	v_fmac_f32_e32 v5, s11, v4
	v_add_f32_e32 v4, v6, v10
	v_add_f32_e32 v5, v7, v5
	global_store_dwordx2 v[0:1], v[4:5], off
	global_load_dwordx2 v[4:5], v[2:3], off offset:128
	v_mul_f32_e32 v6, s15, v70
	v_mul_f32_e32 v7, s14, v70
	v_fma_f32 v6, v69, s14, -v6
	v_fmac_f32_e32 v7, s15, v69
	s_waitcnt vmcnt(0)
	v_mul_f32_e32 v10, s11, v5
	v_mul_f32_e32 v5, s10, v5
	v_fma_f32 v10, v4, s10, -v10
	v_fmac_f32_e32 v5, s11, v4
	v_add_f32_e32 v4, v6, v10
	v_add_f32_e32 v5, v7, v5
	global_store_dwordx2 v[0:1], v[4:5], off offset:128
	global_load_dwordx2 v[4:5], v[2:3], off offset:256
	v_mul_f32_e32 v6, s15, v68
	v_mul_f32_e32 v7, s14, v68
	v_fma_f32 v6, v67, s14, -v6
	v_fmac_f32_e32 v7, s15, v67
	s_waitcnt vmcnt(0)
	v_mul_f32_e32 v10, s11, v5
	v_mul_f32_e32 v5, s10, v5
	v_fma_f32 v10, v4, s10, -v10
	v_fmac_f32_e32 v5, s11, v4
	v_add_f32_e32 v4, v6, v10
	v_add_f32_e32 v5, v7, v5
	global_store_dwordx2 v[0:1], v[4:5], off offset:256
	global_load_dwordx2 v[4:5], v[2:3], off offset:384
	v_mul_f32_e32 v6, s15, v66
	v_mul_f32_e32 v7, s14, v66
	v_fma_f32 v6, v65, s14, -v6
	v_fmac_f32_e32 v7, s15, v65
	v_add_co_u32_e32 v2, vcc, s4, v2
	v_addc_co_u32_e32 v3, vcc, v3, v8, vcc
	s_waitcnt vmcnt(0)
	v_mul_f32_e32 v10, s11, v5
	v_mul_f32_e32 v5, s10, v5
	v_fma_f32 v10, v4, s10, -v10
	v_fmac_f32_e32 v5, s11, v4
	v_add_f32_e32 v4, v6, v10
	v_add_f32_e32 v5, v7, v5
	global_store_dwordx2 v[0:1], v[4:5], off offset:384
	global_load_dwordx2 v[4:5], v[2:3], off
	v_mul_f32_e32 v6, s15, v64
	v_mul_f32_e32 v7, s14, v64
	v_fma_f32 v6, v63, s14, -v6
	v_fmac_f32_e32 v7, s15, v63
	v_add_co_u32_e32 v0, vcc, s0, v0
	v_addc_co_u32_e32 v1, vcc, v1, v9, vcc
	s_waitcnt vmcnt(0)
	v_mul_f32_e32 v10, s11, v5
	v_mul_f32_e32 v5, s10, v5
	v_fma_f32 v10, v4, s10, -v10
	v_fmac_f32_e32 v5, s11, v4
	v_add_f32_e32 v4, v6, v10
	v_add_f32_e32 v5, v7, v5
	global_store_dwordx2 v[0:1], v[4:5], off
	global_load_dwordx2 v[4:5], v[2:3], off offset:128
	v_mul_f32_e32 v6, s15, v62
	v_mul_f32_e32 v7, s14, v62
	v_fma_f32 v6, v61, s14, -v6
	v_fmac_f32_e32 v7, s15, v61
	s_waitcnt vmcnt(0)
	v_mul_f32_e32 v10, s11, v5
	v_mul_f32_e32 v5, s10, v5
	v_fma_f32 v10, v4, s10, -v10
	v_fmac_f32_e32 v5, s11, v4
	v_add_f32_e32 v4, v6, v10
	v_add_f32_e32 v5, v7, v5
	global_store_dwordx2 v[0:1], v[4:5], off offset:128
	global_load_dwordx2 v[4:5], v[2:3], off offset:256
	v_mul_f32_e32 v6, s15, v60
	v_mul_f32_e32 v7, s14, v60
	v_fma_f32 v6, v59, s14, -v6
	v_fmac_f32_e32 v7, s15, v59
	s_waitcnt vmcnt(0)
	v_mul_f32_e32 v10, s11, v5
	v_mul_f32_e32 v5, s10, v5
	v_fma_f32 v10, v4, s10, -v10
	v_fmac_f32_e32 v5, s11, v4
	v_add_f32_e32 v4, v6, v10
	v_add_f32_e32 v5, v7, v5
	global_store_dwordx2 v[0:1], v[4:5], off offset:256
	global_load_dwordx2 v[4:5], v[2:3], off offset:384
	v_add_co_u32_e32 v2, vcc, s4, v2
	v_mul_f32_e32 v6, s15, v58
	v_mul_f32_e32 v7, s14, v58
	v_addc_co_u32_e32 v3, vcc, v3, v8, vcc
	v_fma_f32 v6, v57, s14, -v6
	v_fmac_f32_e32 v7, s15, v57
	s_waitcnt vmcnt(0)
	v_mul_f32_e32 v8, s11, v5
	v_mul_f32_e32 v5, s10, v5
	v_fma_f32 v8, v4, s10, -v8
	v_fmac_f32_e32 v5, s11, v4
	v_add_f32_e32 v4, v6, v8
	v_add_f32_e32 v5, v7, v5
	global_store_dwordx2 v[0:1], v[4:5], off offset:384
	global_load_dwordx2 v[4:5], v[2:3], off
	v_mul_f32_e32 v6, s15, v51
	v_mul_f32_e32 v7, s14, v51
	v_fma_f32 v6, v50, s14, -v6
	v_fmac_f32_e32 v7, s15, v50
	v_add_co_u32_e32 v0, vcc, s0, v0
	v_addc_co_u32_e32 v1, vcc, v1, v9, vcc
	s_waitcnt vmcnt(0)
	v_mul_f32_e32 v8, s11, v5
	v_mul_f32_e32 v5, s10, v5
	v_fma_f32 v8, v4, s10, -v8
	v_fmac_f32_e32 v5, s11, v4
	v_add_f32_e32 v4, v6, v8
	v_add_f32_e32 v5, v7, v5
	global_store_dwordx2 v[0:1], v[4:5], off
	global_load_dwordx2 v[4:5], v[2:3], off offset:128
	v_mul_f32_e32 v6, s15, v49
	v_mul_f32_e32 v7, s14, v49
	v_fma_f32 v6, v48, s14, -v6
	v_fmac_f32_e32 v7, s15, v48
	s_waitcnt vmcnt(0)
	v_mul_f32_e32 v8, s11, v5
	v_mul_f32_e32 v5, s10, v5
	v_fma_f32 v8, v4, s10, -v8
	v_fmac_f32_e32 v5, s11, v4
	v_add_f32_e32 v4, v6, v8
	v_add_f32_e32 v5, v7, v5
	global_store_dwordx2 v[0:1], v[4:5], off offset:128
	global_load_dwordx2 v[4:5], v[2:3], off offset:256
	v_mul_f32_e32 v6, s15, v46
	v_mul_f32_e32 v7, s14, v46
	v_fma_f32 v6, v47, s14, -v6
	v_fmac_f32_e32 v7, s15, v47
	s_waitcnt vmcnt(0)
	v_mul_f32_e32 v8, s11, v5
	v_mul_f32_e32 v5, s10, v5
	v_fma_f32 v8, v4, s10, -v8
	v_fmac_f32_e32 v5, s11, v4
	v_add_f32_e32 v4, v6, v8
	v_add_f32_e32 v5, v7, v5
	global_store_dwordx2 v[0:1], v[4:5], off offset:256
	global_load_dwordx2 v[4:5], v[2:3], off offset:384
	v_mul_f32_e32 v6, s3, v36
	v_pk_mul_f32 v[2:3], v[36:37], s[2:3]
	v_fma_f32 v8, -v37, s2, v6
	v_add_f32_e32 v3, v2, v3
	v_add_co_u32_e32 v2, vcc, 0x180, v0
	s_waitcnt vmcnt(0)
	v_pk_mul_f32 v[6:7], v[4:5], s[10:11] op_sel:[0,1] op_sel_hi:[1,0]
	v_mul_f32_e32 v4, s10, v4
	v_fma_f32 v4, -v5, s11, v4
	v_add_f32_e32 v5, v6, v7
	v_add_f32_e32 v4, v8, v4
	;; [unrolled: 1-line block ×3, first 2 shown]
	v_addc_co_u32_e32 v3, vcc, 0, v1, vcc
	global_store_dword v[0:1], v4, off offset:384
.LBB242_8:
	global_store_dword v[2:3], v6, off offset:4
	s_endpgm
	.section	.rodata,"a",@progbits
	.p2align	6, 0x0
	.amdhsa_kernel _ZN12_GLOBAL__N_127rocblas_gemm_batched_kernelI19rocblas_complex_numIfELi16ELi16ELi64ELi64ELi4ELi64ELi4ELi4ELi64ELc84ELc67EKPKS2_S5_KPS2_EEvlllT_PT11_llSA_llS8_PT12_llPT13_lli
		.amdhsa_group_segment_fixed_size 4096
		.amdhsa_private_segment_fixed_size 0
		.amdhsa_kernarg_size 140
		.amdhsa_user_sgpr_count 6
		.amdhsa_user_sgpr_private_segment_buffer 1
		.amdhsa_user_sgpr_dispatch_ptr 0
		.amdhsa_user_sgpr_queue_ptr 0
		.amdhsa_user_sgpr_kernarg_segment_ptr 1
		.amdhsa_user_sgpr_dispatch_id 0
		.amdhsa_user_sgpr_flat_scratch_init 0
		.amdhsa_user_sgpr_kernarg_preload_length 0
		.amdhsa_user_sgpr_kernarg_preload_offset 0
		.amdhsa_user_sgpr_private_segment_size 0
		.amdhsa_uses_dynamic_stack 0
		.amdhsa_system_sgpr_private_segment_wavefront_offset 0
		.amdhsa_system_sgpr_workgroup_id_x 1
		.amdhsa_system_sgpr_workgroup_id_y 1
		.amdhsa_system_sgpr_workgroup_id_z 1
		.amdhsa_system_sgpr_workgroup_info 0
		.amdhsa_system_vgpr_workitem_id 1
		.amdhsa_next_free_vgpr 90
		.amdhsa_next_free_sgpr 44
		.amdhsa_accum_offset 92
		.amdhsa_reserve_vcc 1
		.amdhsa_reserve_flat_scratch 0
		.amdhsa_float_round_mode_32 0
		.amdhsa_float_round_mode_16_64 0
		.amdhsa_float_denorm_mode_32 3
		.amdhsa_float_denorm_mode_16_64 3
		.amdhsa_dx10_clamp 1
		.amdhsa_ieee_mode 1
		.amdhsa_fp16_overflow 0
		.amdhsa_tg_split 0
		.amdhsa_exception_fp_ieee_invalid_op 0
		.amdhsa_exception_fp_denorm_src 0
		.amdhsa_exception_fp_ieee_div_zero 0
		.amdhsa_exception_fp_ieee_overflow 0
		.amdhsa_exception_fp_ieee_underflow 0
		.amdhsa_exception_fp_ieee_inexact 0
		.amdhsa_exception_int_div_zero 0
	.end_amdhsa_kernel
	.section	.text._ZN12_GLOBAL__N_127rocblas_gemm_batched_kernelI19rocblas_complex_numIfELi16ELi16ELi64ELi64ELi4ELi64ELi4ELi4ELi64ELc84ELc67EKPKS2_S5_KPS2_EEvlllT_PT11_llSA_llS8_PT12_llPT13_lli,"axG",@progbits,_ZN12_GLOBAL__N_127rocblas_gemm_batched_kernelI19rocblas_complex_numIfELi16ELi16ELi64ELi64ELi4ELi64ELi4ELi4ELi64ELc84ELc67EKPKS2_S5_KPS2_EEvlllT_PT11_llSA_llS8_PT12_llPT13_lli,comdat
.Lfunc_end242:
	.size	_ZN12_GLOBAL__N_127rocblas_gemm_batched_kernelI19rocblas_complex_numIfELi16ELi16ELi64ELi64ELi4ELi64ELi4ELi4ELi64ELc84ELc67EKPKS2_S5_KPS2_EEvlllT_PT11_llSA_llS8_PT12_llPT13_lli, .Lfunc_end242-_ZN12_GLOBAL__N_127rocblas_gemm_batched_kernelI19rocblas_complex_numIfELi16ELi16ELi64ELi64ELi4ELi64ELi4ELi4ELi64ELc84ELc67EKPKS2_S5_KPS2_EEvlllT_PT11_llSA_llS8_PT12_llPT13_lli
                                        ; -- End function
	.section	.AMDGPU.csdata,"",@progbits
; Kernel info:
; codeLenInByte = 4748
; NumSgprs: 48
; NumVgprs: 90
; NumAgprs: 0
; TotalNumVgprs: 90
; ScratchSize: 0
; MemoryBound: 0
; FloatMode: 240
; IeeeMode: 1
; LDSByteSize: 4096 bytes/workgroup (compile time only)
; SGPRBlocks: 5
; VGPRBlocks: 11
; NumSGPRsForWavesPerEU: 48
; NumVGPRsForWavesPerEU: 90
; AccumOffset: 92
; Occupancy: 5
; WaveLimiterHint : 1
; COMPUTE_PGM_RSRC2:SCRATCH_EN: 0
; COMPUTE_PGM_RSRC2:USER_SGPR: 6
; COMPUTE_PGM_RSRC2:TRAP_HANDLER: 0
; COMPUTE_PGM_RSRC2:TGID_X_EN: 1
; COMPUTE_PGM_RSRC2:TGID_Y_EN: 1
; COMPUTE_PGM_RSRC2:TGID_Z_EN: 1
; COMPUTE_PGM_RSRC2:TIDIG_COMP_CNT: 1
; COMPUTE_PGM_RSRC3_GFX90A:ACCUM_OFFSET: 22
; COMPUTE_PGM_RSRC3_GFX90A:TG_SPLIT: 0
	.section	.text._ZN12_GLOBAL__N_127rocblas_gemm_batched_kernelI19rocblas_complex_numIfELi16ELi16ELi32ELi32ELi8ELi32ELi8ELi8ELi32ELc78ELc78EKPKS2_S5_KPS2_EEvlllT_PT11_llSA_llS8_PT12_llPT13_lli,"axG",@progbits,_ZN12_GLOBAL__N_127rocblas_gemm_batched_kernelI19rocblas_complex_numIfELi16ELi16ELi32ELi32ELi8ELi32ELi8ELi8ELi32ELc78ELc78EKPKS2_S5_KPS2_EEvlllT_PT11_llSA_llS8_PT12_llPT13_lli,comdat
	.globl	_ZN12_GLOBAL__N_127rocblas_gemm_batched_kernelI19rocblas_complex_numIfELi16ELi16ELi32ELi32ELi8ELi32ELi8ELi8ELi32ELc78ELc78EKPKS2_S5_KPS2_EEvlllT_PT11_llSA_llS8_PT12_llPT13_lli ; -- Begin function _ZN12_GLOBAL__N_127rocblas_gemm_batched_kernelI19rocblas_complex_numIfELi16ELi16ELi32ELi32ELi8ELi32ELi8ELi8ELi32ELc78ELc78EKPKS2_S5_KPS2_EEvlllT_PT11_llSA_llS8_PT12_llPT13_lli
	.p2align	8
	.type	_ZN12_GLOBAL__N_127rocblas_gemm_batched_kernelI19rocblas_complex_numIfELi16ELi16ELi32ELi32ELi8ELi32ELi8ELi8ELi32ELc78ELc78EKPKS2_S5_KPS2_EEvlllT_PT11_llSA_llS8_PT12_llPT13_lli,@function
_ZN12_GLOBAL__N_127rocblas_gemm_batched_kernelI19rocblas_complex_numIfELi16ELi16ELi32ELi32ELi8ELi32ELi8ELi8ELi32ELc78ELc78EKPKS2_S5_KPS2_EEvlllT_PT11_llSA_llS8_PT12_llPT13_lli: ; @_ZN12_GLOBAL__N_127rocblas_gemm_batched_kernelI19rocblas_complex_numIfELi16ELi16ELi32ELi32ELi8ELi32ELi8ELi8ELi32ELc78ELc78EKPKS2_S5_KPS2_EEvlllT_PT11_llSA_llS8_PT12_llPT13_lli
; %bb.0:
	s_load_dwordx16 s[12:27], s[4:5], 0x10
	s_load_dwordx4 s[0:3], s[4:5], 0x78
	s_load_dwordx8 s[36:43], s[4:5], 0x58
	s_load_dwordx2 s[10:11], s[4:5], 0x50
	s_mov_b32 s9, 0
	s_lshl_b64 s[30:31], s[8:9], 3
	s_mov_b32 s28, s7
	s_waitcnt lgkmcnt(0)
	s_add_u32 s4, s36, s30
	s_addc_u32 s5, s37, s31
	s_add_u32 s8, s42, s30
	s_addc_u32 s9, s43, s31
	s_load_dwordx2 s[4:5], s[4:5], 0x0
	s_ashr_i32 s7, s6, 31
	s_load_dwordx2 s[8:9], s[8:9], 0x0
	s_ashr_i32 s29, s28, 31
	v_cmp_lt_i64_e64 s[34:35], s[12:13], 1
	v_bfe_u32 v47, v0, 10, 10
	v_and_b32_e32 v46, 0x3ff, v0
	s_lshl_b64 s[6:7], s[6:7], 5
	s_lshl_b64 s[28:29], s[28:29], 5
	s_and_b64 vcc, exec, s[34:35]
	s_cbranch_vccnz .LBB243_3
; %bb.1:
	v_lshl_add_u32 v0, v47, 4, v46
	v_lshrrev_b32_e32 v1, 3, v0
	v_mov_b32_e32 v2, s29
	v_add_co_u32_e32 v4, vcc, s28, v1
	v_addc_co_u32_e32 v5, vcc, 0, v2, vcc
	v_and_b32_e32 v2, 7, v46
	v_and_b32_e32 v6, 31, v0
	v_lshrrev_b32_e32 v3, 5, v0
	v_lshlrev_b32_e32 v0, 3, v6
	v_lshlrev_b32_e32 v7, 3, v2
	s_add_u32 s16, s16, s30
	v_lshl_or_b32 v52, v3, 8, v0
	v_lshl_or_b32 v0, v1, 6, v7
	s_addc_u32 s17, s17, s31
	v_add_u32_e32 v53, 0x800, v0
	v_mov_b32_e32 v0, 0x800
	s_load_dwordx2 s[16:17], s[16:17], 0x0
	s_add_u32 s22, s22, s30
	v_lshl_add_u32 v55, v47, 6, v0
	v_pk_mov_b32 v[0:1], s[6:7], s[6:7] op_sel:[0,1]
	s_addc_u32 s23, s23, s31
	v_mad_u64_u32 v[0:1], s[30:31], v3, s18, v[0:1]
	v_mov_b32_e32 v2, v1
	v_mad_u64_u32 v[2:3], s[30:31], v3, s19, v[2:3]
	s_lshl_b64 s[20:21], s[20:21], 3
	v_mov_b32_e32 v1, v2
	v_add_co_u32_e32 v0, vcc, v0, v6
	v_addc_co_u32_e32 v1, vcc, 0, v1, vcc
	s_waitcnt lgkmcnt(0)
	s_add_u32 s16, s16, s20
	v_lshlrev_b64 v[0:1], 3, v[0:1]
	s_addc_u32 s17, s17, s21
	v_mov_b32_e32 v2, s17
	v_add_co_u32_e32 v40, vcc, s16, v0
	v_addc_co_u32_e32 v41, vcc, v2, v1, vcc
	s_lshl_b64 s[16:17], s[18:19], 6
	v_mul_lo_u32 v2, s25, v4
	v_mul_lo_u32 v3, s24, v5
	v_mad_u64_u32 v[0:1], s[18:19], s24, v4, 0
	v_add3_u32 v1, v1, v3, v2
	s_load_dwordx2 s[22:23], s[22:23], 0x0
	v_lshlrev_b64 v[0:1], 3, v[0:1]
	s_lshl_b64 s[18:19], s[26:27], 3
	v_mov_b32_e32 v2, s19
	v_add_co_u32_e32 v0, vcc, s18, v0
	v_addc_co_u32_e32 v1, vcc, v1, v2, vcc
	v_add_co_u32_e32 v0, vcc, v0, v7
	v_addc_co_u32_e32 v1, vcc, 0, v1, vcc
	s_waitcnt lgkmcnt(0)
	v_mov_b32_e32 v2, s23
	v_add_co_u32_e32 v42, vcc, s22, v0
	v_lshlrev_b32_e32 v54, 3, v46
	v_addc_co_u32_e32 v43, vcc, v2, v1, vcc
	s_mov_b64 s[18:19], 0
	v_mov_b32_e32 v37, 0
	v_mov_b32_e32 v56, s17
	v_pk_mov_b32 v[44:45], s[12:13], s[12:13] op_sel:[0,1]
	v_mov_b32_e32 v39, 0
	v_mov_b32_e32 v38, 0
	;; [unrolled: 1-line block ×7, first 2 shown]
.LBB243_2:                              ; =>This Inner Loop Header: Depth=1
	global_load_dwordx2 v[0:1], v[40:41], off
	global_load_dwordx2 v[2:3], v[42:43], off
	v_add_co_u32_e32 v40, vcc, s16, v40
	v_addc_co_u32_e32 v41, vcc, v41, v56, vcc
	s_add_u32 s18, s18, 8
	v_add_co_u32_e32 v42, vcc, 64, v42
	v_addc_co_u32_e32 v43, vcc, 0, v43, vcc
	s_addc_u32 s19, s19, 0
	v_cmp_lt_i64_e32 vcc, s[18:19], v[44:45]
	s_and_b64 vcc, exec, vcc
	s_waitcnt vmcnt(1)
	ds_write_b64 v52, v[0:1]
	s_waitcnt vmcnt(0)
	ds_write_b64 v53, v[2:3]
	s_waitcnt lgkmcnt(0)
	s_barrier
	ds_read_b128 v[4:7], v55
	ds_read_b128 v[0:3], v55 offset:16
	ds_read2_b64 v[8:11], v54 offset1:16
	ds_read2_b64 v[12:15], v54 offset0:32 offset1:48
	ds_read2_b64 v[16:19], v54 offset0:64 offset1:80
	ds_read_b128 v[24:27], v55 offset:1024
	ds_read_b128 v[20:23], v55 offset:1040
	ds_read2_b64 v[28:31], v54 offset0:96 offset1:112
	ds_read2_b64 v[32:35], v54 offset0:128 offset1:144
	;; [unrolled: 1-line block ×3, first 2 shown]
	ds_read_b128 v[62:65], v55 offset:32
	ds_read_b128 v[66:69], v55 offset:48
	ds_read2_b64 v[70:73], v54 offset0:192 offset1:208
	ds_read_b128 v[74:77], v55 offset:1056
	ds_read_b128 v[78:81], v55 offset:1072
	s_waitcnt lgkmcnt(12)
	v_mul_f32_e32 v57, v5, v9
	v_mul_f32_e32 v82, v4, v9
	;; [unrolled: 1-line block ×4, first 2 shown]
	s_waitcnt lgkmcnt(9)
	v_mul_f32_e32 v85, v25, v9
	v_mul_f32_e32 v9, v24, v9
	;; [unrolled: 1-line block ×5, first 2 shown]
	v_fma_f32 v57, v4, v8, -v57
	v_fmac_f32_e32 v82, v5, v8
	v_fma_f32 v4, v4, v10, -v83
	v_fmac_f32_e32 v84, v5, v10
	v_fma_f32 v5, v24, v8, -v85
	v_fmac_f32_e32 v9, v25, v8
	v_fma_f32 v8, v24, v10, -v86
	v_fmac_f32_e32 v11, v25, v10
	v_mul_f32_e32 v10, v6, v15
	v_mul_f32_e32 v87, v7, v13
	;; [unrolled: 1-line block ×6, first 2 shown]
	v_fmac_f32_e32 v88, v7, v12
	v_fmac_f32_e32 v10, v7, v14
	v_mul_f32_e32 v7, v26, v15
	v_fma_f32 v83, v6, v12, -v87
	v_fma_f32 v6, v6, v14, -v89
	v_mul_f32_e32 v15, v1, v17
	v_mul_f32_e32 v85, v0, v17
	;; [unrolled: 1-line block ×3, first 2 shown]
	v_fma_f32 v24, v26, v12, -v24
	v_fmac_f32_e32 v13, v27, v12
	v_fma_f32 v12, v26, v14, -v25
	v_fmac_f32_e32 v7, v27, v14
	v_mul_f32_e32 v14, v0, v19
	s_waitcnt lgkmcnt(8)
	v_mul_f32_e32 v25, v21, v17
	v_mul_f32_e32 v17, v20, v17
	;; [unrolled: 1-line block ×4, first 2 shown]
	s_waitcnt lgkmcnt(7)
	v_mul_f32_e32 v27, v3, v29
	v_mul_f32_e32 v87, v2, v29
	;; [unrolled: 1-line block ×3, first 2 shown]
	v_fma_f32 v15, v0, v16, -v15
	v_fmac_f32_e32 v85, v1, v16
	v_fma_f32 v86, v0, v18, -v86
	v_fmac_f32_e32 v14, v1, v18
	;; [unrolled: 2-line block ×4, first 2 shown]
	v_mul_f32_e32 v18, v2, v31
	v_mul_f32_e32 v0, v23, v29
	;; [unrolled: 1-line block ×4, first 2 shown]
	v_fma_f32 v21, v2, v28, -v27
	v_mul_f32_e32 v27, v22, v31
	v_fmac_f32_e32 v87, v3, v28
	v_fma_f32 v26, v2, v30, -v89
	v_fmac_f32_e32 v18, v3, v30
	s_waitcnt lgkmcnt(4)
	v_mul_f32_e32 v2, v63, v33
	v_mul_f32_e32 v29, v62, v33
	;; [unrolled: 1-line block ×3, first 2 shown]
	v_fma_f32 v31, v22, v28, -v0
	v_fmac_f32_e32 v20, v23, v28
	v_fma_f32 v22, v22, v30, -v1
	v_fmac_f32_e32 v27, v23, v30
	v_mul_f32_e32 v23, v62, v35
	s_waitcnt lgkmcnt(1)
	v_mul_f32_e32 v0, v75, v33
	v_mul_f32_e32 v28, v74, v33
	;; [unrolled: 1-line block ×7, first 2 shown]
	v_fma_f32 v90, v62, v32, -v2
	v_fmac_f32_e32 v29, v63, v32
	v_fma_f32 v62, v62, v34, -v3
	v_fmac_f32_e32 v23, v63, v34
	;; [unrolled: 2-line block ×4, first 2 shown]
	v_mul_f32_e32 v34, v64, v61
	v_mul_f32_e32 v0, v77, v59
	;; [unrolled: 1-line block ×5, first 2 shown]
	v_fma_f32 v33, v64, v58, -v33
	v_fmac_f32_e32 v35, v65, v58
	v_fma_f32 v64, v64, v60, -v89
	v_fmac_f32_e32 v34, v65, v60
	v_mul_f32_e32 v2, v67, v71
	v_mul_f32_e32 v65, v66, v71
	;; [unrolled: 1-line block ×3, first 2 shown]
	v_fma_f32 v74, v76, v58, -v0
	v_fmac_f32_e32 v59, v77, v58
	v_fma_f32 v58, v76, v60, -v1
	v_fmac_f32_e32 v61, v77, v60
	v_mul_f32_e32 v60, v66, v73
	s_waitcnt lgkmcnt(0)
	v_mul_f32_e32 v0, v79, v71
	v_mul_f32_e32 v71, v78, v71
	;; [unrolled: 1-line block ×3, first 2 shown]
	v_fma_f32 v75, v66, v70, -v2
	v_fmac_f32_e32 v65, v67, v70
	v_fma_f32 v66, v66, v72, -v3
	v_fmac_f32_e32 v60, v67, v72
	;; [unrolled: 2-line block ×3, first 2 shown]
	v_fma_f32 v70, v78, v72, -v1
	ds_read2_b64 v[0:3], v54 offset0:224 offset1:240
	v_mul_f32_e32 v73, v78, v73
	v_fmac_f32_e32 v73, v79, v72
	v_add_f32_e32 v4, v48, v4
	v_add_f32_e32 v8, v39, v8
	s_waitcnt lgkmcnt(0)
	v_mul_f32_e32 v72, v69, v1
	v_mul_f32_e32 v77, v69, v3
	;; [unrolled: 1-line block ×3, first 2 shown]
	v_fma_f32 v72, v68, v0, -v72
	v_fma_f32 v77, v68, v2, -v77
	v_mul_f32_e32 v68, v68, v3
	v_fmac_f32_e32 v76, v69, v0
	v_fmac_f32_e32 v68, v69, v2
	v_mul_f32_e32 v69, v81, v1
	v_mul_f32_e32 v1, v80, v1
	;; [unrolled: 1-line block ×4, first 2 shown]
	v_fma_f32 v69, v80, v0, -v69
	v_fmac_f32_e32 v1, v81, v0
	v_fma_f32 v0, v80, v2, -v78
	v_fmac_f32_e32 v3, v81, v2
	v_add_f32_e32 v2, v36, v5
	v_add_f32_e32 v5, v38, v9
	;; [unrolled: 1-line block ×62, first 2 shown]
	s_barrier
	s_cbranch_vccnz .LBB243_2
	s_branch .LBB243_4
.LBB243_3:
	v_mov_b32_e32 v50, 0
	v_mov_b32_e32 v51, 0
	;; [unrolled: 1-line block ×8, first 2 shown]
.LBB243_4:
	s_lshl_b64 s[2:3], s[2:3], 3
	s_waitcnt lgkmcnt(0)
	s_add_u32 s8, s8, s2
	v_mov_b32_e32 v0, s29
	v_add_co_u32_e32 v4, vcc, s28, v47
	s_addc_u32 s9, s9, s3
	v_addc_co_u32_e32 v5, vcc, 0, v0, vcc
	s_or_b32 s2, s10, s11
	s_bitset0_b32 s2, 31
	v_mov_b32_e32 v1, s7
	v_add_co_u32_e32 v0, vcc, s6, v46
	s_cmp_lg_u32 s2, 0
	v_addc_co_u32_e32 v1, vcc, 0, v1, vcc
	s_cbranch_scc1 .LBB243_6
; %bb.5:
	v_mul_lo_u32 v6, v5, s0
	v_mul_lo_u32 v7, v4, s1
	v_mad_u64_u32 v[2:3], s[2:3], v4, s0, 0
	v_add3_u32 v3, v3, v7, v6
	v_lshlrev_b64 v[2:3], 3, v[2:3]
	v_mov_b32_e32 v6, s9
	v_add_co_u32_e32 v8, vcc, s8, v2
	v_addc_co_u32_e32 v9, vcc, v6, v3, vcc
	v_lshlrev_b64 v[6:7], 3, v[0:1]
	v_mul_f32_e32 v2, s15, v51
	v_mul_f32_e32 v3, s14, v51
	v_add_co_u32_e32 v6, vcc, v8, v6
	v_fma_f32 v2, v50, s14, -v2
	v_fmac_f32_e32 v3, s15, v50
	v_addc_co_u32_e32 v7, vcc, v9, v7, vcc
	global_store_dwordx2 v[6:7], v[2:3], off
	v_mul_f32_e32 v2, s15, v49
	v_mul_f32_e32 v3, s14, v49
	v_fma_f32 v2, v48, s14, -v2
	v_fmac_f32_e32 v3, s15, v48
	s_lshl_b64 s[2:3], s[0:1], 7
	global_store_dwordx2 v[6:7], v[2:3], off offset:128
	v_mul_f32_e32 v2, s15, v38
	v_mul_f32_e32 v3, s14, v38
	v_mov_b32_e32 v9, s3
	v_add_co_u32_e32 v8, vcc, s2, v6
	v_fma_f32 v2, v36, s14, -v2
	v_fmac_f32_e32 v3, s15, v36
	v_addc_co_u32_e32 v9, vcc, v7, v9, vcc
	global_store_dwordx2 v[8:9], v[2:3], off
	v_mul_f32_e32 v2, s15, v37
	v_fma_f32 v7, v39, s14, -v2
	v_mul_f32_e32 v6, s14, v37
	v_add_co_u32_e32 v2, vcc, 0x80, v8
	v_fmac_f32_e32 v6, s15, v39
	v_addc_co_u32_e32 v3, vcc, 0, v9, vcc
	global_store_dword v[8:9], v7, off offset:128
	s_cbranch_execz .LBB243_7
	s_branch .LBB243_8
.LBB243_6:
                                        ; implicit-def: $vgpr6
                                        ; implicit-def: $vgpr2_vgpr3
.LBB243_7:
	s_lshl_b64 s[2:3], s[40:41], 3
	s_add_u32 s4, s4, s2
	s_addc_u32 s5, s5, s3
	v_mul_lo_u32 v6, v5, s38
	v_mul_lo_u32 v7, v4, s39
	v_mad_u64_u32 v[2:3], s[2:3], v4, s38, 0
	v_add3_u32 v3, v3, v7, v6
	v_lshlrev_b64 v[2:3], 3, v[2:3]
	v_mov_b32_e32 v6, s5
	v_add_co_u32_e32 v2, vcc, s4, v2
	v_addc_co_u32_e32 v3, vcc, v6, v3, vcc
	v_lshlrev_b64 v[0:1], 3, v[0:1]
	v_add_co_u32_e32 v2, vcc, v2, v0
	v_addc_co_u32_e32 v3, vcc, v3, v1, vcc
	global_load_dwordx2 v[6:7], v[2:3], off
	v_mul_lo_u32 v8, v5, s0
	v_mul_lo_u32 v9, v4, s1
	v_mad_u64_u32 v[4:5], s[2:3], v4, s0, 0
	v_add3_u32 v5, v5, v9, v8
	v_lshlrev_b64 v[4:5], 3, v[4:5]
	v_mov_b32_e32 v10, s9
	v_add_co_u32_e32 v4, vcc, s8, v4
	v_addc_co_u32_e32 v5, vcc, v10, v5, vcc
	v_add_co_u32_e32 v0, vcc, v4, v0
	v_mul_f32_e32 v11, s15, v51
	v_mul_f32_e32 v12, s14, v51
	v_addc_co_u32_e32 v1, vcc, v5, v1, vcc
	v_fma_f32 v8, v50, s14, -v11
	v_fmac_f32_e32 v12, s15, v50
	s_lshl_b64 s[2:3], s[38:39], 7
	s_lshl_b64 s[0:1], s[0:1], 7
	s_waitcnt vmcnt(0)
	v_mul_f32_e32 v4, s11, v7
	v_mul_f32_e32 v5, s10, v7
	v_fma_f32 v4, v6, s10, -v4
	v_fmac_f32_e32 v5, s11, v6
	v_add_f32_e32 v4, v8, v4
	v_add_f32_e32 v5, v12, v5
	global_store_dwordx2 v[0:1], v[4:5], off
	global_load_dwordx2 v[4:5], v[2:3], off offset:128
	v_mov_b32_e32 v8, s3
	v_add_co_u32_e32 v2, vcc, s2, v2
	v_mul_f32_e32 v6, s15, v49
	v_mul_f32_e32 v7, s14, v49
	v_addc_co_u32_e32 v3, vcc, v3, v8, vcc
	v_fma_f32 v6, v48, s14, -v6
	v_fmac_f32_e32 v7, s15, v48
	s_waitcnt vmcnt(0)
	v_mul_f32_e32 v8, s11, v5
	v_mul_f32_e32 v5, s10, v5
	v_fma_f32 v8, v4, s10, -v8
	v_fmac_f32_e32 v5, s11, v4
	v_add_f32_e32 v4, v6, v8
	v_add_f32_e32 v5, v7, v5
	global_store_dwordx2 v[0:1], v[4:5], off offset:128
	global_load_dwordx2 v[4:5], v[2:3], off
	v_pk_mul_f32 v[6:7], v[38:39], s[14:15] op_sel_hi:[0,1]
	v_pk_fma_f32 v[8:9], v[36:37], s[14:15], v[6:7] op_sel:[0,0,1] op_sel_hi:[1,1,0] neg_lo:[0,0,1] neg_hi:[0,0,1]
	v_pk_fma_f32 v[6:7], v[36:37], s[14:15], v[6:7] op_sel:[0,0,1] op_sel_hi:[0,1,0]
	v_mov_b32_e32 v6, s1
	v_add_co_u32_e32 v0, vcc, s0, v0
	v_mov_b32_e32 v9, v7
	v_addc_co_u32_e32 v1, vcc, v1, v6, vcc
	s_waitcnt vmcnt(0)
	v_pk_mul_f32 v[6:7], v[4:5], s[10:11] op_sel:[0,1]
	v_pk_fma_f32 v[10:11], v[4:5], s[10:11], v[6:7] op_sel:[0,0,1] op_sel_hi:[1,1,0] neg_lo:[0,0,1] neg_hi:[0,0,1]
	v_pk_fma_f32 v[4:5], v[4:5], s[10:11], v[6:7] op_sel:[0,0,1] op_sel_hi:[1,0,0]
	v_mov_b32_e32 v11, v5
	v_pk_add_f32 v[4:5], v[8:9], v[10:11]
	global_store_dwordx2 v[0:1], v[4:5], off
	global_load_dwordx2 v[4:5], v[2:3], off offset:128
	v_mul_f32_e32 v2, s15, v37
	v_mul_f32_e32 v3, s14, v37
	v_fma_f32 v8, v39, s14, -v2
	v_fmac_f32_e32 v3, s15, v39
	v_add_co_u32_e32 v2, vcc, 0x80, v0
	s_waitcnt vmcnt(0)
	v_mul_f32_e32 v9, s10, v4
	v_pk_mul_f32 v[6:7], v[4:5], s[10:11] op_sel:[0,1] op_sel_hi:[1,0]
	v_fma_f32 v4, -v5, s11, v9
	v_add_f32_e32 v5, v6, v7
	v_add_f32_e32 v4, v8, v4
	;; [unrolled: 1-line block ×3, first 2 shown]
	v_addc_co_u32_e32 v3, vcc, 0, v1, vcc
	global_store_dword v[0:1], v4, off offset:128
.LBB243_8:
	global_store_dword v[2:3], v6, off offset:4
	s_endpgm
	.section	.rodata,"a",@progbits
	.p2align	6, 0x0
	.amdhsa_kernel _ZN12_GLOBAL__N_127rocblas_gemm_batched_kernelI19rocblas_complex_numIfELi16ELi16ELi32ELi32ELi8ELi32ELi8ELi8ELi32ELc78ELc78EKPKS2_S5_KPS2_EEvlllT_PT11_llSA_llS8_PT12_llPT13_lli
		.amdhsa_group_segment_fixed_size 4096
		.amdhsa_private_segment_fixed_size 0
		.amdhsa_kernarg_size 140
		.amdhsa_user_sgpr_count 6
		.amdhsa_user_sgpr_private_segment_buffer 1
		.amdhsa_user_sgpr_dispatch_ptr 0
		.amdhsa_user_sgpr_queue_ptr 0
		.amdhsa_user_sgpr_kernarg_segment_ptr 1
		.amdhsa_user_sgpr_dispatch_id 0
		.amdhsa_user_sgpr_flat_scratch_init 0
		.amdhsa_user_sgpr_kernarg_preload_length 0
		.amdhsa_user_sgpr_kernarg_preload_offset 0
		.amdhsa_user_sgpr_private_segment_size 0
		.amdhsa_uses_dynamic_stack 0
		.amdhsa_system_sgpr_private_segment_wavefront_offset 0
		.amdhsa_system_sgpr_workgroup_id_x 1
		.amdhsa_system_sgpr_workgroup_id_y 1
		.amdhsa_system_sgpr_workgroup_id_z 1
		.amdhsa_system_sgpr_workgroup_info 0
		.amdhsa_system_vgpr_workitem_id 1
		.amdhsa_next_free_vgpr 91
		.amdhsa_next_free_sgpr 44
		.amdhsa_accum_offset 92
		.amdhsa_reserve_vcc 1
		.amdhsa_reserve_flat_scratch 0
		.amdhsa_float_round_mode_32 0
		.amdhsa_float_round_mode_16_64 0
		.amdhsa_float_denorm_mode_32 3
		.amdhsa_float_denorm_mode_16_64 3
		.amdhsa_dx10_clamp 1
		.amdhsa_ieee_mode 1
		.amdhsa_fp16_overflow 0
		.amdhsa_tg_split 0
		.amdhsa_exception_fp_ieee_invalid_op 0
		.amdhsa_exception_fp_denorm_src 0
		.amdhsa_exception_fp_ieee_div_zero 0
		.amdhsa_exception_fp_ieee_overflow 0
		.amdhsa_exception_fp_ieee_underflow 0
		.amdhsa_exception_fp_ieee_inexact 0
		.amdhsa_exception_int_div_zero 0
	.end_amdhsa_kernel
	.section	.text._ZN12_GLOBAL__N_127rocblas_gemm_batched_kernelI19rocblas_complex_numIfELi16ELi16ELi32ELi32ELi8ELi32ELi8ELi8ELi32ELc78ELc78EKPKS2_S5_KPS2_EEvlllT_PT11_llSA_llS8_PT12_llPT13_lli,"axG",@progbits,_ZN12_GLOBAL__N_127rocblas_gemm_batched_kernelI19rocblas_complex_numIfELi16ELi16ELi32ELi32ELi8ELi32ELi8ELi8ELi32ELc78ELc78EKPKS2_S5_KPS2_EEvlllT_PT11_llSA_llS8_PT12_llPT13_lli,comdat
.Lfunc_end243:
	.size	_ZN12_GLOBAL__N_127rocblas_gemm_batched_kernelI19rocblas_complex_numIfELi16ELi16ELi32ELi32ELi8ELi32ELi8ELi8ELi32ELc78ELc78EKPKS2_S5_KPS2_EEvlllT_PT11_llSA_llS8_PT12_llPT13_lli, .Lfunc_end243-_ZN12_GLOBAL__N_127rocblas_gemm_batched_kernelI19rocblas_complex_numIfELi16ELi16ELi32ELi32ELi8ELi32ELi8ELi8ELi32ELc78ELc78EKPKS2_S5_KPS2_EEvlllT_PT11_llSA_llS8_PT12_llPT13_lli
                                        ; -- End function
	.section	.AMDGPU.csdata,"",@progbits
; Kernel info:
; codeLenInByte = 2396
; NumSgprs: 48
; NumVgprs: 91
; NumAgprs: 0
; TotalNumVgprs: 91
; ScratchSize: 0
; MemoryBound: 0
; FloatMode: 240
; IeeeMode: 1
; LDSByteSize: 4096 bytes/workgroup (compile time only)
; SGPRBlocks: 5
; VGPRBlocks: 11
; NumSGPRsForWavesPerEU: 48
; NumVGPRsForWavesPerEU: 91
; AccumOffset: 92
; Occupancy: 5
; WaveLimiterHint : 1
; COMPUTE_PGM_RSRC2:SCRATCH_EN: 0
; COMPUTE_PGM_RSRC2:USER_SGPR: 6
; COMPUTE_PGM_RSRC2:TRAP_HANDLER: 0
; COMPUTE_PGM_RSRC2:TGID_X_EN: 1
; COMPUTE_PGM_RSRC2:TGID_Y_EN: 1
; COMPUTE_PGM_RSRC2:TGID_Z_EN: 1
; COMPUTE_PGM_RSRC2:TIDIG_COMP_CNT: 1
; COMPUTE_PGM_RSRC3_GFX90A:ACCUM_OFFSET: 22
; COMPUTE_PGM_RSRC3_GFX90A:TG_SPLIT: 0
	.section	.text._ZN12_GLOBAL__N_127rocblas_gemm_batched_kernelI19rocblas_complex_numIfELi16ELi16ELi32ELi32ELi8ELi32ELi8ELi8ELi32ELc84ELc78EKPKS2_S5_KPS2_EEvlllT_PT11_llSA_llS8_PT12_llPT13_lli,"axG",@progbits,_ZN12_GLOBAL__N_127rocblas_gemm_batched_kernelI19rocblas_complex_numIfELi16ELi16ELi32ELi32ELi8ELi32ELi8ELi8ELi32ELc84ELc78EKPKS2_S5_KPS2_EEvlllT_PT11_llSA_llS8_PT12_llPT13_lli,comdat
	.globl	_ZN12_GLOBAL__N_127rocblas_gemm_batched_kernelI19rocblas_complex_numIfELi16ELi16ELi32ELi32ELi8ELi32ELi8ELi8ELi32ELc84ELc78EKPKS2_S5_KPS2_EEvlllT_PT11_llSA_llS8_PT12_llPT13_lli ; -- Begin function _ZN12_GLOBAL__N_127rocblas_gemm_batched_kernelI19rocblas_complex_numIfELi16ELi16ELi32ELi32ELi8ELi32ELi8ELi8ELi32ELc84ELc78EKPKS2_S5_KPS2_EEvlllT_PT11_llSA_llS8_PT12_llPT13_lli
	.p2align	8
	.type	_ZN12_GLOBAL__N_127rocblas_gemm_batched_kernelI19rocblas_complex_numIfELi16ELi16ELi32ELi32ELi8ELi32ELi8ELi8ELi32ELc84ELc78EKPKS2_S5_KPS2_EEvlllT_PT11_llSA_llS8_PT12_llPT13_lli,@function
_ZN12_GLOBAL__N_127rocblas_gemm_batched_kernelI19rocblas_complex_numIfELi16ELi16ELi32ELi32ELi8ELi32ELi8ELi8ELi32ELc84ELc78EKPKS2_S5_KPS2_EEvlllT_PT11_llSA_llS8_PT12_llPT13_lli: ; @_ZN12_GLOBAL__N_127rocblas_gemm_batched_kernelI19rocblas_complex_numIfELi16ELi16ELi32ELi32ELi8ELi32ELi8ELi8ELi32ELc84ELc78EKPKS2_S5_KPS2_EEvlllT_PT11_llSA_llS8_PT12_llPT13_lli
; %bb.0:
	s_load_dwordx16 s[12:27], s[4:5], 0x10
	s_load_dwordx4 s[0:3], s[4:5], 0x78
	s_load_dwordx8 s[36:43], s[4:5], 0x58
	s_load_dwordx2 s[10:11], s[4:5], 0x50
	s_mov_b32 s9, 0
	s_lshl_b64 s[30:31], s[8:9], 3
	s_mov_b32 s28, s7
	s_waitcnt lgkmcnt(0)
	s_add_u32 s4, s36, s30
	s_addc_u32 s5, s37, s31
	s_add_u32 s8, s42, s30
	s_addc_u32 s9, s43, s31
	s_load_dwordx2 s[4:5], s[4:5], 0x0
	s_ashr_i32 s7, s6, 31
	s_load_dwordx2 s[8:9], s[8:9], 0x0
	s_ashr_i32 s29, s28, 31
	v_cmp_lt_i64_e64 s[34:35], s[12:13], 1
	v_bfe_u32 v16, v0, 10, 10
	v_and_b32_e32 v14, 0x3ff, v0
	s_lshl_b64 s[6:7], s[6:7], 5
	s_lshl_b64 s[28:29], s[28:29], 5
	s_and_b64 vcc, exec, s[34:35]
	s_cbranch_vccnz .LBB244_3
; %bb.1:
	v_lshl_add_u32 v0, v16, 4, v14
	v_and_b32_e32 v4, 7, v14
	v_and_b32_e32 v5, 31, v0
	v_lshrrev_b32_e32 v1, 3, v0
	v_lshrrev_b32_e32 v6, 5, v0
	v_lshlrev_b32_e32 v0, 3, v5
	v_lshlrev_b32_e32 v7, 3, v4
	v_mov_b32_e32 v2, s29
	v_add_co_u32_e32 v3, vcc, s28, v1
	v_lshl_or_b32 v20, v6, 8, v0
	v_lshl_or_b32 v0, v1, 6, v7
	v_addc_co_u32_e32 v2, vcc, 0, v2, vcc
	v_add_u32_e32 v21, 0x800, v0
	v_mov_b32_e32 v0, 0x800
	v_lshl_add_u32 v23, v16, 6, v0
	v_mov_b32_e32 v0, s7
	v_add_co_u32_e32 v1, vcc, s6, v5
	s_add_u32 s16, s16, s30
	v_addc_co_u32_e32 v0, vcc, 0, v0, vcc
	s_addc_u32 s17, s17, s31
	v_mul_lo_u32 v4, s19, v1
	v_mul_lo_u32 v5, s18, v0
	v_mad_u64_u32 v[0:1], s[18:19], s18, v1, 0
	s_add_u32 s22, s22, s30
	v_add3_u32 v1, v1, v5, v4
	s_load_dwordx2 s[16:17], s[16:17], 0x0
	s_addc_u32 s23, s23, s31
	v_lshlrev_b64 v[0:1], 3, v[0:1]
	s_lshl_b64 s[18:19], s[20:21], 3
	v_mov_b32_e32 v4, s19
	v_add_co_u32_e32 v0, vcc, s18, v0
	v_addc_co_u32_e32 v1, vcc, v1, v4, vcc
	v_lshlrev_b32_e32 v4, 3, v6
	v_add_co_u32_e32 v0, vcc, v0, v4
	v_addc_co_u32_e32 v1, vcc, 0, v1, vcc
	s_waitcnt lgkmcnt(0)
	v_mov_b32_e32 v5, s17
	v_add_co_u32_e32 v4, vcc, s16, v0
	v_addc_co_u32_e32 v5, vcc, v5, v1, vcc
	v_mul_lo_u32 v6, s25, v3
	v_mul_lo_u32 v2, s24, v2
	v_mad_u64_u32 v[0:1], s[16:17], s24, v3, 0
	v_add3_u32 v1, v1, v2, v6
	s_load_dwordx2 s[22:23], s[22:23], 0x0
	v_lshlrev_b64 v[0:1], 3, v[0:1]
	s_lshl_b64 s[16:17], s[26:27], 3
	v_mov_b32_e32 v2, s17
	v_add_co_u32_e32 v0, vcc, s16, v0
	v_addc_co_u32_e32 v1, vcc, v1, v2, vcc
	v_add_co_u32_e32 v0, vcc, v0, v7
	v_addc_co_u32_e32 v1, vcc, 0, v1, vcc
	s_waitcnt lgkmcnt(0)
	v_mov_b32_e32 v2, s23
	v_add_co_u32_e32 v6, vcc, s22, v0
	v_lshlrev_b32_e32 v22, 3, v14
	v_addc_co_u32_e32 v7, vcc, v2, v1, vcc
	s_mov_b64 s[16:17], 0
	v_mov_b32_e32 v1, 0
	v_pk_mov_b32 v[8:9], s[12:13], s[12:13] op_sel:[0,1]
	v_mov_b32_e32 v3, 0
	v_mov_b32_e32 v2, 0
	;; [unrolled: 1-line block ×7, first 2 shown]
.LBB244_2:                              ; =>This Inner Loop Header: Depth=1
	global_load_dwordx2 v[10:11], v[4:5], off
	global_load_dwordx2 v[12:13], v[6:7], off
	v_add_co_u32_e32 v4, vcc, 64, v4
	v_addc_co_u32_e32 v5, vcc, 0, v5, vcc
	s_add_u32 s16, s16, 8
	v_add_co_u32_e32 v6, vcc, 64, v6
	v_addc_co_u32_e32 v7, vcc, 0, v7, vcc
	s_addc_u32 s17, s17, 0
	v_cmp_lt_i64_e32 vcc, s[16:17], v[8:9]
	s_and_b64 vcc, exec, vcc
	s_waitcnt vmcnt(1)
	ds_write_b64 v20, v[10:11]
	s_waitcnt vmcnt(0)
	ds_write_b64 v21, v[12:13]
	s_waitcnt lgkmcnt(0)
	s_barrier
	ds_read_b128 v[10:13], v23
	ds_read_b128 v[24:27], v23 offset:16
	ds_read2_b64 v[28:31], v22 offset1:16
	ds_read2_b64 v[32:35], v22 offset0:32 offset1:48
	ds_read2_b64 v[36:39], v22 offset0:64 offset1:80
	ds_read_b128 v[40:43], v23 offset:1024
	ds_read_b128 v[44:47], v23 offset:1040
	ds_read2_b64 v[48:51], v22 offset0:96 offset1:112
	ds_read2_b64 v[52:55], v22 offset0:128 offset1:144
	;; [unrolled: 1-line block ×3, first 2 shown]
	ds_read_b128 v[60:63], v23 offset:32
	ds_read_b128 v[64:67], v23 offset:48
	ds_read2_b64 v[68:71], v22 offset0:192 offset1:208
	ds_read_b128 v[72:75], v23 offset:1056
	ds_read_b128 v[76:79], v23 offset:1072
	ds_read2_b64 v[80:83], v22 offset0:224 offset1:240
	s_waitcnt lgkmcnt(13)
	v_mul_f32_e32 v84, v11, v29
	v_mul_f32_e32 v85, v10, v29
	;; [unrolled: 1-line block ×4, first 2 shown]
	s_waitcnt lgkmcnt(10)
	v_mul_f32_e32 v88, v41, v29
	v_mul_f32_e32 v29, v40, v29
	;; [unrolled: 1-line block ×4, first 2 shown]
	v_fma_f32 v84, v10, v28, -v84
	v_fmac_f32_e32 v85, v11, v28
	v_fma_f32 v10, v10, v30, -v86
	v_fmac_f32_e32 v87, v11, v30
	;; [unrolled: 2-line block ×4, first 2 shown]
	v_mul_f32_e32 v30, v13, v33
	v_mul_f32_e32 v40, v12, v33
	;; [unrolled: 1-line block ×4, first 2 shown]
	v_fma_f32 v30, v12, v32, -v30
	v_fmac_f32_e32 v40, v13, v32
	v_fma_f32 v12, v12, v34, -v41
	v_fmac_f32_e32 v86, v13, v34
	v_mul_f32_e32 v13, v43, v33
	v_mul_f32_e32 v33, v42, v33
	;; [unrolled: 1-line block ×4, first 2 shown]
	v_fma_f32 v13, v42, v32, -v13
	v_fmac_f32_e32 v33, v43, v32
	v_fma_f32 v32, v42, v34, -v41
	v_fmac_f32_e32 v35, v43, v34
	v_mul_f32_e32 v34, v25, v37
	v_mul_f32_e32 v41, v24, v37
	;; [unrolled: 1-line block ×4, first 2 shown]
	s_waitcnt lgkmcnt(9)
	v_mul_f32_e32 v88, v45, v37
	v_mul_f32_e32 v37, v44, v37
	;; [unrolled: 1-line block ×4, first 2 shown]
	v_fma_f32 v34, v24, v36, -v34
	v_fmac_f32_e32 v41, v25, v36
	v_fma_f32 v24, v24, v38, -v42
	v_fmac_f32_e32 v43, v25, v38
	;; [unrolled: 2-line block ×4, first 2 shown]
	s_waitcnt lgkmcnt(8)
	v_mul_f32_e32 v38, v27, v49
	v_mul_f32_e32 v42, v26, v49
	;; [unrolled: 1-line block ×4, first 2 shown]
	v_fma_f32 v38, v26, v48, -v38
	v_fmac_f32_e32 v42, v27, v48
	v_fma_f32 v26, v26, v50, -v44
	v_fmac_f32_e32 v45, v27, v50
	v_mul_f32_e32 v27, v47, v49
	v_mul_f32_e32 v44, v46, v49
	v_mul_f32_e32 v49, v47, v51
	v_mul_f32_e32 v51, v46, v51
	v_fma_f32 v27, v46, v48, -v27
	v_fmac_f32_e32 v44, v47, v48
	v_fma_f32 v46, v46, v50, -v49
	v_fmac_f32_e32 v51, v47, v50
	s_waitcnt lgkmcnt(5)
	v_mul_f32_e32 v47, v61, v53
	v_mul_f32_e32 v48, v60, v53
	;; [unrolled: 1-line block ×4, first 2 shown]
	s_waitcnt lgkmcnt(2)
	v_mul_f32_e32 v88, v73, v53
	v_mul_f32_e32 v53, v72, v53
	v_mul_f32_e32 v89, v73, v55
	v_mul_f32_e32 v55, v72, v55
	v_add_f32_e32 v0, v0, v11
	v_add_f32_e32 v2, v2, v29
	;; [unrolled: 1-line block ×8, first 2 shown]
	v_fma_f32 v47, v60, v52, -v47
	v_fmac_f32_e32 v48, v61, v52
	v_fma_f32 v49, v60, v54, -v49
	v_fmac_f32_e32 v50, v61, v54
	;; [unrolled: 2-line block ×4, first 2 shown]
	v_mul_f32_e32 v54, v63, v57
	v_mul_f32_e32 v61, v62, v57
	;; [unrolled: 1-line block ×4, first 2 shown]
	v_add_f32_e32 v11, v11, v30
	v_add_f32_e32 v17, v18, v40
	;; [unrolled: 1-line block ×8, first 2 shown]
	v_fma_f32 v54, v62, v56, -v54
	v_fmac_f32_e32 v61, v63, v56
	v_fma_f32 v62, v62, v58, -v72
	v_fmac_f32_e32 v73, v63, v58
	v_mul_f32_e32 v63, v75, v57
	v_mul_f32_e32 v57, v74, v57
	;; [unrolled: 1-line block ×4, first 2 shown]
	v_add_f32_e32 v11, v11, v34
	v_add_f32_e32 v13, v17, v41
	;; [unrolled: 1-line block ×8, first 2 shown]
	v_fma_f32 v63, v74, v56, -v63
	v_fmac_f32_e32 v57, v75, v56
	v_fma_f32 v56, v74, v58, -v72
	v_fmac_f32_e32 v59, v75, v58
	v_mul_f32_e32 v58, v65, v69
	v_mul_f32_e32 v72, v64, v69
	;; [unrolled: 1-line block ×4, first 2 shown]
	s_waitcnt lgkmcnt(1)
	v_mul_f32_e32 v88, v77, v69
	v_mul_f32_e32 v69, v76, v69
	;; [unrolled: 1-line block ×4, first 2 shown]
	v_add_f32_e32 v11, v11, v38
	v_add_f32_e32 v13, v13, v42
	;; [unrolled: 1-line block ×8, first 2 shown]
	v_fma_f32 v58, v64, v68, -v58
	v_fmac_f32_e32 v72, v65, v68
	v_fma_f32 v64, v64, v70, -v74
	v_fmac_f32_e32 v75, v65, v70
	;; [unrolled: 2-line block ×4, first 2 shown]
	s_waitcnt lgkmcnt(0)
	v_mul_f32_e32 v70, v67, v81
	v_mul_f32_e32 v74, v66, v81
	;; [unrolled: 1-line block ×4, first 2 shown]
	v_add_f32_e32 v11, v11, v47
	v_add_f32_e32 v13, v13, v48
	;; [unrolled: 1-line block ×8, first 2 shown]
	v_fma_f32 v70, v66, v80, -v70
	v_fmac_f32_e32 v74, v67, v80
	v_fma_f32 v66, v66, v82, -v76
	v_fmac_f32_e32 v77, v67, v82
	v_mul_f32_e32 v67, v79, v81
	v_mul_f32_e32 v76, v78, v81
	;; [unrolled: 1-line block ×4, first 2 shown]
	v_add_f32_e32 v11, v11, v54
	v_add_f32_e32 v13, v13, v61
	;; [unrolled: 1-line block ×8, first 2 shown]
	v_fma_f32 v67, v78, v80, -v67
	v_fmac_f32_e32 v76, v79, v80
	v_fma_f32 v78, v78, v82, -v81
	v_fmac_f32_e32 v83, v79, v82
	v_add_f32_e32 v11, v11, v58
	v_add_f32_e32 v13, v13, v72
	v_add_f32_e32 v10, v10, v64
	v_add_f32_e32 v12, v12, v75
	v_add_f32_e32 v0, v0, v65
	v_add_f32_e32 v2, v2, v69
	v_add_f32_e32 v3, v3, v68
	v_add_f32_e32 v1, v1, v71
	v_add_f32_e32 v18, v11, v70
	v_add_f32_e32 v19, v13, v74
	v_add_f32_e32 v15, v10, v66
	v_add_f32_e32 v17, v12, v77
	v_add_f32_e32 v0, v0, v67
	v_add_f32_e32 v2, v2, v76
	v_add_f32_e32 v3, v3, v78
	v_add_f32_e32 v1, v1, v83
	s_barrier
	s_cbranch_vccnz .LBB244_2
	s_branch .LBB244_4
.LBB244_3:
	v_mov_b32_e32 v18, 0
	v_mov_b32_e32 v19, 0
	;; [unrolled: 1-line block ×8, first 2 shown]
.LBB244_4:
	s_lshl_b64 s[2:3], s[2:3], 3
	s_waitcnt lgkmcnt(0)
	s_add_u32 s8, s8, s2
	v_mov_b32_e32 v4, s29
	v_add_co_u32_e32 v8, vcc, s28, v16
	s_addc_u32 s9, s9, s3
	v_addc_co_u32_e32 v9, vcc, 0, v4, vcc
	s_or_b32 s2, s10, s11
	s_bitset0_b32 s2, 31
	v_mov_b32_e32 v5, s7
	v_add_co_u32_e32 v4, vcc, s6, v14
	s_cmp_lg_u32 s2, 0
	v_addc_co_u32_e32 v5, vcc, 0, v5, vcc
	s_cbranch_scc1 .LBB244_6
; %bb.5:
	v_mul_lo_u32 v10, v9, s0
	v_mul_lo_u32 v11, v8, s1
	v_mad_u64_u32 v[6:7], s[2:3], v8, s0, 0
	v_add3_u32 v7, v7, v11, v10
	v_lshlrev_b64 v[6:7], 3, v[6:7]
	v_mov_b32_e32 v10, s9
	v_add_co_u32_e32 v12, vcc, s8, v6
	v_addc_co_u32_e32 v13, vcc, v10, v7, vcc
	v_lshlrev_b64 v[10:11], 3, v[4:5]
	v_mul_f32_e32 v6, s15, v19
	v_mul_f32_e32 v7, s14, v19
	v_add_co_u32_e32 v10, vcc, v12, v10
	v_fma_f32 v6, v18, s14, -v6
	v_fmac_f32_e32 v7, s15, v18
	v_addc_co_u32_e32 v11, vcc, v13, v11, vcc
	global_store_dwordx2 v[10:11], v[6:7], off
	v_mul_f32_e32 v6, s15, v17
	v_mul_f32_e32 v7, s14, v17
	v_fma_f32 v6, v15, s14, -v6
	v_fmac_f32_e32 v7, s15, v15
	s_lshl_b64 s[2:3], s[0:1], 7
	global_store_dwordx2 v[10:11], v[6:7], off offset:128
	v_mul_f32_e32 v6, s15, v2
	v_mul_f32_e32 v7, s14, v2
	v_mov_b32_e32 v13, s3
	v_add_co_u32_e32 v12, vcc, s2, v10
	v_fma_f32 v6, v0, s14, -v6
	v_fmac_f32_e32 v7, s15, v0
	v_addc_co_u32_e32 v13, vcc, v11, v13, vcc
	global_store_dwordx2 v[12:13], v[6:7], off
	v_mul_f32_e32 v6, s15, v1
	v_fma_f32 v11, v3, s14, -v6
	v_mul_f32_e32 v10, s14, v1
	v_add_co_u32_e32 v6, vcc, 0x80, v12
	v_fmac_f32_e32 v10, s15, v3
	v_addc_co_u32_e32 v7, vcc, 0, v13, vcc
	global_store_dword v[12:13], v11, off offset:128
	s_cbranch_execz .LBB244_7
	s_branch .LBB244_8
.LBB244_6:
                                        ; implicit-def: $vgpr10
                                        ; implicit-def: $vgpr6_vgpr7
.LBB244_7:
	s_lshl_b64 s[2:3], s[40:41], 3
	s_add_u32 s4, s4, s2
	s_addc_u32 s5, s5, s3
	v_mul_lo_u32 v10, v9, s38
	v_mul_lo_u32 v11, v8, s39
	v_mad_u64_u32 v[6:7], s[2:3], v8, s38, 0
	v_add3_u32 v7, v7, v11, v10
	v_lshlrev_b64 v[6:7], 3, v[6:7]
	v_mov_b32_e32 v10, s5
	v_add_co_u32_e32 v6, vcc, s4, v6
	v_addc_co_u32_e32 v7, vcc, v10, v7, vcc
	v_lshlrev_b64 v[4:5], 3, v[4:5]
	v_add_co_u32_e32 v6, vcc, v6, v4
	v_addc_co_u32_e32 v7, vcc, v7, v5, vcc
	global_load_dwordx2 v[10:11], v[6:7], off
	v_mul_lo_u32 v12, v9, s0
	v_mul_lo_u32 v13, v8, s1
	v_mad_u64_u32 v[8:9], s[2:3], v8, s0, 0
	v_add3_u32 v9, v9, v13, v12
	v_lshlrev_b64 v[8:9], 3, v[8:9]
	v_mov_b32_e32 v14, s9
	v_add_co_u32_e32 v8, vcc, s8, v8
	v_addc_co_u32_e32 v9, vcc, v14, v9, vcc
	v_add_co_u32_e32 v4, vcc, v8, v4
	v_mul_f32_e32 v16, s15, v19
	v_mul_f32_e32 v19, s14, v19
	v_addc_co_u32_e32 v5, vcc, v9, v5, vcc
	v_fma_f32 v12, v18, s14, -v16
	v_fmac_f32_e32 v19, s15, v18
	s_lshl_b64 s[2:3], s[38:39], 7
	s_lshl_b64 s[0:1], s[0:1], 7
	s_waitcnt vmcnt(0)
	v_mul_f32_e32 v8, s11, v11
	v_mul_f32_e32 v9, s10, v11
	v_fma_f32 v8, v10, s10, -v8
	v_fmac_f32_e32 v9, s11, v10
	v_add_f32_e32 v8, v12, v8
	v_add_f32_e32 v9, v19, v9
	global_store_dwordx2 v[4:5], v[8:9], off
	global_load_dwordx2 v[8:9], v[6:7], off offset:128
	v_mov_b32_e32 v12, s3
	v_add_co_u32_e32 v6, vcc, s2, v6
	v_mul_f32_e32 v10, s15, v17
	v_mul_f32_e32 v11, s14, v17
	v_addc_co_u32_e32 v7, vcc, v7, v12, vcc
	v_fma_f32 v10, v15, s14, -v10
	v_fmac_f32_e32 v11, s15, v15
	s_waitcnt vmcnt(0)
	v_mul_f32_e32 v12, s11, v9
	v_mul_f32_e32 v9, s10, v9
	v_fma_f32 v12, v8, s10, -v12
	v_fmac_f32_e32 v9, s11, v8
	v_add_f32_e32 v8, v10, v12
	v_add_f32_e32 v9, v11, v9
	global_store_dwordx2 v[4:5], v[8:9], off offset:128
	global_load_dwordx2 v[8:9], v[6:7], off
	v_pk_mul_f32 v[10:11], v[2:3], s[14:15] op_sel_hi:[0,1]
	v_pk_fma_f32 v[12:13], v[0:1], s[14:15], v[10:11] op_sel:[0,0,1] op_sel_hi:[1,1,0] neg_lo:[0,0,1] neg_hi:[0,0,1]
	v_pk_fma_f32 v[10:11], v[0:1], s[14:15], v[10:11] op_sel:[0,0,1] op_sel_hi:[0,1,0]
	v_mov_b32_e32 v13, v11
	v_mov_b32_e32 v0, s1
	v_add_co_u32_e32 v4, vcc, s0, v4
	v_addc_co_u32_e32 v5, vcc, v5, v0, vcc
	v_mul_f32_e32 v0, s15, v1
	v_mul_f32_e32 v2, s14, v1
	v_fmac_f32_e32 v2, s15, v3
	s_waitcnt vmcnt(0)
	v_pk_mul_f32 v[10:11], v[8:9], s[10:11] op_sel:[0,1]
	v_pk_fma_f32 v[14:15], v[8:9], s[10:11], v[10:11] op_sel:[0,0,1] op_sel_hi:[1,1,0] neg_lo:[0,0,1] neg_hi:[0,0,1]
	v_pk_fma_f32 v[8:9], v[8:9], s[10:11], v[10:11] op_sel:[0,0,1] op_sel_hi:[1,0,0]
	v_mov_b32_e32 v15, v9
	v_pk_add_f32 v[8:9], v[12:13], v[14:15]
	global_store_dwordx2 v[4:5], v[8:9], off
	global_load_dwordx2 v[8:9], v[6:7], off offset:128
	v_fma_f32 v7, v3, s14, -v0
	v_add_co_u32_e32 v6, vcc, 0x80, v4
	s_waitcnt vmcnt(0)
	v_mul_f32_e32 v3, s10, v8
	v_pk_mul_f32 v[0:1], v[8:9], s[10:11] op_sel:[0,1] op_sel_hi:[1,0]
	v_fma_f32 v3, -v9, s11, v3
	v_add_f32_e32 v0, v0, v1
	v_add_f32_e32 v1, v7, v3
	;; [unrolled: 1-line block ×3, first 2 shown]
	v_addc_co_u32_e32 v7, vcc, 0, v5, vcc
	global_store_dword v[4:5], v1, off offset:128
.LBB244_8:
	global_store_dword v[6:7], v10, off offset:4
	s_endpgm
	.section	.rodata,"a",@progbits
	.p2align	6, 0x0
	.amdhsa_kernel _ZN12_GLOBAL__N_127rocblas_gemm_batched_kernelI19rocblas_complex_numIfELi16ELi16ELi32ELi32ELi8ELi32ELi8ELi8ELi32ELc84ELc78EKPKS2_S5_KPS2_EEvlllT_PT11_llSA_llS8_PT12_llPT13_lli
		.amdhsa_group_segment_fixed_size 4096
		.amdhsa_private_segment_fixed_size 0
		.amdhsa_kernarg_size 140
		.amdhsa_user_sgpr_count 6
		.amdhsa_user_sgpr_private_segment_buffer 1
		.amdhsa_user_sgpr_dispatch_ptr 0
		.amdhsa_user_sgpr_queue_ptr 0
		.amdhsa_user_sgpr_kernarg_segment_ptr 1
		.amdhsa_user_sgpr_dispatch_id 0
		.amdhsa_user_sgpr_flat_scratch_init 0
		.amdhsa_user_sgpr_kernarg_preload_length 0
		.amdhsa_user_sgpr_kernarg_preload_offset 0
		.amdhsa_user_sgpr_private_segment_size 0
		.amdhsa_uses_dynamic_stack 0
		.amdhsa_system_sgpr_private_segment_wavefront_offset 0
		.amdhsa_system_sgpr_workgroup_id_x 1
		.amdhsa_system_sgpr_workgroup_id_y 1
		.amdhsa_system_sgpr_workgroup_id_z 1
		.amdhsa_system_sgpr_workgroup_info 0
		.amdhsa_system_vgpr_workitem_id 1
		.amdhsa_next_free_vgpr 90
		.amdhsa_next_free_sgpr 44
		.amdhsa_accum_offset 92
		.amdhsa_reserve_vcc 1
		.amdhsa_reserve_flat_scratch 0
		.amdhsa_float_round_mode_32 0
		.amdhsa_float_round_mode_16_64 0
		.amdhsa_float_denorm_mode_32 3
		.amdhsa_float_denorm_mode_16_64 3
		.amdhsa_dx10_clamp 1
		.amdhsa_ieee_mode 1
		.amdhsa_fp16_overflow 0
		.amdhsa_tg_split 0
		.amdhsa_exception_fp_ieee_invalid_op 0
		.amdhsa_exception_fp_denorm_src 0
		.amdhsa_exception_fp_ieee_div_zero 0
		.amdhsa_exception_fp_ieee_overflow 0
		.amdhsa_exception_fp_ieee_underflow 0
		.amdhsa_exception_fp_ieee_inexact 0
		.amdhsa_exception_int_div_zero 0
	.end_amdhsa_kernel
	.section	.text._ZN12_GLOBAL__N_127rocblas_gemm_batched_kernelI19rocblas_complex_numIfELi16ELi16ELi32ELi32ELi8ELi32ELi8ELi8ELi32ELc84ELc78EKPKS2_S5_KPS2_EEvlllT_PT11_llSA_llS8_PT12_llPT13_lli,"axG",@progbits,_ZN12_GLOBAL__N_127rocblas_gemm_batched_kernelI19rocblas_complex_numIfELi16ELi16ELi32ELi32ELi8ELi32ELi8ELi8ELi32ELc84ELc78EKPKS2_S5_KPS2_EEvlllT_PT11_llSA_llS8_PT12_llPT13_lli,comdat
.Lfunc_end244:
	.size	_ZN12_GLOBAL__N_127rocblas_gemm_batched_kernelI19rocblas_complex_numIfELi16ELi16ELi32ELi32ELi8ELi32ELi8ELi8ELi32ELc84ELc78EKPKS2_S5_KPS2_EEvlllT_PT11_llSA_llS8_PT12_llPT13_lli, .Lfunc_end244-_ZN12_GLOBAL__N_127rocblas_gemm_batched_kernelI19rocblas_complex_numIfELi16ELi16ELi32ELi32ELi8ELi32ELi8ELi8ELi32ELc84ELc78EKPKS2_S5_KPS2_EEvlllT_PT11_llSA_llS8_PT12_llPT13_lli
                                        ; -- End function
	.section	.AMDGPU.csdata,"",@progbits
; Kernel info:
; codeLenInByte = 2408
; NumSgprs: 48
; NumVgprs: 90
; NumAgprs: 0
; TotalNumVgprs: 90
; ScratchSize: 0
; MemoryBound: 0
; FloatMode: 240
; IeeeMode: 1
; LDSByteSize: 4096 bytes/workgroup (compile time only)
; SGPRBlocks: 5
; VGPRBlocks: 11
; NumSGPRsForWavesPerEU: 48
; NumVGPRsForWavesPerEU: 90
; AccumOffset: 92
; Occupancy: 5
; WaveLimiterHint : 1
; COMPUTE_PGM_RSRC2:SCRATCH_EN: 0
; COMPUTE_PGM_RSRC2:USER_SGPR: 6
; COMPUTE_PGM_RSRC2:TRAP_HANDLER: 0
; COMPUTE_PGM_RSRC2:TGID_X_EN: 1
; COMPUTE_PGM_RSRC2:TGID_Y_EN: 1
; COMPUTE_PGM_RSRC2:TGID_Z_EN: 1
; COMPUTE_PGM_RSRC2:TIDIG_COMP_CNT: 1
; COMPUTE_PGM_RSRC3_GFX90A:ACCUM_OFFSET: 22
; COMPUTE_PGM_RSRC3_GFX90A:TG_SPLIT: 0
	.section	.text._ZN12_GLOBAL__N_127rocblas_gemm_batched_kernelI19rocblas_complex_numIfELi16ELi16ELi32ELi32ELi8ELi32ELi8ELi8ELi32ELc78ELc84EKPKS2_S5_KPS2_EEvlllT_PT11_llSA_llS8_PT12_llPT13_lli,"axG",@progbits,_ZN12_GLOBAL__N_127rocblas_gemm_batched_kernelI19rocblas_complex_numIfELi16ELi16ELi32ELi32ELi8ELi32ELi8ELi8ELi32ELc78ELc84EKPKS2_S5_KPS2_EEvlllT_PT11_llSA_llS8_PT12_llPT13_lli,comdat
	.globl	_ZN12_GLOBAL__N_127rocblas_gemm_batched_kernelI19rocblas_complex_numIfELi16ELi16ELi32ELi32ELi8ELi32ELi8ELi8ELi32ELc78ELc84EKPKS2_S5_KPS2_EEvlllT_PT11_llSA_llS8_PT12_llPT13_lli ; -- Begin function _ZN12_GLOBAL__N_127rocblas_gemm_batched_kernelI19rocblas_complex_numIfELi16ELi16ELi32ELi32ELi8ELi32ELi8ELi8ELi32ELc78ELc84EKPKS2_S5_KPS2_EEvlllT_PT11_llSA_llS8_PT12_llPT13_lli
	.p2align	8
	.type	_ZN12_GLOBAL__N_127rocblas_gemm_batched_kernelI19rocblas_complex_numIfELi16ELi16ELi32ELi32ELi8ELi32ELi8ELi8ELi32ELc78ELc84EKPKS2_S5_KPS2_EEvlllT_PT11_llSA_llS8_PT12_llPT13_lli,@function
_ZN12_GLOBAL__N_127rocblas_gemm_batched_kernelI19rocblas_complex_numIfELi16ELi16ELi32ELi32ELi8ELi32ELi8ELi8ELi32ELc78ELc84EKPKS2_S5_KPS2_EEvlllT_PT11_llSA_llS8_PT12_llPT13_lli: ; @_ZN12_GLOBAL__N_127rocblas_gemm_batched_kernelI19rocblas_complex_numIfELi16ELi16ELi32ELi32ELi8ELi32ELi8ELi8ELi32ELc78ELc84EKPKS2_S5_KPS2_EEvlllT_PT11_llSA_llS8_PT12_llPT13_lli
; %bb.0:
	s_load_dwordx16 s[12:27], s[4:5], 0x10
	s_load_dwordx4 s[0:3], s[4:5], 0x78
	s_load_dwordx8 s[36:43], s[4:5], 0x58
	s_load_dwordx2 s[10:11], s[4:5], 0x50
	s_mov_b32 s9, 0
	s_lshl_b64 s[30:31], s[8:9], 3
	s_mov_b32 s28, s7
	s_waitcnt lgkmcnt(0)
	s_add_u32 s4, s36, s30
	s_addc_u32 s5, s37, s31
	s_add_u32 s8, s42, s30
	s_addc_u32 s9, s43, s31
	s_load_dwordx2 s[4:5], s[4:5], 0x0
	s_ashr_i32 s7, s6, 31
	s_load_dwordx2 s[8:9], s[8:9], 0x0
	s_ashr_i32 s29, s28, 31
	v_cmp_lt_i64_e64 s[34:35], s[12:13], 1
	v_bfe_u32 v47, v0, 10, 10
	v_and_b32_e32 v46, 0x3ff, v0
	s_lshl_b64 s[6:7], s[6:7], 5
	s_lshl_b64 s[28:29], s[28:29], 5
	s_and_b64 vcc, exec, s[34:35]
	s_cbranch_vccnz .LBB245_3
; %bb.1:
	v_lshl_add_u32 v4, v47, 4, v46
	s_add_u32 s16, s16, s30
	v_lshrrev_b32_e32 v5, 3, v4
	s_addc_u32 s17, s17, s31
	v_mov_b32_e32 v1, s29
	v_add_co_u32_e32 v0, vcc, s28, v5
	s_add_u32 s22, s22, s30
	v_addc_co_u32_e32 v1, vcc, 0, v1, vcc
	v_and_b32_e32 v6, 7, v46
	s_addc_u32 s23, s23, s31
	v_mad_u64_u32 v[0:1], s[30:31], v6, s24, v[0:1]
	v_mov_b32_e32 v2, v1
	v_mad_u64_u32 v[2:3], s[30:31], v6, s25, v[2:3]
	v_and_b32_e32 v7, 31, v4
	v_mov_b32_e32 v1, v2
	v_lshrrev_b32_e32 v8, 5, v4
	v_lshlrev_b32_e32 v2, 3, v7
	v_lshl_or_b32 v52, v8, 8, v2
	v_lshlrev_b32_e32 v2, 3, v6
	v_lshl_or_b32 v2, v5, 6, v2
	v_add_u32_e32 v53, 0x800, v2
	v_mov_b32_e32 v2, 0x800
	s_load_dwordx2 s[16:17], s[16:17], 0x0
	v_lshl_add_u32 v55, v47, 6, v2
	v_pk_mov_b32 v[2:3], s[6:7], s[6:7] op_sel:[0,1]
	v_mad_u64_u32 v[2:3], s[30:31], v8, s18, v[2:3]
	v_mov_b32_e32 v4, v3
	s_load_dwordx2 s[22:23], s[22:23], 0x0
	v_mad_u64_u32 v[4:5], s[30:31], v8, s19, v[4:5]
	s_lshl_b64 s[20:21], s[20:21], 3
	v_mov_b32_e32 v3, v4
	v_add_co_u32_e32 v2, vcc, v2, v7
	v_addc_co_u32_e32 v3, vcc, 0, v3, vcc
	s_waitcnt lgkmcnt(0)
	s_add_u32 s16, s16, s20
	v_lshlrev_b64 v[2:3], 3, v[2:3]
	s_addc_u32 s17, s17, s21
	v_mov_b32_e32 v4, s17
	v_add_co_u32_e32 v40, vcc, s16, v2
	s_lshl_b64 s[16:17], s[18:19], 6
	s_lshl_b64 s[18:19], s[26:27], 3
	s_add_u32 s18, s22, s18
	v_addc_co_u32_e32 v41, vcc, v4, v3, vcc
	v_lshlrev_b64 v[0:1], 3, v[0:1]
	s_addc_u32 s19, s23, s19
	v_mov_b32_e32 v2, s19
	v_add_co_u32_e32 v42, vcc, s18, v0
	s_lshl_b64 s[18:19], s[24:25], 6
	v_lshlrev_b32_e32 v54, 3, v46
	v_addc_co_u32_e32 v43, vcc, v2, v1, vcc
	s_mov_b64 s[20:21], 0
	v_mov_b32_e32 v37, 0
	v_mov_b32_e32 v56, s17
	;; [unrolled: 1-line block ×3, first 2 shown]
	v_pk_mov_b32 v[44:45], s[12:13], s[12:13] op_sel:[0,1]
	v_mov_b32_e32 v39, 0
	v_mov_b32_e32 v38, 0
	;; [unrolled: 1-line block ×7, first 2 shown]
.LBB245_2:                              ; =>This Inner Loop Header: Depth=1
	global_load_dwordx2 v[0:1], v[40:41], off
	global_load_dwordx2 v[2:3], v[42:43], off
	v_add_co_u32_e32 v40, vcc, s16, v40
	v_addc_co_u32_e32 v41, vcc, v41, v56, vcc
	s_add_u32 s20, s20, 8
	v_add_co_u32_e32 v42, vcc, s18, v42
	v_addc_co_u32_e32 v43, vcc, v43, v57, vcc
	s_addc_u32 s21, s21, 0
	v_cmp_lt_i64_e32 vcc, s[20:21], v[44:45]
	s_and_b64 vcc, exec, vcc
	s_waitcnt vmcnt(1)
	ds_write_b64 v52, v[0:1]
	s_waitcnt vmcnt(0)
	ds_write_b64 v53, v[2:3]
	s_waitcnt lgkmcnt(0)
	s_barrier
	ds_read_b128 v[4:7], v55
	ds_read_b128 v[0:3], v55 offset:16
	ds_read2_b64 v[8:11], v54 offset1:16
	ds_read2_b64 v[12:15], v54 offset0:32 offset1:48
	ds_read2_b64 v[16:19], v54 offset0:64 offset1:80
	ds_read_b128 v[24:27], v55 offset:1024
	ds_read_b128 v[20:23], v55 offset:1040
	ds_read2_b64 v[28:31], v54 offset0:96 offset1:112
	ds_read2_b64 v[32:35], v54 offset0:128 offset1:144
	;; [unrolled: 1-line block ×3, first 2 shown]
	ds_read_b128 v[62:65], v55 offset:32
	ds_read_b128 v[66:69], v55 offset:48
	ds_read2_b64 v[70:73], v54 offset0:192 offset1:208
	ds_read_b128 v[74:77], v55 offset:1056
	ds_read_b128 v[78:81], v55 offset:1072
	s_waitcnt lgkmcnt(12)
	v_mul_f32_e32 v82, v5, v9
	v_mul_f32_e32 v83, v4, v9
	;; [unrolled: 1-line block ×4, first 2 shown]
	s_waitcnt lgkmcnt(9)
	v_mul_f32_e32 v86, v25, v9
	v_mul_f32_e32 v9, v24, v9
	;; [unrolled: 1-line block ×6, first 2 shown]
	v_fma_f32 v82, v4, v8, -v82
	v_fmac_f32_e32 v83, v5, v8
	v_fma_f32 v4, v4, v10, -v84
	v_fmac_f32_e32 v85, v5, v10
	;; [unrolled: 2-line block ×4, first 2 shown]
	v_mul_f32_e32 v10, v7, v15
	v_mul_f32_e32 v24, v6, v15
	;; [unrolled: 1-line block ×4, first 2 shown]
	v_fma_f32 v84, v6, v12, -v88
	v_fmac_f32_e32 v89, v7, v12
	v_fma_f32 v6, v6, v14, -v10
	v_fmac_f32_e32 v24, v7, v14
	v_mul_f32_e32 v7, v27, v15
	v_mul_f32_e32 v10, v26, v15
	;; [unrolled: 1-line block ×3, first 2 shown]
	v_fma_f32 v25, v26, v12, -v25
	v_fmac_f32_e32 v13, v27, v12
	v_mul_f32_e32 v12, v1, v19
	v_mul_f32_e32 v86, v0, v17
	v_fma_f32 v7, v26, v14, -v7
	v_fmac_f32_e32 v10, v27, v14
	v_mul_f32_e32 v14, v0, v19
	s_waitcnt lgkmcnt(8)
	v_mul_f32_e32 v26, v21, v17
	v_mul_f32_e32 v17, v20, v17
	;; [unrolled: 1-line block ×3, first 2 shown]
	v_fma_f32 v15, v0, v16, -v15
	v_fma_f32 v12, v0, v18, -v12
	s_waitcnt lgkmcnt(7)
	v_mul_f32_e32 v0, v3, v31
	v_mul_f32_e32 v19, v20, v19
	;; [unrolled: 1-line block ×3, first 2 shown]
	v_fmac_f32_e32 v86, v1, v16
	v_fmac_f32_e32 v14, v1, v18
	v_fma_f32 v26, v20, v16, -v26
	v_fmac_f32_e32 v17, v21, v16
	v_fma_f32 v16, v20, v18, -v27
	v_mul_f32_e32 v1, v23, v29
	v_fma_f32 v27, v2, v30, -v0
	v_mul_f32_e32 v0, v23, v31
	v_mul_f32_e32 v88, v2, v29
	v_fmac_f32_e32 v19, v21, v18
	v_mul_f32_e32 v18, v2, v31
	v_mul_f32_e32 v20, v22, v29
	v_fma_f32 v21, v2, v28, -v87
	v_mul_f32_e32 v29, v22, v31
	s_waitcnt lgkmcnt(4)
	v_mul_f32_e32 v2, v63, v33
	v_fma_f32 v87, v22, v28, -v1
	v_fma_f32 v22, v22, v30, -v0
	v_mul_f32_e32 v0, v63, v35
	v_fmac_f32_e32 v88, v3, v28
	v_fmac_f32_e32 v18, v3, v30
	v_mul_f32_e32 v31, v62, v33
	v_fmac_f32_e32 v20, v23, v28
	v_fmac_f32_e32 v29, v23, v30
	v_mul_f32_e32 v23, v62, v35
	s_waitcnt lgkmcnt(1)
	v_mul_f32_e32 v1, v75, v33
	v_mul_f32_e32 v28, v74, v33
	v_mul_f32_e32 v3, v75, v35
	v_mul_f32_e32 v30, v74, v35
	v_mul_f32_e32 v33, v65, v59
	v_fma_f32 v90, v62, v32, -v2
	v_fma_f32 v62, v62, v34, -v0
	v_mul_f32_e32 v0, v65, v61
	v_mul_f32_e32 v35, v64, v59
	v_fmac_f32_e32 v31, v63, v32
	v_fmac_f32_e32 v23, v63, v34
	v_fma_f32 v63, v74, v32, -v1
	v_fmac_f32_e32 v28, v75, v32
	v_fma_f32 v32, v74, v34, -v3
	v_fmac_f32_e32 v30, v75, v34
	v_mul_f32_e32 v34, v64, v61
	v_mul_f32_e32 v1, v77, v59
	;; [unrolled: 1-line block ×3, first 2 shown]
	v_fma_f32 v33, v64, v58, -v33
	v_fma_f32 v64, v64, v60, -v0
	v_mul_f32_e32 v0, v77, v61
	v_mul_f32_e32 v61, v76, v61
	v_fmac_f32_e32 v35, v65, v58
	v_fmac_f32_e32 v34, v65, v60
	v_mul_f32_e32 v2, v67, v71
	v_mul_f32_e32 v65, v66, v71
	v_fma_f32 v74, v76, v58, -v1
	v_fmac_f32_e32 v59, v77, v58
	v_fma_f32 v58, v76, v60, -v0
	v_fmac_f32_e32 v61, v77, v60
	v_mul_f32_e32 v0, v67, v73
	v_mul_f32_e32 v60, v66, v73
	s_waitcnt lgkmcnt(0)
	v_mul_f32_e32 v1, v79, v71
	v_mul_f32_e32 v71, v78, v71
	;; [unrolled: 1-line block ×3, first 2 shown]
	v_fma_f32 v75, v66, v70, -v2
	v_fmac_f32_e32 v65, v67, v70
	v_fma_f32 v66, v66, v72, -v0
	v_fmac_f32_e32 v60, v67, v72
	v_fma_f32 v67, v78, v70, -v1
	v_fmac_f32_e32 v71, v79, v70
	v_fma_f32 v70, v78, v72, -v3
	ds_read2_b64 v[0:3], v54 offset0:224 offset1:240
	v_mul_f32_e32 v73, v78, v73
	v_fmac_f32_e32 v73, v79, v72
	v_add_f32_e32 v4, v48, v4
	v_add_f32_e32 v8, v39, v8
	s_waitcnt lgkmcnt(0)
	v_mul_f32_e32 v72, v69, v1
	v_mul_f32_e32 v77, v69, v3
	;; [unrolled: 1-line block ×3, first 2 shown]
	v_fma_f32 v72, v68, v0, -v72
	v_fma_f32 v77, v68, v2, -v77
	v_mul_f32_e32 v68, v68, v3
	v_fmac_f32_e32 v76, v69, v0
	v_fmac_f32_e32 v68, v69, v2
	v_mul_f32_e32 v69, v81, v1
	v_mul_f32_e32 v1, v80, v1
	v_fma_f32 v69, v80, v0, -v69
	v_fmac_f32_e32 v1, v81, v0
	v_mul_f32_e32 v0, v81, v3
	v_mul_f32_e32 v3, v80, v3
	v_fma_f32 v0, v80, v2, -v0
	v_fmac_f32_e32 v3, v81, v2
	v_add_f32_e32 v2, v36, v5
	v_add_f32_e32 v5, v38, v9
	;; [unrolled: 1-line block ×62, first 2 shown]
	s_barrier
	s_cbranch_vccnz .LBB245_2
	s_branch .LBB245_4
.LBB245_3:
	v_mov_b32_e32 v50, 0
	v_mov_b32_e32 v51, 0
	;; [unrolled: 1-line block ×8, first 2 shown]
.LBB245_4:
	s_lshl_b64 s[2:3], s[2:3], 3
	s_waitcnt lgkmcnt(0)
	s_add_u32 s8, s8, s2
	v_mov_b32_e32 v0, s29
	v_add_co_u32_e32 v4, vcc, s28, v47
	s_addc_u32 s9, s9, s3
	v_addc_co_u32_e32 v5, vcc, 0, v0, vcc
	s_or_b32 s2, s10, s11
	s_bitset0_b32 s2, 31
	v_mov_b32_e32 v1, s7
	v_add_co_u32_e32 v0, vcc, s6, v46
	s_cmp_lg_u32 s2, 0
	v_addc_co_u32_e32 v1, vcc, 0, v1, vcc
	s_cbranch_scc1 .LBB245_6
; %bb.5:
	v_mul_lo_u32 v6, v5, s0
	v_mul_lo_u32 v7, v4, s1
	v_mad_u64_u32 v[2:3], s[2:3], v4, s0, 0
	v_add3_u32 v3, v3, v7, v6
	v_lshlrev_b64 v[2:3], 3, v[2:3]
	v_mov_b32_e32 v6, s9
	v_add_co_u32_e32 v8, vcc, s8, v2
	v_addc_co_u32_e32 v9, vcc, v6, v3, vcc
	v_lshlrev_b64 v[6:7], 3, v[0:1]
	v_mul_f32_e32 v2, s15, v51
	v_mul_f32_e32 v3, s14, v51
	v_add_co_u32_e32 v6, vcc, v8, v6
	v_fma_f32 v2, v50, s14, -v2
	v_fmac_f32_e32 v3, s15, v50
	v_addc_co_u32_e32 v7, vcc, v9, v7, vcc
	global_store_dwordx2 v[6:7], v[2:3], off
	v_mul_f32_e32 v2, s15, v49
	v_mul_f32_e32 v3, s14, v49
	v_fma_f32 v2, v48, s14, -v2
	v_fmac_f32_e32 v3, s15, v48
	s_lshl_b64 s[2:3], s[0:1], 7
	global_store_dwordx2 v[6:7], v[2:3], off offset:128
	v_mul_f32_e32 v2, s15, v38
	v_mul_f32_e32 v3, s14, v38
	v_mov_b32_e32 v9, s3
	v_add_co_u32_e32 v8, vcc, s2, v6
	v_fma_f32 v2, v36, s14, -v2
	v_fmac_f32_e32 v3, s15, v36
	v_addc_co_u32_e32 v9, vcc, v7, v9, vcc
	global_store_dwordx2 v[8:9], v[2:3], off
	v_mul_f32_e32 v2, s15, v37
	v_fma_f32 v7, v39, s14, -v2
	v_mul_f32_e32 v6, s14, v37
	v_add_co_u32_e32 v2, vcc, 0x80, v8
	v_fmac_f32_e32 v6, s15, v39
	v_addc_co_u32_e32 v3, vcc, 0, v9, vcc
	global_store_dword v[8:9], v7, off offset:128
	s_cbranch_execz .LBB245_7
	s_branch .LBB245_8
.LBB245_6:
                                        ; implicit-def: $vgpr6
                                        ; implicit-def: $vgpr2_vgpr3
.LBB245_7:
	s_lshl_b64 s[2:3], s[40:41], 3
	s_add_u32 s4, s4, s2
	s_addc_u32 s5, s5, s3
	v_mul_lo_u32 v6, v5, s38
	v_mul_lo_u32 v7, v4, s39
	v_mad_u64_u32 v[2:3], s[2:3], v4, s38, 0
	v_add3_u32 v3, v3, v7, v6
	v_lshlrev_b64 v[2:3], 3, v[2:3]
	v_mov_b32_e32 v6, s5
	v_add_co_u32_e32 v2, vcc, s4, v2
	v_addc_co_u32_e32 v3, vcc, v6, v3, vcc
	v_lshlrev_b64 v[0:1], 3, v[0:1]
	v_add_co_u32_e32 v2, vcc, v2, v0
	v_addc_co_u32_e32 v3, vcc, v3, v1, vcc
	global_load_dwordx2 v[6:7], v[2:3], off
	v_mul_lo_u32 v8, v5, s0
	v_mul_lo_u32 v9, v4, s1
	v_mad_u64_u32 v[4:5], s[2:3], v4, s0, 0
	v_add3_u32 v5, v5, v9, v8
	v_lshlrev_b64 v[4:5], 3, v[4:5]
	v_mov_b32_e32 v10, s9
	v_add_co_u32_e32 v4, vcc, s8, v4
	v_addc_co_u32_e32 v5, vcc, v10, v5, vcc
	v_add_co_u32_e32 v0, vcc, v4, v0
	v_mul_f32_e32 v11, s15, v51
	v_mul_f32_e32 v12, s14, v51
	v_addc_co_u32_e32 v1, vcc, v5, v1, vcc
	v_fma_f32 v8, v50, s14, -v11
	v_fmac_f32_e32 v12, s15, v50
	s_lshl_b64 s[2:3], s[38:39], 7
	s_lshl_b64 s[0:1], s[0:1], 7
	s_waitcnt vmcnt(0)
	v_mul_f32_e32 v4, s11, v7
	v_mul_f32_e32 v5, s10, v7
	v_fma_f32 v4, v6, s10, -v4
	v_fmac_f32_e32 v5, s11, v6
	v_add_f32_e32 v4, v8, v4
	v_add_f32_e32 v5, v12, v5
	global_store_dwordx2 v[0:1], v[4:5], off
	global_load_dwordx2 v[4:5], v[2:3], off offset:128
	v_mov_b32_e32 v8, s3
	v_add_co_u32_e32 v2, vcc, s2, v2
	v_mul_f32_e32 v6, s15, v49
	v_mul_f32_e32 v7, s14, v49
	v_addc_co_u32_e32 v3, vcc, v3, v8, vcc
	v_fma_f32 v6, v48, s14, -v6
	v_fmac_f32_e32 v7, s15, v48
	s_waitcnt vmcnt(0)
	v_mul_f32_e32 v8, s11, v5
	v_mul_f32_e32 v5, s10, v5
	v_fma_f32 v8, v4, s10, -v8
	v_fmac_f32_e32 v5, s11, v4
	v_add_f32_e32 v4, v6, v8
	v_add_f32_e32 v5, v7, v5
	global_store_dwordx2 v[0:1], v[4:5], off offset:128
	global_load_dwordx2 v[4:5], v[2:3], off
	v_pk_mul_f32 v[6:7], v[38:39], s[14:15] op_sel_hi:[0,1]
	v_pk_fma_f32 v[8:9], v[36:37], s[14:15], v[6:7] op_sel:[0,0,1] op_sel_hi:[1,1,0] neg_lo:[0,0,1] neg_hi:[0,0,1]
	v_pk_fma_f32 v[6:7], v[36:37], s[14:15], v[6:7] op_sel:[0,0,1] op_sel_hi:[0,1,0]
	v_mov_b32_e32 v6, s1
	v_add_co_u32_e32 v0, vcc, s0, v0
	v_mov_b32_e32 v9, v7
	v_addc_co_u32_e32 v1, vcc, v1, v6, vcc
	s_waitcnt vmcnt(0)
	v_pk_mul_f32 v[6:7], v[4:5], s[10:11] op_sel:[0,1]
	v_pk_fma_f32 v[10:11], v[4:5], s[10:11], v[6:7] op_sel:[0,0,1] op_sel_hi:[1,1,0] neg_lo:[0,0,1] neg_hi:[0,0,1]
	v_pk_fma_f32 v[4:5], v[4:5], s[10:11], v[6:7] op_sel:[0,0,1] op_sel_hi:[1,0,0]
	v_mov_b32_e32 v11, v5
	v_pk_add_f32 v[4:5], v[8:9], v[10:11]
	global_store_dwordx2 v[0:1], v[4:5], off
	global_load_dwordx2 v[4:5], v[2:3], off offset:128
	v_mul_f32_e32 v2, s15, v37
	v_mul_f32_e32 v3, s14, v37
	v_fma_f32 v8, v39, s14, -v2
	v_fmac_f32_e32 v3, s15, v39
	v_add_co_u32_e32 v2, vcc, 0x80, v0
	s_waitcnt vmcnt(0)
	v_mul_f32_e32 v9, s10, v4
	v_pk_mul_f32 v[6:7], v[4:5], s[10:11] op_sel:[0,1] op_sel_hi:[1,0]
	v_fma_f32 v4, -v5, s11, v9
	v_add_f32_e32 v5, v6, v7
	v_add_f32_e32 v4, v8, v4
	;; [unrolled: 1-line block ×3, first 2 shown]
	v_addc_co_u32_e32 v3, vcc, 0, v1, vcc
	global_store_dword v[0:1], v4, off offset:128
.LBB245_8:
	global_store_dword v[2:3], v6, off offset:4
	s_endpgm
	.section	.rodata,"a",@progbits
	.p2align	6, 0x0
	.amdhsa_kernel _ZN12_GLOBAL__N_127rocblas_gemm_batched_kernelI19rocblas_complex_numIfELi16ELi16ELi32ELi32ELi8ELi32ELi8ELi8ELi32ELc78ELc84EKPKS2_S5_KPS2_EEvlllT_PT11_llSA_llS8_PT12_llPT13_lli
		.amdhsa_group_segment_fixed_size 4096
		.amdhsa_private_segment_fixed_size 0
		.amdhsa_kernarg_size 140
		.amdhsa_user_sgpr_count 6
		.amdhsa_user_sgpr_private_segment_buffer 1
		.amdhsa_user_sgpr_dispatch_ptr 0
		.amdhsa_user_sgpr_queue_ptr 0
		.amdhsa_user_sgpr_kernarg_segment_ptr 1
		.amdhsa_user_sgpr_dispatch_id 0
		.amdhsa_user_sgpr_flat_scratch_init 0
		.amdhsa_user_sgpr_kernarg_preload_length 0
		.amdhsa_user_sgpr_kernarg_preload_offset 0
		.amdhsa_user_sgpr_private_segment_size 0
		.amdhsa_uses_dynamic_stack 0
		.amdhsa_system_sgpr_private_segment_wavefront_offset 0
		.amdhsa_system_sgpr_workgroup_id_x 1
		.amdhsa_system_sgpr_workgroup_id_y 1
		.amdhsa_system_sgpr_workgroup_id_z 1
		.amdhsa_system_sgpr_workgroup_info 0
		.amdhsa_system_vgpr_workitem_id 1
		.amdhsa_next_free_vgpr 91
		.amdhsa_next_free_sgpr 44
		.amdhsa_accum_offset 92
		.amdhsa_reserve_vcc 1
		.amdhsa_reserve_flat_scratch 0
		.amdhsa_float_round_mode_32 0
		.amdhsa_float_round_mode_16_64 0
		.amdhsa_float_denorm_mode_32 3
		.amdhsa_float_denorm_mode_16_64 3
		.amdhsa_dx10_clamp 1
		.amdhsa_ieee_mode 1
		.amdhsa_fp16_overflow 0
		.amdhsa_tg_split 0
		.amdhsa_exception_fp_ieee_invalid_op 0
		.amdhsa_exception_fp_denorm_src 0
		.amdhsa_exception_fp_ieee_div_zero 0
		.amdhsa_exception_fp_ieee_overflow 0
		.amdhsa_exception_fp_ieee_underflow 0
		.amdhsa_exception_fp_ieee_inexact 0
		.amdhsa_exception_int_div_zero 0
	.end_amdhsa_kernel
	.section	.text._ZN12_GLOBAL__N_127rocblas_gemm_batched_kernelI19rocblas_complex_numIfELi16ELi16ELi32ELi32ELi8ELi32ELi8ELi8ELi32ELc78ELc84EKPKS2_S5_KPS2_EEvlllT_PT11_llSA_llS8_PT12_llPT13_lli,"axG",@progbits,_ZN12_GLOBAL__N_127rocblas_gemm_batched_kernelI19rocblas_complex_numIfELi16ELi16ELi32ELi32ELi8ELi32ELi8ELi8ELi32ELc78ELc84EKPKS2_S5_KPS2_EEvlllT_PT11_llSA_llS8_PT12_llPT13_lli,comdat
.Lfunc_end245:
	.size	_ZN12_GLOBAL__N_127rocblas_gemm_batched_kernelI19rocblas_complex_numIfELi16ELi16ELi32ELi32ELi8ELi32ELi8ELi8ELi32ELc78ELc84EKPKS2_S5_KPS2_EEvlllT_PT11_llSA_llS8_PT12_llPT13_lli, .Lfunc_end245-_ZN12_GLOBAL__N_127rocblas_gemm_batched_kernelI19rocblas_complex_numIfELi16ELi16ELi32ELi32ELi8ELi32ELi8ELi8ELi32ELc78ELc84EKPKS2_S5_KPS2_EEvlllT_PT11_llSA_llS8_PT12_llPT13_lli
                                        ; -- End function
	.section	.AMDGPU.csdata,"",@progbits
; Kernel info:
; codeLenInByte = 2380
; NumSgprs: 48
; NumVgprs: 91
; NumAgprs: 0
; TotalNumVgprs: 91
; ScratchSize: 0
; MemoryBound: 0
; FloatMode: 240
; IeeeMode: 1
; LDSByteSize: 4096 bytes/workgroup (compile time only)
; SGPRBlocks: 5
; VGPRBlocks: 11
; NumSGPRsForWavesPerEU: 48
; NumVGPRsForWavesPerEU: 91
; AccumOffset: 92
; Occupancy: 5
; WaveLimiterHint : 1
; COMPUTE_PGM_RSRC2:SCRATCH_EN: 0
; COMPUTE_PGM_RSRC2:USER_SGPR: 6
; COMPUTE_PGM_RSRC2:TRAP_HANDLER: 0
; COMPUTE_PGM_RSRC2:TGID_X_EN: 1
; COMPUTE_PGM_RSRC2:TGID_Y_EN: 1
; COMPUTE_PGM_RSRC2:TGID_Z_EN: 1
; COMPUTE_PGM_RSRC2:TIDIG_COMP_CNT: 1
; COMPUTE_PGM_RSRC3_GFX90A:ACCUM_OFFSET: 22
; COMPUTE_PGM_RSRC3_GFX90A:TG_SPLIT: 0
	.section	.text._ZN12_GLOBAL__N_127rocblas_gemm_batched_kernelI19rocblas_complex_numIfELi16ELi16ELi32ELi32ELi8ELi32ELi8ELi8ELi32ELc84ELc84EKPKS2_S5_KPS2_EEvlllT_PT11_llSA_llS8_PT12_llPT13_lli,"axG",@progbits,_ZN12_GLOBAL__N_127rocblas_gemm_batched_kernelI19rocblas_complex_numIfELi16ELi16ELi32ELi32ELi8ELi32ELi8ELi8ELi32ELc84ELc84EKPKS2_S5_KPS2_EEvlllT_PT11_llSA_llS8_PT12_llPT13_lli,comdat
	.globl	_ZN12_GLOBAL__N_127rocblas_gemm_batched_kernelI19rocblas_complex_numIfELi16ELi16ELi32ELi32ELi8ELi32ELi8ELi8ELi32ELc84ELc84EKPKS2_S5_KPS2_EEvlllT_PT11_llSA_llS8_PT12_llPT13_lli ; -- Begin function _ZN12_GLOBAL__N_127rocblas_gemm_batched_kernelI19rocblas_complex_numIfELi16ELi16ELi32ELi32ELi8ELi32ELi8ELi8ELi32ELc84ELc84EKPKS2_S5_KPS2_EEvlllT_PT11_llSA_llS8_PT12_llPT13_lli
	.p2align	8
	.type	_ZN12_GLOBAL__N_127rocblas_gemm_batched_kernelI19rocblas_complex_numIfELi16ELi16ELi32ELi32ELi8ELi32ELi8ELi8ELi32ELc84ELc84EKPKS2_S5_KPS2_EEvlllT_PT11_llSA_llS8_PT12_llPT13_lli,@function
_ZN12_GLOBAL__N_127rocblas_gemm_batched_kernelI19rocblas_complex_numIfELi16ELi16ELi32ELi32ELi8ELi32ELi8ELi8ELi32ELc84ELc84EKPKS2_S5_KPS2_EEvlllT_PT11_llSA_llS8_PT12_llPT13_lli: ; @_ZN12_GLOBAL__N_127rocblas_gemm_batched_kernelI19rocblas_complex_numIfELi16ELi16ELi32ELi32ELi8ELi32ELi8ELi8ELi32ELc84ELc84EKPKS2_S5_KPS2_EEvlllT_PT11_llSA_llS8_PT12_llPT13_lli
; %bb.0:
	s_load_dwordx16 s[12:27], s[4:5], 0x10
	s_load_dwordx4 s[0:3], s[4:5], 0x78
	s_load_dwordx8 s[36:43], s[4:5], 0x58
	s_load_dwordx2 s[10:11], s[4:5], 0x50
	s_mov_b32 s9, 0
	s_lshl_b64 s[30:31], s[8:9], 3
	s_mov_b32 s28, s7
	s_waitcnt lgkmcnt(0)
	s_add_u32 s4, s36, s30
	s_addc_u32 s5, s37, s31
	s_add_u32 s8, s42, s30
	s_addc_u32 s9, s43, s31
	s_load_dwordx2 s[4:5], s[4:5], 0x0
	s_ashr_i32 s7, s6, 31
	s_load_dwordx2 s[8:9], s[8:9], 0x0
	s_ashr_i32 s29, s28, 31
	v_cmp_lt_i64_e64 s[34:35], s[12:13], 1
	v_bfe_u32 v47, v0, 10, 10
	v_and_b32_e32 v46, 0x3ff, v0
	s_lshl_b64 s[6:7], s[6:7], 5
	s_lshl_b64 s[28:29], s[28:29], 5
	s_and_b64 vcc, exec, s[34:35]
	s_cbranch_vccnz .LBB246_3
; %bb.1:
	v_lshl_add_u32 v4, v47, 4, v46
	s_add_u32 s16, s16, s30
	v_lshrrev_b32_e32 v5, 3, v4
	s_addc_u32 s17, s17, s31
	v_mov_b32_e32 v1, s29
	v_add_co_u32_e32 v0, vcc, s28, v5
	s_add_u32 s22, s22, s30
	v_addc_co_u32_e32 v1, vcc, 0, v1, vcc
	v_and_b32_e32 v6, 7, v46
	s_addc_u32 s23, s23, s31
	v_mad_u64_u32 v[0:1], s[30:31], v6, s24, v[0:1]
	v_mov_b32_e32 v2, v1
	v_mad_u64_u32 v[2:3], s[30:31], v6, s25, v[2:3]
	v_mov_b32_e32 v1, v2
	v_and_b32_e32 v2, 31, v4
	v_lshrrev_b32_e32 v4, 5, v4
	v_lshlrev_b32_e32 v3, 3, v2
	v_lshl_or_b32 v52, v4, 8, v3
	v_lshlrev_b32_e32 v3, 3, v6
	v_lshl_or_b32 v3, v5, 6, v3
	v_add_u32_e32 v53, 0x800, v3
	v_mov_b32_e32 v3, 0x800
	v_lshl_add_u32 v55, v47, 6, v3
	v_mov_b32_e32 v3, s7
	v_add_co_u32_e32 v2, vcc, s6, v2
	v_addc_co_u32_e32 v3, vcc, 0, v3, vcc
	v_mul_lo_u32 v5, s19, v2
	v_mul_lo_u32 v6, s18, v3
	v_mad_u64_u32 v[2:3], s[18:19], s18, v2, 0
	v_add3_u32 v3, v3, v6, v5
	s_load_dwordx2 s[16:17], s[16:17], 0x0
	v_lshlrev_b64 v[2:3], 3, v[2:3]
	s_lshl_b64 s[18:19], s[20:21], 3
	s_load_dwordx2 s[22:23], s[22:23], 0x0
	v_mov_b32_e32 v5, s19
	v_add_co_u32_e32 v2, vcc, s18, v2
	v_addc_co_u32_e32 v3, vcc, v3, v5, vcc
	v_lshlrev_b32_e32 v4, 3, v4
	v_add_co_u32_e32 v2, vcc, v2, v4
	v_addc_co_u32_e32 v3, vcc, 0, v3, vcc
	s_waitcnt lgkmcnt(0)
	v_mov_b32_e32 v4, s17
	v_add_co_u32_e32 v40, vcc, s16, v2
	s_lshl_b64 s[16:17], s[26:27], 3
	s_add_u32 s16, s22, s16
	v_addc_co_u32_e32 v41, vcc, v4, v3, vcc
	v_lshlrev_b64 v[0:1], 3, v[0:1]
	s_addc_u32 s17, s23, s17
	v_mov_b32_e32 v2, s17
	v_add_co_u32_e32 v42, vcc, s16, v0
	s_lshl_b64 s[16:17], s[24:25], 6
	v_lshlrev_b32_e32 v54, 3, v46
	v_addc_co_u32_e32 v43, vcc, v2, v1, vcc
	s_mov_b64 s[18:19], 0
	v_mov_b32_e32 v37, 0
	v_mov_b32_e32 v56, s17
	v_pk_mov_b32 v[44:45], s[12:13], s[12:13] op_sel:[0,1]
	v_mov_b32_e32 v39, 0
	v_mov_b32_e32 v38, 0
	;; [unrolled: 1-line block ×7, first 2 shown]
.LBB246_2:                              ; =>This Inner Loop Header: Depth=1
	global_load_dwordx2 v[0:1], v[40:41], off
	global_load_dwordx2 v[2:3], v[42:43], off
	v_add_co_u32_e32 v40, vcc, 64, v40
	v_addc_co_u32_e32 v41, vcc, 0, v41, vcc
	s_add_u32 s18, s18, 8
	v_add_co_u32_e32 v42, vcc, s16, v42
	v_addc_co_u32_e32 v43, vcc, v43, v56, vcc
	s_addc_u32 s19, s19, 0
	v_cmp_lt_i64_e32 vcc, s[18:19], v[44:45]
	s_and_b64 vcc, exec, vcc
	s_waitcnt vmcnt(1)
	ds_write_b64 v52, v[0:1]
	s_waitcnt vmcnt(0)
	ds_write_b64 v53, v[2:3]
	s_waitcnt lgkmcnt(0)
	s_barrier
	ds_read_b128 v[4:7], v55
	ds_read_b128 v[0:3], v55 offset:16
	ds_read2_b64 v[8:11], v54 offset1:16
	ds_read2_b64 v[12:15], v54 offset0:32 offset1:48
	ds_read2_b64 v[16:19], v54 offset0:64 offset1:80
	ds_read_b128 v[24:27], v55 offset:1024
	ds_read_b128 v[20:23], v55 offset:1040
	ds_read2_b64 v[28:31], v54 offset0:96 offset1:112
	ds_read2_b64 v[32:35], v54 offset0:128 offset1:144
	;; [unrolled: 1-line block ×3, first 2 shown]
	ds_read_b128 v[62:65], v55 offset:32
	ds_read_b128 v[66:69], v55 offset:48
	ds_read2_b64 v[70:73], v54 offset0:192 offset1:208
	ds_read_b128 v[74:77], v55 offset:1056
	ds_read_b128 v[78:81], v55 offset:1072
	s_waitcnt lgkmcnt(12)
	v_mul_f32_e32 v57, v5, v9
	v_mul_f32_e32 v82, v4, v9
	;; [unrolled: 1-line block ×4, first 2 shown]
	s_waitcnt lgkmcnt(9)
	v_mul_f32_e32 v85, v25, v9
	v_mul_f32_e32 v9, v24, v9
	;; [unrolled: 1-line block ×5, first 2 shown]
	v_fma_f32 v57, v4, v8, -v57
	v_fmac_f32_e32 v82, v5, v8
	v_fma_f32 v4, v4, v10, -v83
	v_fmac_f32_e32 v84, v5, v10
	;; [unrolled: 2-line block ×4, first 2 shown]
	v_mul_f32_e32 v10, v6, v15
	v_mul_f32_e32 v87, v7, v13
	;; [unrolled: 1-line block ×6, first 2 shown]
	v_fmac_f32_e32 v88, v7, v12
	v_fmac_f32_e32 v10, v7, v14
	v_mul_f32_e32 v7, v26, v15
	v_fma_f32 v83, v6, v12, -v87
	v_fma_f32 v6, v6, v14, -v89
	v_mul_f32_e32 v15, v1, v17
	v_mul_f32_e32 v85, v0, v17
	;; [unrolled: 1-line block ×3, first 2 shown]
	v_fma_f32 v24, v26, v12, -v24
	v_fmac_f32_e32 v13, v27, v12
	v_fma_f32 v12, v26, v14, -v25
	v_fmac_f32_e32 v7, v27, v14
	v_mul_f32_e32 v14, v0, v19
	s_waitcnt lgkmcnt(8)
	v_mul_f32_e32 v25, v21, v17
	v_mul_f32_e32 v17, v20, v17
	;; [unrolled: 1-line block ×4, first 2 shown]
	s_waitcnt lgkmcnt(7)
	v_mul_f32_e32 v27, v3, v29
	v_mul_f32_e32 v87, v2, v29
	;; [unrolled: 1-line block ×3, first 2 shown]
	v_fma_f32 v15, v0, v16, -v15
	v_fmac_f32_e32 v85, v1, v16
	v_fma_f32 v86, v0, v18, -v86
	v_fmac_f32_e32 v14, v1, v18
	;; [unrolled: 2-line block ×4, first 2 shown]
	v_mul_f32_e32 v18, v2, v31
	v_mul_f32_e32 v0, v23, v29
	;; [unrolled: 1-line block ×4, first 2 shown]
	v_fma_f32 v21, v2, v28, -v27
	v_mul_f32_e32 v27, v22, v31
	v_fmac_f32_e32 v87, v3, v28
	v_fma_f32 v26, v2, v30, -v89
	v_fmac_f32_e32 v18, v3, v30
	s_waitcnt lgkmcnt(4)
	v_mul_f32_e32 v2, v63, v33
	v_mul_f32_e32 v29, v62, v33
	;; [unrolled: 1-line block ×3, first 2 shown]
	v_fma_f32 v31, v22, v28, -v0
	v_fmac_f32_e32 v20, v23, v28
	v_fma_f32 v22, v22, v30, -v1
	v_fmac_f32_e32 v27, v23, v30
	v_mul_f32_e32 v23, v62, v35
	s_waitcnt lgkmcnt(1)
	v_mul_f32_e32 v0, v75, v33
	v_mul_f32_e32 v28, v74, v33
	;; [unrolled: 1-line block ×7, first 2 shown]
	v_fma_f32 v90, v62, v32, -v2
	v_fmac_f32_e32 v29, v63, v32
	v_fma_f32 v62, v62, v34, -v3
	v_fmac_f32_e32 v23, v63, v34
	;; [unrolled: 2-line block ×4, first 2 shown]
	v_mul_f32_e32 v34, v64, v61
	v_mul_f32_e32 v0, v77, v59
	;; [unrolled: 1-line block ×5, first 2 shown]
	v_fma_f32 v33, v64, v58, -v33
	v_fmac_f32_e32 v35, v65, v58
	v_fma_f32 v64, v64, v60, -v89
	v_fmac_f32_e32 v34, v65, v60
	v_mul_f32_e32 v2, v67, v71
	v_mul_f32_e32 v65, v66, v71
	;; [unrolled: 1-line block ×3, first 2 shown]
	v_fma_f32 v74, v76, v58, -v0
	v_fmac_f32_e32 v59, v77, v58
	v_fma_f32 v58, v76, v60, -v1
	v_fmac_f32_e32 v61, v77, v60
	v_mul_f32_e32 v60, v66, v73
	s_waitcnt lgkmcnt(0)
	v_mul_f32_e32 v0, v79, v71
	v_mul_f32_e32 v71, v78, v71
	;; [unrolled: 1-line block ×3, first 2 shown]
	v_fma_f32 v75, v66, v70, -v2
	v_fmac_f32_e32 v65, v67, v70
	v_fma_f32 v66, v66, v72, -v3
	v_fmac_f32_e32 v60, v67, v72
	;; [unrolled: 2-line block ×3, first 2 shown]
	v_fma_f32 v70, v78, v72, -v1
	ds_read2_b64 v[0:3], v54 offset0:224 offset1:240
	v_mul_f32_e32 v73, v78, v73
	v_fmac_f32_e32 v73, v79, v72
	v_add_f32_e32 v4, v48, v4
	v_add_f32_e32 v8, v39, v8
	s_waitcnt lgkmcnt(0)
	v_mul_f32_e32 v72, v69, v1
	v_mul_f32_e32 v77, v69, v3
	;; [unrolled: 1-line block ×3, first 2 shown]
	v_fma_f32 v72, v68, v0, -v72
	v_fma_f32 v77, v68, v2, -v77
	v_mul_f32_e32 v68, v68, v3
	v_fmac_f32_e32 v76, v69, v0
	v_fmac_f32_e32 v68, v69, v2
	v_mul_f32_e32 v69, v81, v1
	v_mul_f32_e32 v1, v80, v1
	;; [unrolled: 1-line block ×4, first 2 shown]
	v_fma_f32 v69, v80, v0, -v69
	v_fmac_f32_e32 v1, v81, v0
	v_fma_f32 v0, v80, v2, -v78
	v_fmac_f32_e32 v3, v81, v2
	v_add_f32_e32 v2, v36, v5
	v_add_f32_e32 v5, v38, v9
	v_add_f32_e32 v9, v50, v57
	v_add_f32_e32 v36, v51, v82
	v_add_f32_e32 v38, v49, v84
	v_add_f32_e32 v11, v37, v11
	v_add_f32_e32 v9, v9, v83
	v_add_f32_e32 v36, v36, v88
	v_add_f32_e32 v4, v4, v6
	v_add_f32_e32 v6, v38, v10
	v_add_f32_e32 v2, v2, v24
	v_add_f32_e32 v5, v5, v13
	v_add_f32_e32 v8, v8, v12
	v_add_f32_e32 v7, v11, v7
	v_add_f32_e32 v9, v9, v15
	v_add_f32_e32 v10, v36, v85
	v_add_f32_e32 v4, v4, v86
	v_add_f32_e32 v6, v6, v14
	v_add_f32_e32 v2, v2, v25
	v_add_f32_e32 v5, v5, v17
	v_add_f32_e32 v8, v8, v16
	v_add_f32_e32 v7, v7, v19
	v_add_f32_e32 v9, v9, v21
	v_add_f32_e32 v10, v10, v87
	v_add_f32_e32 v4, v4, v26
	v_add_f32_e32 v6, v6, v18
	v_add_f32_e32 v2, v2, v31
	v_add_f32_e32 v5, v5, v20
	v_add_f32_e32 v8, v8, v22
	v_add_f32_e32 v7, v7, v27
	v_add_f32_e32 v9, v9, v90
	v_add_f32_e32 v10, v10, v29
	v_add_f32_e32 v4, v4, v62
	v_add_f32_e32 v6, v6, v23
	v_add_f32_e32 v2, v2, v63
	v_add_f32_e32 v5, v5, v28
	v_add_f32_e32 v8, v8, v32
	v_add_f32_e32 v7, v7, v30
	v_add_f32_e32 v9, v9, v33
	v_add_f32_e32 v10, v10, v35
	v_add_f32_e32 v4, v4, v64
	v_add_f32_e32 v6, v6, v34
	v_add_f32_e32 v2, v2, v74
	v_add_f32_e32 v5, v5, v59
	v_add_f32_e32 v8, v8, v58
	v_add_f32_e32 v7, v7, v61
	v_add_f32_e32 v9, v9, v75
	v_add_f32_e32 v10, v10, v65
	v_add_f32_e32 v4, v4, v66
	v_add_f32_e32 v6, v6, v60
	v_add_f32_e32 v2, v2, v67
	v_add_f32_e32 v5, v5, v71
	v_add_f32_e32 v8, v8, v70
	v_add_f32_e32 v7, v7, v73
	v_add_f32_e32 v50, v9, v72
	v_add_f32_e32 v51, v10, v76
	v_add_f32_e32 v48, v4, v77
	v_add_f32_e32 v49, v6, v68
	v_add_f32_e32 v36, v2, v69
	v_add_f32_e32 v38, v5, v1
	v_add_f32_e32 v39, v8, v0
	v_add_f32_e32 v37, v7, v3
	s_barrier
	s_cbranch_vccnz .LBB246_2
	s_branch .LBB246_4
.LBB246_3:
	v_mov_b32_e32 v50, 0
	v_mov_b32_e32 v51, 0
	;; [unrolled: 1-line block ×8, first 2 shown]
.LBB246_4:
	s_lshl_b64 s[2:3], s[2:3], 3
	s_waitcnt lgkmcnt(0)
	s_add_u32 s8, s8, s2
	v_mov_b32_e32 v0, s29
	v_add_co_u32_e32 v4, vcc, s28, v47
	s_addc_u32 s9, s9, s3
	v_addc_co_u32_e32 v5, vcc, 0, v0, vcc
	s_or_b32 s2, s10, s11
	s_bitset0_b32 s2, 31
	v_mov_b32_e32 v1, s7
	v_add_co_u32_e32 v0, vcc, s6, v46
	s_cmp_lg_u32 s2, 0
	v_addc_co_u32_e32 v1, vcc, 0, v1, vcc
	s_cbranch_scc1 .LBB246_6
; %bb.5:
	v_mul_lo_u32 v6, v5, s0
	v_mul_lo_u32 v7, v4, s1
	v_mad_u64_u32 v[2:3], s[2:3], v4, s0, 0
	v_add3_u32 v3, v3, v7, v6
	v_lshlrev_b64 v[2:3], 3, v[2:3]
	v_mov_b32_e32 v6, s9
	v_add_co_u32_e32 v8, vcc, s8, v2
	v_addc_co_u32_e32 v9, vcc, v6, v3, vcc
	v_lshlrev_b64 v[6:7], 3, v[0:1]
	v_mul_f32_e32 v2, s15, v51
	v_mul_f32_e32 v3, s14, v51
	v_add_co_u32_e32 v6, vcc, v8, v6
	v_fma_f32 v2, v50, s14, -v2
	v_fmac_f32_e32 v3, s15, v50
	v_addc_co_u32_e32 v7, vcc, v9, v7, vcc
	global_store_dwordx2 v[6:7], v[2:3], off
	v_mul_f32_e32 v2, s15, v49
	v_mul_f32_e32 v3, s14, v49
	v_fma_f32 v2, v48, s14, -v2
	v_fmac_f32_e32 v3, s15, v48
	s_lshl_b64 s[2:3], s[0:1], 7
	global_store_dwordx2 v[6:7], v[2:3], off offset:128
	v_mul_f32_e32 v2, s15, v38
	v_mul_f32_e32 v3, s14, v38
	v_mov_b32_e32 v9, s3
	v_add_co_u32_e32 v8, vcc, s2, v6
	v_fma_f32 v2, v36, s14, -v2
	v_fmac_f32_e32 v3, s15, v36
	v_addc_co_u32_e32 v9, vcc, v7, v9, vcc
	global_store_dwordx2 v[8:9], v[2:3], off
	v_mul_f32_e32 v2, s15, v37
	v_fma_f32 v7, v39, s14, -v2
	v_mul_f32_e32 v6, s14, v37
	v_add_co_u32_e32 v2, vcc, 0x80, v8
	v_fmac_f32_e32 v6, s15, v39
	v_addc_co_u32_e32 v3, vcc, 0, v9, vcc
	global_store_dword v[8:9], v7, off offset:128
	s_cbranch_execz .LBB246_7
	s_branch .LBB246_8
.LBB246_6:
                                        ; implicit-def: $vgpr6
                                        ; implicit-def: $vgpr2_vgpr3
.LBB246_7:
	s_lshl_b64 s[2:3], s[40:41], 3
	s_add_u32 s4, s4, s2
	s_addc_u32 s5, s5, s3
	v_mul_lo_u32 v6, v5, s38
	v_mul_lo_u32 v7, v4, s39
	v_mad_u64_u32 v[2:3], s[2:3], v4, s38, 0
	v_add3_u32 v3, v3, v7, v6
	v_lshlrev_b64 v[2:3], 3, v[2:3]
	v_mov_b32_e32 v6, s5
	v_add_co_u32_e32 v2, vcc, s4, v2
	v_addc_co_u32_e32 v3, vcc, v6, v3, vcc
	v_lshlrev_b64 v[0:1], 3, v[0:1]
	v_add_co_u32_e32 v2, vcc, v2, v0
	v_addc_co_u32_e32 v3, vcc, v3, v1, vcc
	global_load_dwordx2 v[6:7], v[2:3], off
	v_mul_lo_u32 v8, v5, s0
	v_mul_lo_u32 v9, v4, s1
	v_mad_u64_u32 v[4:5], s[2:3], v4, s0, 0
	v_add3_u32 v5, v5, v9, v8
	v_lshlrev_b64 v[4:5], 3, v[4:5]
	v_mov_b32_e32 v10, s9
	v_add_co_u32_e32 v4, vcc, s8, v4
	v_addc_co_u32_e32 v5, vcc, v10, v5, vcc
	v_add_co_u32_e32 v0, vcc, v4, v0
	v_mul_f32_e32 v11, s15, v51
	v_mul_f32_e32 v12, s14, v51
	v_addc_co_u32_e32 v1, vcc, v5, v1, vcc
	v_fma_f32 v8, v50, s14, -v11
	v_fmac_f32_e32 v12, s15, v50
	s_lshl_b64 s[2:3], s[38:39], 7
	s_lshl_b64 s[0:1], s[0:1], 7
	s_waitcnt vmcnt(0)
	v_mul_f32_e32 v4, s11, v7
	v_mul_f32_e32 v5, s10, v7
	v_fma_f32 v4, v6, s10, -v4
	v_fmac_f32_e32 v5, s11, v6
	v_add_f32_e32 v4, v8, v4
	v_add_f32_e32 v5, v12, v5
	global_store_dwordx2 v[0:1], v[4:5], off
	global_load_dwordx2 v[4:5], v[2:3], off offset:128
	v_mov_b32_e32 v8, s3
	v_add_co_u32_e32 v2, vcc, s2, v2
	v_mul_f32_e32 v6, s15, v49
	v_mul_f32_e32 v7, s14, v49
	v_addc_co_u32_e32 v3, vcc, v3, v8, vcc
	v_fma_f32 v6, v48, s14, -v6
	v_fmac_f32_e32 v7, s15, v48
	s_waitcnt vmcnt(0)
	v_mul_f32_e32 v8, s11, v5
	v_mul_f32_e32 v5, s10, v5
	v_fma_f32 v8, v4, s10, -v8
	v_fmac_f32_e32 v5, s11, v4
	v_add_f32_e32 v4, v6, v8
	v_add_f32_e32 v5, v7, v5
	global_store_dwordx2 v[0:1], v[4:5], off offset:128
	global_load_dwordx2 v[4:5], v[2:3], off
	v_pk_mul_f32 v[6:7], v[38:39], s[14:15] op_sel_hi:[0,1]
	v_pk_fma_f32 v[8:9], v[36:37], s[14:15], v[6:7] op_sel:[0,0,1] op_sel_hi:[1,1,0] neg_lo:[0,0,1] neg_hi:[0,0,1]
	v_pk_fma_f32 v[6:7], v[36:37], s[14:15], v[6:7] op_sel:[0,0,1] op_sel_hi:[0,1,0]
	v_mov_b32_e32 v6, s1
	v_add_co_u32_e32 v0, vcc, s0, v0
	v_mov_b32_e32 v9, v7
	v_addc_co_u32_e32 v1, vcc, v1, v6, vcc
	s_waitcnt vmcnt(0)
	v_pk_mul_f32 v[6:7], v[4:5], s[10:11] op_sel:[0,1]
	v_pk_fma_f32 v[10:11], v[4:5], s[10:11], v[6:7] op_sel:[0,0,1] op_sel_hi:[1,1,0] neg_lo:[0,0,1] neg_hi:[0,0,1]
	v_pk_fma_f32 v[4:5], v[4:5], s[10:11], v[6:7] op_sel:[0,0,1] op_sel_hi:[1,0,0]
	v_mov_b32_e32 v11, v5
	v_pk_add_f32 v[4:5], v[8:9], v[10:11]
	global_store_dwordx2 v[0:1], v[4:5], off
	global_load_dwordx2 v[4:5], v[2:3], off offset:128
	v_mul_f32_e32 v2, s15, v37
	v_mul_f32_e32 v3, s14, v37
	v_fma_f32 v8, v39, s14, -v2
	v_fmac_f32_e32 v3, s15, v39
	v_add_co_u32_e32 v2, vcc, 0x80, v0
	s_waitcnt vmcnt(0)
	v_mul_f32_e32 v9, s10, v4
	v_pk_mul_f32 v[6:7], v[4:5], s[10:11] op_sel:[0,1] op_sel_hi:[1,0]
	v_fma_f32 v4, -v5, s11, v9
	v_add_f32_e32 v5, v6, v7
	v_add_f32_e32 v4, v8, v4
	;; [unrolled: 1-line block ×3, first 2 shown]
	v_addc_co_u32_e32 v3, vcc, 0, v1, vcc
	global_store_dword v[0:1], v4, off offset:128
.LBB246_8:
	global_store_dword v[2:3], v6, off offset:4
	s_endpgm
	.section	.rodata,"a",@progbits
	.p2align	6, 0x0
	.amdhsa_kernel _ZN12_GLOBAL__N_127rocblas_gemm_batched_kernelI19rocblas_complex_numIfELi16ELi16ELi32ELi32ELi8ELi32ELi8ELi8ELi32ELc84ELc84EKPKS2_S5_KPS2_EEvlllT_PT11_llSA_llS8_PT12_llPT13_lli
		.amdhsa_group_segment_fixed_size 4096
		.amdhsa_private_segment_fixed_size 0
		.amdhsa_kernarg_size 140
		.amdhsa_user_sgpr_count 6
		.amdhsa_user_sgpr_private_segment_buffer 1
		.amdhsa_user_sgpr_dispatch_ptr 0
		.amdhsa_user_sgpr_queue_ptr 0
		.amdhsa_user_sgpr_kernarg_segment_ptr 1
		.amdhsa_user_sgpr_dispatch_id 0
		.amdhsa_user_sgpr_flat_scratch_init 0
		.amdhsa_user_sgpr_kernarg_preload_length 0
		.amdhsa_user_sgpr_kernarg_preload_offset 0
		.amdhsa_user_sgpr_private_segment_size 0
		.amdhsa_uses_dynamic_stack 0
		.amdhsa_system_sgpr_private_segment_wavefront_offset 0
		.amdhsa_system_sgpr_workgroup_id_x 1
		.amdhsa_system_sgpr_workgroup_id_y 1
		.amdhsa_system_sgpr_workgroup_id_z 1
		.amdhsa_system_sgpr_workgroup_info 0
		.amdhsa_system_vgpr_workitem_id 1
		.amdhsa_next_free_vgpr 91
		.amdhsa_next_free_sgpr 44
		.amdhsa_accum_offset 92
		.amdhsa_reserve_vcc 1
		.amdhsa_reserve_flat_scratch 0
		.amdhsa_float_round_mode_32 0
		.amdhsa_float_round_mode_16_64 0
		.amdhsa_float_denorm_mode_32 3
		.amdhsa_float_denorm_mode_16_64 3
		.amdhsa_dx10_clamp 1
		.amdhsa_ieee_mode 1
		.amdhsa_fp16_overflow 0
		.amdhsa_tg_split 0
		.amdhsa_exception_fp_ieee_invalid_op 0
		.amdhsa_exception_fp_denorm_src 0
		.amdhsa_exception_fp_ieee_div_zero 0
		.amdhsa_exception_fp_ieee_overflow 0
		.amdhsa_exception_fp_ieee_underflow 0
		.amdhsa_exception_fp_ieee_inexact 0
		.amdhsa_exception_int_div_zero 0
	.end_amdhsa_kernel
	.section	.text._ZN12_GLOBAL__N_127rocblas_gemm_batched_kernelI19rocblas_complex_numIfELi16ELi16ELi32ELi32ELi8ELi32ELi8ELi8ELi32ELc84ELc84EKPKS2_S5_KPS2_EEvlllT_PT11_llSA_llS8_PT12_llPT13_lli,"axG",@progbits,_ZN12_GLOBAL__N_127rocblas_gemm_batched_kernelI19rocblas_complex_numIfELi16ELi16ELi32ELi32ELi8ELi32ELi8ELi8ELi32ELc84ELc84EKPKS2_S5_KPS2_EEvlllT_PT11_llSA_llS8_PT12_llPT13_lli,comdat
.Lfunc_end246:
	.size	_ZN12_GLOBAL__N_127rocblas_gemm_batched_kernelI19rocblas_complex_numIfELi16ELi16ELi32ELi32ELi8ELi32ELi8ELi8ELi32ELc84ELc84EKPKS2_S5_KPS2_EEvlllT_PT11_llSA_llS8_PT12_llPT13_lli, .Lfunc_end246-_ZN12_GLOBAL__N_127rocblas_gemm_batched_kernelI19rocblas_complex_numIfELi16ELi16ELi32ELi32ELi8ELi32ELi8ELi8ELi32ELc84ELc84EKPKS2_S5_KPS2_EEvlllT_PT11_llSA_llS8_PT12_llPT13_lli
                                        ; -- End function
	.section	.AMDGPU.csdata,"",@progbits
; Kernel info:
; codeLenInByte = 2392
; NumSgprs: 48
; NumVgprs: 91
; NumAgprs: 0
; TotalNumVgprs: 91
; ScratchSize: 0
; MemoryBound: 0
; FloatMode: 240
; IeeeMode: 1
; LDSByteSize: 4096 bytes/workgroup (compile time only)
; SGPRBlocks: 5
; VGPRBlocks: 11
; NumSGPRsForWavesPerEU: 48
; NumVGPRsForWavesPerEU: 91
; AccumOffset: 92
; Occupancy: 5
; WaveLimiterHint : 1
; COMPUTE_PGM_RSRC2:SCRATCH_EN: 0
; COMPUTE_PGM_RSRC2:USER_SGPR: 6
; COMPUTE_PGM_RSRC2:TRAP_HANDLER: 0
; COMPUTE_PGM_RSRC2:TGID_X_EN: 1
; COMPUTE_PGM_RSRC2:TGID_Y_EN: 1
; COMPUTE_PGM_RSRC2:TGID_Z_EN: 1
; COMPUTE_PGM_RSRC2:TIDIG_COMP_CNT: 1
; COMPUTE_PGM_RSRC3_GFX90A:ACCUM_OFFSET: 22
; COMPUTE_PGM_RSRC3_GFX90A:TG_SPLIT: 0
	.section	.text._ZN12_GLOBAL__N_127rocblas_gemm_batched_kernelI19rocblas_complex_numIfELi16ELi16ELi32ELi32ELi8ELi32ELi8ELi8ELi32ELc67ELc67EKPKS2_S5_KPS2_EEvlllT_PT11_llSA_llS8_PT12_llPT13_lli,"axG",@progbits,_ZN12_GLOBAL__N_127rocblas_gemm_batched_kernelI19rocblas_complex_numIfELi16ELi16ELi32ELi32ELi8ELi32ELi8ELi8ELi32ELc67ELc67EKPKS2_S5_KPS2_EEvlllT_PT11_llSA_llS8_PT12_llPT13_lli,comdat
	.globl	_ZN12_GLOBAL__N_127rocblas_gemm_batched_kernelI19rocblas_complex_numIfELi16ELi16ELi32ELi32ELi8ELi32ELi8ELi8ELi32ELc67ELc67EKPKS2_S5_KPS2_EEvlllT_PT11_llSA_llS8_PT12_llPT13_lli ; -- Begin function _ZN12_GLOBAL__N_127rocblas_gemm_batched_kernelI19rocblas_complex_numIfELi16ELi16ELi32ELi32ELi8ELi32ELi8ELi8ELi32ELc67ELc67EKPKS2_S5_KPS2_EEvlllT_PT11_llSA_llS8_PT12_llPT13_lli
	.p2align	8
	.type	_ZN12_GLOBAL__N_127rocblas_gemm_batched_kernelI19rocblas_complex_numIfELi16ELi16ELi32ELi32ELi8ELi32ELi8ELi8ELi32ELc67ELc67EKPKS2_S5_KPS2_EEvlllT_PT11_llSA_llS8_PT12_llPT13_lli,@function
_ZN12_GLOBAL__N_127rocblas_gemm_batched_kernelI19rocblas_complex_numIfELi16ELi16ELi32ELi32ELi8ELi32ELi8ELi8ELi32ELc67ELc67EKPKS2_S5_KPS2_EEvlllT_PT11_llSA_llS8_PT12_llPT13_lli: ; @_ZN12_GLOBAL__N_127rocblas_gemm_batched_kernelI19rocblas_complex_numIfELi16ELi16ELi32ELi32ELi8ELi32ELi8ELi8ELi32ELc67ELc67EKPKS2_S5_KPS2_EEvlllT_PT11_llSA_llS8_PT12_llPT13_lli
; %bb.0:
	s_load_dwordx16 s[12:27], s[4:5], 0x10
	s_load_dwordx4 s[0:3], s[4:5], 0x78
	s_load_dwordx8 s[36:43], s[4:5], 0x58
	s_load_dwordx2 s[10:11], s[4:5], 0x50
	s_mov_b32 s9, 0
	s_lshl_b64 s[30:31], s[8:9], 3
	s_mov_b32 s28, s7
	s_waitcnt lgkmcnt(0)
	s_add_u32 s4, s36, s30
	s_addc_u32 s5, s37, s31
	s_add_u32 s8, s42, s30
	s_addc_u32 s9, s43, s31
	s_load_dwordx2 s[4:5], s[4:5], 0x0
	s_ashr_i32 s7, s6, 31
	s_load_dwordx2 s[8:9], s[8:9], 0x0
	s_ashr_i32 s29, s28, 31
	v_cmp_lt_i64_e64 s[34:35], s[12:13], 1
	v_bfe_u32 v47, v0, 10, 10
	v_and_b32_e32 v46, 0x3ff, v0
	s_lshl_b64 s[6:7], s[6:7], 5
	s_lshl_b64 s[28:29], s[28:29], 5
	s_and_b64 vcc, exec, s[34:35]
	s_cbranch_vccnz .LBB247_3
; %bb.1:
	v_lshl_add_u32 v4, v47, 4, v46
	s_add_u32 s16, s16, s30
	v_lshrrev_b32_e32 v5, 3, v4
	s_addc_u32 s17, s17, s31
	v_mov_b32_e32 v1, s29
	v_add_co_u32_e32 v0, vcc, s28, v5
	s_add_u32 s22, s22, s30
	v_addc_co_u32_e32 v1, vcc, 0, v1, vcc
	v_and_b32_e32 v6, 7, v46
	s_addc_u32 s23, s23, s31
	v_mad_u64_u32 v[0:1], s[30:31], v6, s24, v[0:1]
	v_mov_b32_e32 v2, v1
	v_mad_u64_u32 v[2:3], s[30:31], v6, s25, v[2:3]
	v_mov_b32_e32 v1, v2
	v_and_b32_e32 v2, 31, v4
	v_lshrrev_b32_e32 v4, 5, v4
	v_lshlrev_b32_e32 v3, 3, v2
	v_lshl_or_b32 v52, v4, 8, v3
	v_lshlrev_b32_e32 v3, 3, v6
	v_lshl_or_b32 v3, v5, 6, v3
	v_add_u32_e32 v53, 0x800, v3
	v_mov_b32_e32 v3, 0x800
	v_lshl_add_u32 v55, v47, 6, v3
	v_mov_b32_e32 v3, s7
	v_add_co_u32_e32 v2, vcc, s6, v2
	v_addc_co_u32_e32 v3, vcc, 0, v3, vcc
	v_mul_lo_u32 v5, s19, v2
	v_mul_lo_u32 v6, s18, v3
	v_mad_u64_u32 v[2:3], s[18:19], s18, v2, 0
	v_add3_u32 v3, v3, v6, v5
	s_load_dwordx2 s[16:17], s[16:17], 0x0
	v_lshlrev_b64 v[2:3], 3, v[2:3]
	s_lshl_b64 s[18:19], s[20:21], 3
	s_load_dwordx2 s[22:23], s[22:23], 0x0
	v_mov_b32_e32 v5, s19
	v_add_co_u32_e32 v2, vcc, s18, v2
	v_addc_co_u32_e32 v3, vcc, v3, v5, vcc
	v_lshlrev_b32_e32 v4, 3, v4
	v_add_co_u32_e32 v2, vcc, v2, v4
	v_addc_co_u32_e32 v3, vcc, 0, v3, vcc
	s_waitcnt lgkmcnt(0)
	v_mov_b32_e32 v4, s17
	v_add_co_u32_e32 v40, vcc, s16, v2
	s_lshl_b64 s[16:17], s[26:27], 3
	s_add_u32 s16, s22, s16
	v_addc_co_u32_e32 v41, vcc, v4, v3, vcc
	v_lshlrev_b64 v[0:1], 3, v[0:1]
	s_addc_u32 s17, s23, s17
	v_mov_b32_e32 v2, s17
	v_add_co_u32_e32 v0, vcc, s16, v0
	v_addc_co_u32_e32 v1, vcc, v2, v1, vcc
	v_add_co_u32_e32 v42, vcc, 4, v0
	s_lshl_b64 s[16:17], s[24:25], 6
	v_lshlrev_b32_e32 v54, 3, v46
	v_addc_co_u32_e32 v43, vcc, 0, v1, vcc
	s_mov_b64 s[18:19], 0
	v_mov_b32_e32 v37, 0
	v_mov_b32_e32 v56, s17
	v_pk_mov_b32 v[44:45], s[12:13], s[12:13] op_sel:[0,1]
	v_mov_b32_e32 v39, 0
	v_mov_b32_e32 v38, 0
	;; [unrolled: 1-line block ×7, first 2 shown]
.LBB247_2:                              ; =>This Inner Loop Header: Depth=1
	global_load_dwordx2 v[0:1], v[40:41], off
	global_load_dwordx2 v[2:3], v[42:43], off offset:-4
	v_add_co_u32_e32 v40, vcc, 64, v40
	v_addc_co_u32_e32 v41, vcc, 0, v41, vcc
	s_add_u32 s18, s18, 8
	v_add_co_u32_e32 v42, vcc, s16, v42
	v_addc_co_u32_e32 v43, vcc, v43, v56, vcc
	s_addc_u32 s19, s19, 0
	v_cmp_lt_i64_e32 vcc, s[18:19], v[44:45]
	s_and_b64 vcc, exec, vcc
	s_waitcnt vmcnt(1)
	v_xor_b32_e32 v1, 0x80000000, v1
	s_waitcnt vmcnt(0)
	v_xor_b32_e32 v3, 0x80000000, v3
	ds_write_b64 v52, v[0:1]
	ds_write_b64 v53, v[2:3]
	s_waitcnt lgkmcnt(0)
	s_barrier
	ds_read_b128 v[4:7], v55
	ds_read_b128 v[0:3], v55 offset:16
	ds_read2_b64 v[8:11], v54 offset1:16
	ds_read2_b64 v[12:15], v54 offset0:32 offset1:48
	ds_read2_b64 v[16:19], v54 offset0:64 offset1:80
	ds_read_b128 v[24:27], v55 offset:1024
	ds_read_b128 v[20:23], v55 offset:1040
	ds_read2_b64 v[28:31], v54 offset0:96 offset1:112
	ds_read2_b64 v[32:35], v54 offset0:128 offset1:144
	;; [unrolled: 1-line block ×3, first 2 shown]
	ds_read_b128 v[62:65], v55 offset:32
	ds_read_b128 v[66:69], v55 offset:48
	ds_read2_b64 v[70:73], v54 offset0:192 offset1:208
	ds_read_b128 v[74:77], v55 offset:1056
	ds_read_b128 v[78:81], v55 offset:1072
	s_waitcnt lgkmcnt(12)
	v_mul_f32_e32 v57, v5, v9
	v_mul_f32_e32 v82, v4, v9
	;; [unrolled: 1-line block ×4, first 2 shown]
	s_waitcnt lgkmcnt(9)
	v_mul_f32_e32 v85, v25, v9
	v_mul_f32_e32 v9, v24, v9
	;; [unrolled: 1-line block ×5, first 2 shown]
	v_fma_f32 v57, v4, v8, -v57
	v_fmac_f32_e32 v82, v5, v8
	v_fma_f32 v4, v4, v10, -v83
	v_fmac_f32_e32 v84, v5, v10
	;; [unrolled: 2-line block ×4, first 2 shown]
	v_mul_f32_e32 v10, v6, v15
	v_mul_f32_e32 v87, v7, v13
	;; [unrolled: 1-line block ×6, first 2 shown]
	v_fmac_f32_e32 v88, v7, v12
	v_fmac_f32_e32 v10, v7, v14
	v_mul_f32_e32 v7, v26, v15
	v_fma_f32 v83, v6, v12, -v87
	v_fma_f32 v6, v6, v14, -v89
	v_mul_f32_e32 v15, v1, v17
	v_mul_f32_e32 v85, v0, v17
	;; [unrolled: 1-line block ×3, first 2 shown]
	v_fma_f32 v24, v26, v12, -v24
	v_fmac_f32_e32 v13, v27, v12
	v_fma_f32 v12, v26, v14, -v25
	v_fmac_f32_e32 v7, v27, v14
	v_mul_f32_e32 v14, v0, v19
	s_waitcnt lgkmcnt(8)
	v_mul_f32_e32 v25, v21, v17
	v_mul_f32_e32 v17, v20, v17
	;; [unrolled: 1-line block ×4, first 2 shown]
	s_waitcnt lgkmcnt(7)
	v_mul_f32_e32 v27, v3, v29
	v_mul_f32_e32 v87, v2, v29
	;; [unrolled: 1-line block ×3, first 2 shown]
	v_fma_f32 v15, v0, v16, -v15
	v_fmac_f32_e32 v85, v1, v16
	v_fma_f32 v86, v0, v18, -v86
	v_fmac_f32_e32 v14, v1, v18
	;; [unrolled: 2-line block ×4, first 2 shown]
	v_mul_f32_e32 v18, v2, v31
	v_mul_f32_e32 v0, v23, v29
	;; [unrolled: 1-line block ×4, first 2 shown]
	v_fma_f32 v21, v2, v28, -v27
	v_mul_f32_e32 v27, v22, v31
	v_fmac_f32_e32 v87, v3, v28
	v_fma_f32 v26, v2, v30, -v89
	v_fmac_f32_e32 v18, v3, v30
	s_waitcnt lgkmcnt(4)
	v_mul_f32_e32 v2, v63, v33
	v_mul_f32_e32 v29, v62, v33
	;; [unrolled: 1-line block ×3, first 2 shown]
	v_fma_f32 v31, v22, v28, -v0
	v_fmac_f32_e32 v20, v23, v28
	v_fma_f32 v22, v22, v30, -v1
	v_fmac_f32_e32 v27, v23, v30
	v_mul_f32_e32 v23, v62, v35
	s_waitcnt lgkmcnt(1)
	v_mul_f32_e32 v0, v75, v33
	v_mul_f32_e32 v28, v74, v33
	;; [unrolled: 1-line block ×7, first 2 shown]
	v_fma_f32 v90, v62, v32, -v2
	v_fmac_f32_e32 v29, v63, v32
	v_fma_f32 v62, v62, v34, -v3
	v_fmac_f32_e32 v23, v63, v34
	v_fma_f32 v63, v74, v32, -v0
	v_fmac_f32_e32 v28, v75, v32
	v_fma_f32 v32, v74, v34, -v1
	v_fmac_f32_e32 v30, v75, v34
	v_mul_f32_e32 v34, v64, v61
	v_mul_f32_e32 v0, v77, v59
	;; [unrolled: 1-line block ×5, first 2 shown]
	v_fma_f32 v33, v64, v58, -v33
	v_fmac_f32_e32 v35, v65, v58
	v_fma_f32 v64, v64, v60, -v89
	v_fmac_f32_e32 v34, v65, v60
	v_mul_f32_e32 v2, v67, v71
	v_mul_f32_e32 v65, v66, v71
	;; [unrolled: 1-line block ×3, first 2 shown]
	v_fma_f32 v74, v76, v58, -v0
	v_fmac_f32_e32 v59, v77, v58
	v_fma_f32 v58, v76, v60, -v1
	v_fmac_f32_e32 v61, v77, v60
	v_mul_f32_e32 v60, v66, v73
	s_waitcnt lgkmcnt(0)
	v_mul_f32_e32 v0, v79, v71
	v_mul_f32_e32 v71, v78, v71
	;; [unrolled: 1-line block ×3, first 2 shown]
	v_fma_f32 v75, v66, v70, -v2
	v_fmac_f32_e32 v65, v67, v70
	v_fma_f32 v66, v66, v72, -v3
	v_fmac_f32_e32 v60, v67, v72
	;; [unrolled: 2-line block ×3, first 2 shown]
	v_fma_f32 v70, v78, v72, -v1
	ds_read2_b64 v[0:3], v54 offset0:224 offset1:240
	v_mul_f32_e32 v73, v78, v73
	v_fmac_f32_e32 v73, v79, v72
	v_add_f32_e32 v4, v48, v4
	v_add_f32_e32 v8, v39, v8
	s_waitcnt lgkmcnt(0)
	v_mul_f32_e32 v72, v69, v1
	v_mul_f32_e32 v77, v69, v3
	v_mul_f32_e32 v76, v68, v1
	v_fma_f32 v72, v68, v0, -v72
	v_fma_f32 v77, v68, v2, -v77
	v_mul_f32_e32 v68, v68, v3
	v_fmac_f32_e32 v76, v69, v0
	v_fmac_f32_e32 v68, v69, v2
	v_mul_f32_e32 v69, v81, v1
	v_mul_f32_e32 v1, v80, v1
	;; [unrolled: 1-line block ×4, first 2 shown]
	v_fma_f32 v69, v80, v0, -v69
	v_fmac_f32_e32 v1, v81, v0
	v_fma_f32 v0, v80, v2, -v78
	v_fmac_f32_e32 v3, v81, v2
	v_add_f32_e32 v2, v36, v5
	v_add_f32_e32 v5, v38, v9
	;; [unrolled: 1-line block ×62, first 2 shown]
	s_barrier
	s_cbranch_vccnz .LBB247_2
	s_branch .LBB247_4
.LBB247_3:
	v_mov_b32_e32 v50, 0
	v_mov_b32_e32 v51, 0
	;; [unrolled: 1-line block ×8, first 2 shown]
.LBB247_4:
	s_lshl_b64 s[2:3], s[2:3], 3
	s_waitcnt lgkmcnt(0)
	s_add_u32 s8, s8, s2
	v_mov_b32_e32 v0, s29
	v_add_co_u32_e32 v4, vcc, s28, v47
	s_addc_u32 s9, s9, s3
	v_addc_co_u32_e32 v5, vcc, 0, v0, vcc
	s_or_b32 s2, s10, s11
	s_bitset0_b32 s2, 31
	v_mov_b32_e32 v1, s7
	v_add_co_u32_e32 v0, vcc, s6, v46
	s_cmp_lg_u32 s2, 0
	v_addc_co_u32_e32 v1, vcc, 0, v1, vcc
	s_cbranch_scc1 .LBB247_6
; %bb.5:
	v_mul_lo_u32 v6, v5, s0
	v_mul_lo_u32 v7, v4, s1
	v_mad_u64_u32 v[2:3], s[2:3], v4, s0, 0
	v_add3_u32 v3, v3, v7, v6
	v_lshlrev_b64 v[2:3], 3, v[2:3]
	v_mov_b32_e32 v6, s9
	v_add_co_u32_e32 v8, vcc, s8, v2
	v_addc_co_u32_e32 v9, vcc, v6, v3, vcc
	v_lshlrev_b64 v[6:7], 3, v[0:1]
	v_mul_f32_e32 v2, s15, v51
	v_mul_f32_e32 v3, s14, v51
	v_add_co_u32_e32 v6, vcc, v8, v6
	v_fma_f32 v2, v50, s14, -v2
	v_fmac_f32_e32 v3, s15, v50
	v_addc_co_u32_e32 v7, vcc, v9, v7, vcc
	global_store_dwordx2 v[6:7], v[2:3], off
	v_mul_f32_e32 v2, s15, v49
	v_mul_f32_e32 v3, s14, v49
	v_fma_f32 v2, v48, s14, -v2
	v_fmac_f32_e32 v3, s15, v48
	s_lshl_b64 s[2:3], s[0:1], 7
	global_store_dwordx2 v[6:7], v[2:3], off offset:128
	v_mul_f32_e32 v2, s15, v38
	v_mul_f32_e32 v3, s14, v38
	v_mov_b32_e32 v9, s3
	v_add_co_u32_e32 v8, vcc, s2, v6
	v_fma_f32 v2, v36, s14, -v2
	v_fmac_f32_e32 v3, s15, v36
	v_addc_co_u32_e32 v9, vcc, v7, v9, vcc
	global_store_dwordx2 v[8:9], v[2:3], off
	v_mul_f32_e32 v2, s15, v37
	v_fma_f32 v7, v39, s14, -v2
	v_mul_f32_e32 v6, s14, v37
	v_add_co_u32_e32 v2, vcc, 0x80, v8
	v_fmac_f32_e32 v6, s15, v39
	v_addc_co_u32_e32 v3, vcc, 0, v9, vcc
	global_store_dword v[8:9], v7, off offset:128
	s_cbranch_execz .LBB247_7
	s_branch .LBB247_8
.LBB247_6:
                                        ; implicit-def: $vgpr6
                                        ; implicit-def: $vgpr2_vgpr3
.LBB247_7:
	s_lshl_b64 s[2:3], s[40:41], 3
	s_add_u32 s4, s4, s2
	s_addc_u32 s5, s5, s3
	v_mul_lo_u32 v6, v5, s38
	v_mul_lo_u32 v7, v4, s39
	v_mad_u64_u32 v[2:3], s[2:3], v4, s38, 0
	v_add3_u32 v3, v3, v7, v6
	v_lshlrev_b64 v[2:3], 3, v[2:3]
	v_mov_b32_e32 v6, s5
	v_add_co_u32_e32 v2, vcc, s4, v2
	v_addc_co_u32_e32 v3, vcc, v6, v3, vcc
	v_lshlrev_b64 v[0:1], 3, v[0:1]
	v_add_co_u32_e32 v2, vcc, v2, v0
	v_addc_co_u32_e32 v3, vcc, v3, v1, vcc
	global_load_dwordx2 v[6:7], v[2:3], off
	v_mul_lo_u32 v8, v5, s0
	v_mul_lo_u32 v9, v4, s1
	v_mad_u64_u32 v[4:5], s[2:3], v4, s0, 0
	v_add3_u32 v5, v5, v9, v8
	v_lshlrev_b64 v[4:5], 3, v[4:5]
	v_mov_b32_e32 v10, s9
	v_add_co_u32_e32 v4, vcc, s8, v4
	v_addc_co_u32_e32 v5, vcc, v10, v5, vcc
	v_add_co_u32_e32 v0, vcc, v4, v0
	v_mul_f32_e32 v11, s15, v51
	v_mul_f32_e32 v12, s14, v51
	v_addc_co_u32_e32 v1, vcc, v5, v1, vcc
	v_fma_f32 v8, v50, s14, -v11
	v_fmac_f32_e32 v12, s15, v50
	s_lshl_b64 s[2:3], s[38:39], 7
	s_lshl_b64 s[0:1], s[0:1], 7
	s_waitcnt vmcnt(0)
	v_mul_f32_e32 v4, s11, v7
	v_mul_f32_e32 v5, s10, v7
	v_fma_f32 v4, v6, s10, -v4
	v_fmac_f32_e32 v5, s11, v6
	v_add_f32_e32 v4, v8, v4
	v_add_f32_e32 v5, v12, v5
	global_store_dwordx2 v[0:1], v[4:5], off
	global_load_dwordx2 v[4:5], v[2:3], off offset:128
	v_mov_b32_e32 v8, s3
	v_add_co_u32_e32 v2, vcc, s2, v2
	v_mul_f32_e32 v6, s15, v49
	v_mul_f32_e32 v7, s14, v49
	v_addc_co_u32_e32 v3, vcc, v3, v8, vcc
	v_fma_f32 v6, v48, s14, -v6
	v_fmac_f32_e32 v7, s15, v48
	s_waitcnt vmcnt(0)
	v_mul_f32_e32 v8, s11, v5
	v_mul_f32_e32 v5, s10, v5
	v_fma_f32 v8, v4, s10, -v8
	v_fmac_f32_e32 v5, s11, v4
	v_add_f32_e32 v4, v6, v8
	v_add_f32_e32 v5, v7, v5
	global_store_dwordx2 v[0:1], v[4:5], off offset:128
	global_load_dwordx2 v[4:5], v[2:3], off
	v_pk_mul_f32 v[6:7], v[38:39], s[14:15] op_sel_hi:[0,1]
	v_pk_fma_f32 v[8:9], v[36:37], s[14:15], v[6:7] op_sel:[0,0,1] op_sel_hi:[1,1,0] neg_lo:[0,0,1] neg_hi:[0,0,1]
	v_pk_fma_f32 v[6:7], v[36:37], s[14:15], v[6:7] op_sel:[0,0,1] op_sel_hi:[0,1,0]
	v_mov_b32_e32 v6, s1
	v_add_co_u32_e32 v0, vcc, s0, v0
	v_mov_b32_e32 v9, v7
	v_addc_co_u32_e32 v1, vcc, v1, v6, vcc
	s_waitcnt vmcnt(0)
	v_pk_mul_f32 v[6:7], v[4:5], s[10:11] op_sel:[0,1]
	v_pk_fma_f32 v[10:11], v[4:5], s[10:11], v[6:7] op_sel:[0,0,1] op_sel_hi:[1,1,0] neg_lo:[0,0,1] neg_hi:[0,0,1]
	v_pk_fma_f32 v[4:5], v[4:5], s[10:11], v[6:7] op_sel:[0,0,1] op_sel_hi:[1,0,0]
	v_mov_b32_e32 v11, v5
	v_pk_add_f32 v[4:5], v[8:9], v[10:11]
	global_store_dwordx2 v[0:1], v[4:5], off
	global_load_dwordx2 v[4:5], v[2:3], off offset:128
	v_mul_f32_e32 v2, s15, v37
	v_mul_f32_e32 v3, s14, v37
	v_fma_f32 v8, v39, s14, -v2
	v_fmac_f32_e32 v3, s15, v39
	v_add_co_u32_e32 v2, vcc, 0x80, v0
	s_waitcnt vmcnt(0)
	v_mul_f32_e32 v9, s10, v4
	v_pk_mul_f32 v[6:7], v[4:5], s[10:11] op_sel:[0,1] op_sel_hi:[1,0]
	v_fma_f32 v4, -v5, s11, v9
	v_add_f32_e32 v5, v6, v7
	v_add_f32_e32 v4, v8, v4
	;; [unrolled: 1-line block ×3, first 2 shown]
	v_addc_co_u32_e32 v3, vcc, 0, v1, vcc
	global_store_dword v[0:1], v4, off offset:128
.LBB247_8:
	global_store_dword v[2:3], v6, off offset:4
	s_endpgm
	.section	.rodata,"a",@progbits
	.p2align	6, 0x0
	.amdhsa_kernel _ZN12_GLOBAL__N_127rocblas_gemm_batched_kernelI19rocblas_complex_numIfELi16ELi16ELi32ELi32ELi8ELi32ELi8ELi8ELi32ELc67ELc67EKPKS2_S5_KPS2_EEvlllT_PT11_llSA_llS8_PT12_llPT13_lli
		.amdhsa_group_segment_fixed_size 4096
		.amdhsa_private_segment_fixed_size 0
		.amdhsa_kernarg_size 140
		.amdhsa_user_sgpr_count 6
		.amdhsa_user_sgpr_private_segment_buffer 1
		.amdhsa_user_sgpr_dispatch_ptr 0
		.amdhsa_user_sgpr_queue_ptr 0
		.amdhsa_user_sgpr_kernarg_segment_ptr 1
		.amdhsa_user_sgpr_dispatch_id 0
		.amdhsa_user_sgpr_flat_scratch_init 0
		.amdhsa_user_sgpr_kernarg_preload_length 0
		.amdhsa_user_sgpr_kernarg_preload_offset 0
		.amdhsa_user_sgpr_private_segment_size 0
		.amdhsa_uses_dynamic_stack 0
		.amdhsa_system_sgpr_private_segment_wavefront_offset 0
		.amdhsa_system_sgpr_workgroup_id_x 1
		.amdhsa_system_sgpr_workgroup_id_y 1
		.amdhsa_system_sgpr_workgroup_id_z 1
		.amdhsa_system_sgpr_workgroup_info 0
		.amdhsa_system_vgpr_workitem_id 1
		.amdhsa_next_free_vgpr 91
		.amdhsa_next_free_sgpr 44
		.amdhsa_accum_offset 92
		.amdhsa_reserve_vcc 1
		.amdhsa_reserve_flat_scratch 0
		.amdhsa_float_round_mode_32 0
		.amdhsa_float_round_mode_16_64 0
		.amdhsa_float_denorm_mode_32 3
		.amdhsa_float_denorm_mode_16_64 3
		.amdhsa_dx10_clamp 1
		.amdhsa_ieee_mode 1
		.amdhsa_fp16_overflow 0
		.amdhsa_tg_split 0
		.amdhsa_exception_fp_ieee_invalid_op 0
		.amdhsa_exception_fp_denorm_src 0
		.amdhsa_exception_fp_ieee_div_zero 0
		.amdhsa_exception_fp_ieee_overflow 0
		.amdhsa_exception_fp_ieee_underflow 0
		.amdhsa_exception_fp_ieee_inexact 0
		.amdhsa_exception_int_div_zero 0
	.end_amdhsa_kernel
	.section	.text._ZN12_GLOBAL__N_127rocblas_gemm_batched_kernelI19rocblas_complex_numIfELi16ELi16ELi32ELi32ELi8ELi32ELi8ELi8ELi32ELc67ELc67EKPKS2_S5_KPS2_EEvlllT_PT11_llSA_llS8_PT12_llPT13_lli,"axG",@progbits,_ZN12_GLOBAL__N_127rocblas_gemm_batched_kernelI19rocblas_complex_numIfELi16ELi16ELi32ELi32ELi8ELi32ELi8ELi8ELi32ELc67ELc67EKPKS2_S5_KPS2_EEvlllT_PT11_llSA_llS8_PT12_llPT13_lli,comdat
.Lfunc_end247:
	.size	_ZN12_GLOBAL__N_127rocblas_gemm_batched_kernelI19rocblas_complex_numIfELi16ELi16ELi32ELi32ELi8ELi32ELi8ELi8ELi32ELc67ELc67EKPKS2_S5_KPS2_EEvlllT_PT11_llSA_llS8_PT12_llPT13_lli, .Lfunc_end247-_ZN12_GLOBAL__N_127rocblas_gemm_batched_kernelI19rocblas_complex_numIfELi16ELi16ELi32ELi32ELi8ELi32ELi8ELi8ELi32ELc67ELc67EKPKS2_S5_KPS2_EEvlllT_PT11_llSA_llS8_PT12_llPT13_lli
                                        ; -- End function
	.section	.AMDGPU.csdata,"",@progbits
; Kernel info:
; codeLenInByte = 2416
; NumSgprs: 48
; NumVgprs: 91
; NumAgprs: 0
; TotalNumVgprs: 91
; ScratchSize: 0
; MemoryBound: 0
; FloatMode: 240
; IeeeMode: 1
; LDSByteSize: 4096 bytes/workgroup (compile time only)
; SGPRBlocks: 5
; VGPRBlocks: 11
; NumSGPRsForWavesPerEU: 48
; NumVGPRsForWavesPerEU: 91
; AccumOffset: 92
; Occupancy: 5
; WaveLimiterHint : 1
; COMPUTE_PGM_RSRC2:SCRATCH_EN: 0
; COMPUTE_PGM_RSRC2:USER_SGPR: 6
; COMPUTE_PGM_RSRC2:TRAP_HANDLER: 0
; COMPUTE_PGM_RSRC2:TGID_X_EN: 1
; COMPUTE_PGM_RSRC2:TGID_Y_EN: 1
; COMPUTE_PGM_RSRC2:TGID_Z_EN: 1
; COMPUTE_PGM_RSRC2:TIDIG_COMP_CNT: 1
; COMPUTE_PGM_RSRC3_GFX90A:ACCUM_OFFSET: 22
; COMPUTE_PGM_RSRC3_GFX90A:TG_SPLIT: 0
	.section	.text._ZN12_GLOBAL__N_127rocblas_gemm_batched_kernelI19rocblas_complex_numIfELi16ELi16ELi32ELi32ELi8ELi32ELi8ELi8ELi32ELc67ELc78EKPKS2_S5_KPS2_EEvlllT_PT11_llSA_llS8_PT12_llPT13_lli,"axG",@progbits,_ZN12_GLOBAL__N_127rocblas_gemm_batched_kernelI19rocblas_complex_numIfELi16ELi16ELi32ELi32ELi8ELi32ELi8ELi8ELi32ELc67ELc78EKPKS2_S5_KPS2_EEvlllT_PT11_llSA_llS8_PT12_llPT13_lli,comdat
	.globl	_ZN12_GLOBAL__N_127rocblas_gemm_batched_kernelI19rocblas_complex_numIfELi16ELi16ELi32ELi32ELi8ELi32ELi8ELi8ELi32ELc67ELc78EKPKS2_S5_KPS2_EEvlllT_PT11_llSA_llS8_PT12_llPT13_lli ; -- Begin function _ZN12_GLOBAL__N_127rocblas_gemm_batched_kernelI19rocblas_complex_numIfELi16ELi16ELi32ELi32ELi8ELi32ELi8ELi8ELi32ELc67ELc78EKPKS2_S5_KPS2_EEvlllT_PT11_llSA_llS8_PT12_llPT13_lli
	.p2align	8
	.type	_ZN12_GLOBAL__N_127rocblas_gemm_batched_kernelI19rocblas_complex_numIfELi16ELi16ELi32ELi32ELi8ELi32ELi8ELi8ELi32ELc67ELc78EKPKS2_S5_KPS2_EEvlllT_PT11_llSA_llS8_PT12_llPT13_lli,@function
_ZN12_GLOBAL__N_127rocblas_gemm_batched_kernelI19rocblas_complex_numIfELi16ELi16ELi32ELi32ELi8ELi32ELi8ELi8ELi32ELc67ELc78EKPKS2_S5_KPS2_EEvlllT_PT11_llSA_llS8_PT12_llPT13_lli: ; @_ZN12_GLOBAL__N_127rocblas_gemm_batched_kernelI19rocblas_complex_numIfELi16ELi16ELi32ELi32ELi8ELi32ELi8ELi8ELi32ELc67ELc78EKPKS2_S5_KPS2_EEvlllT_PT11_llSA_llS8_PT12_llPT13_lli
; %bb.0:
	s_load_dwordx16 s[12:27], s[4:5], 0x10
	s_load_dwordx4 s[0:3], s[4:5], 0x78
	s_load_dwordx8 s[36:43], s[4:5], 0x58
	s_load_dwordx2 s[10:11], s[4:5], 0x50
	s_mov_b32 s9, 0
	s_lshl_b64 s[30:31], s[8:9], 3
	s_mov_b32 s28, s7
	s_waitcnt lgkmcnt(0)
	s_add_u32 s4, s36, s30
	s_addc_u32 s5, s37, s31
	s_add_u32 s8, s42, s30
	s_addc_u32 s9, s43, s31
	s_load_dwordx2 s[4:5], s[4:5], 0x0
	s_ashr_i32 s7, s6, 31
	s_load_dwordx2 s[8:9], s[8:9], 0x0
	s_ashr_i32 s29, s28, 31
	v_cmp_lt_i64_e64 s[34:35], s[12:13], 1
	v_bfe_u32 v15, v0, 10, 10
	v_and_b32_e32 v14, 0x3ff, v0
	s_lshl_b64 s[6:7], s[6:7], 5
	s_lshl_b64 s[28:29], s[28:29], 5
	s_and_b64 vcc, exec, s[34:35]
	s_cbranch_vccnz .LBB248_3
; %bb.1:
	v_lshl_add_u32 v0, v15, 4, v14
	v_and_b32_e32 v4, 7, v14
	v_and_b32_e32 v5, 31, v0
	v_lshrrev_b32_e32 v1, 3, v0
	v_lshrrev_b32_e32 v6, 5, v0
	v_lshlrev_b32_e32 v0, 3, v5
	v_lshlrev_b32_e32 v7, 3, v4
	v_mov_b32_e32 v2, s29
	v_add_co_u32_e32 v3, vcc, s28, v1
	v_lshl_or_b32 v20, v6, 8, v0
	v_lshl_or_b32 v0, v1, 6, v7
	v_addc_co_u32_e32 v2, vcc, 0, v2, vcc
	v_add_u32_e32 v21, 0x800, v0
	v_mov_b32_e32 v0, 0x800
	v_lshl_add_u32 v23, v15, 6, v0
	v_mov_b32_e32 v0, s7
	v_add_co_u32_e32 v1, vcc, s6, v5
	s_add_u32 s16, s16, s30
	v_addc_co_u32_e32 v0, vcc, 0, v0, vcc
	s_addc_u32 s17, s17, s31
	v_mul_lo_u32 v4, s19, v1
	v_mul_lo_u32 v5, s18, v0
	v_mad_u64_u32 v[0:1], s[18:19], s18, v1, 0
	s_add_u32 s22, s22, s30
	v_add3_u32 v1, v1, v5, v4
	s_load_dwordx2 s[16:17], s[16:17], 0x0
	s_addc_u32 s23, s23, s31
	v_lshlrev_b64 v[0:1], 3, v[0:1]
	s_lshl_b64 s[18:19], s[20:21], 3
	v_mov_b32_e32 v4, s19
	v_add_co_u32_e32 v0, vcc, s18, v0
	v_addc_co_u32_e32 v1, vcc, v1, v4, vcc
	v_lshlrev_b32_e32 v4, 3, v6
	v_add_co_u32_e32 v0, vcc, v0, v4
	v_addc_co_u32_e32 v1, vcc, 0, v1, vcc
	s_waitcnt lgkmcnt(0)
	v_mov_b32_e32 v4, s17
	v_add_co_u32_e32 v0, vcc, s16, v0
	v_addc_co_u32_e32 v1, vcc, v1, v4, vcc
	v_add_co_u32_e32 v4, vcc, 4, v0
	v_addc_co_u32_e32 v5, vcc, 0, v1, vcc
	v_mul_lo_u32 v6, s25, v3
	v_mul_lo_u32 v2, s24, v2
	v_mad_u64_u32 v[0:1], s[16:17], s24, v3, 0
	v_add3_u32 v1, v1, v2, v6
	s_load_dwordx2 s[22:23], s[22:23], 0x0
	v_lshlrev_b64 v[0:1], 3, v[0:1]
	s_lshl_b64 s[16:17], s[26:27], 3
	v_mov_b32_e32 v2, s17
	v_add_co_u32_e32 v0, vcc, s16, v0
	v_addc_co_u32_e32 v1, vcc, v1, v2, vcc
	v_add_co_u32_e32 v0, vcc, v0, v7
	v_addc_co_u32_e32 v1, vcc, 0, v1, vcc
	s_waitcnt lgkmcnt(0)
	v_mov_b32_e32 v2, s23
	v_add_co_u32_e32 v6, vcc, s22, v0
	v_lshlrev_b32_e32 v22, 3, v14
	v_addc_co_u32_e32 v7, vcc, v2, v1, vcc
	s_mov_b64 s[16:17], 0
	v_mov_b32_e32 v1, 0
	v_pk_mov_b32 v[8:9], s[12:13], s[12:13] op_sel:[0,1]
	v_mov_b32_e32 v3, 0
	v_mov_b32_e32 v2, 0
	;; [unrolled: 1-line block ×7, first 2 shown]
.LBB248_2:                              ; =>This Inner Loop Header: Depth=1
	global_load_dwordx2 v[10:11], v[4:5], off offset:-4
	global_load_dwordx2 v[12:13], v[6:7], off
	v_add_co_u32_e32 v4, vcc, 64, v4
	v_addc_co_u32_e32 v5, vcc, 0, v5, vcc
	s_add_u32 s16, s16, 8
	v_add_co_u32_e32 v6, vcc, 64, v6
	v_addc_co_u32_e32 v7, vcc, 0, v7, vcc
	s_addc_u32 s17, s17, 0
	v_cmp_lt_i64_e32 vcc, s[16:17], v[8:9]
	s_and_b64 vcc, exec, vcc
	s_waitcnt vmcnt(1)
	v_xor_b32_e32 v11, 0x80000000, v11
	s_waitcnt vmcnt(0)
	ds_write_b64 v21, v[12:13]
	ds_write_b64 v20, v[10:11]
	s_waitcnt lgkmcnt(0)
	s_barrier
	ds_read_b128 v[10:13], v23
	ds_read_b128 v[24:27], v23 offset:16
	ds_read2_b64 v[28:31], v22 offset1:16
	ds_read2_b64 v[32:35], v22 offset0:32 offset1:48
	ds_read2_b64 v[36:39], v22 offset0:64 offset1:80
	ds_read_b128 v[40:43], v23 offset:1024
	ds_read_b128 v[44:47], v23 offset:1040
	ds_read2_b64 v[48:51], v22 offset0:96 offset1:112
	ds_read2_b64 v[52:55], v22 offset0:128 offset1:144
	;; [unrolled: 1-line block ×3, first 2 shown]
	ds_read_b128 v[60:63], v23 offset:32
	ds_read_b128 v[64:67], v23 offset:48
	ds_read2_b64 v[68:71], v22 offset0:192 offset1:208
	ds_read_b128 v[72:75], v23 offset:1056
	ds_read_b128 v[76:79], v23 offset:1072
	ds_read2_b64 v[80:83], v22 offset0:224 offset1:240
	s_waitcnt lgkmcnt(13)
	v_mul_f32_e32 v84, v11, v29
	v_mul_f32_e32 v85, v10, v29
	;; [unrolled: 1-line block ×4, first 2 shown]
	s_waitcnt lgkmcnt(10)
	v_mul_f32_e32 v88, v41, v29
	v_mul_f32_e32 v29, v40, v29
	;; [unrolled: 1-line block ×4, first 2 shown]
	v_fma_f32 v84, v10, v28, -v84
	v_fmac_f32_e32 v85, v11, v28
	v_fma_f32 v10, v10, v30, -v86
	v_fmac_f32_e32 v87, v11, v30
	;; [unrolled: 2-line block ×4, first 2 shown]
	v_mul_f32_e32 v30, v13, v33
	v_mul_f32_e32 v40, v12, v33
	;; [unrolled: 1-line block ×4, first 2 shown]
	v_fma_f32 v30, v12, v32, -v30
	v_fmac_f32_e32 v40, v13, v32
	v_fma_f32 v12, v12, v34, -v41
	v_fmac_f32_e32 v86, v13, v34
	v_mul_f32_e32 v13, v43, v33
	v_mul_f32_e32 v33, v42, v33
	v_mul_f32_e32 v41, v43, v35
	v_mul_f32_e32 v35, v42, v35
	v_fma_f32 v13, v42, v32, -v13
	v_fmac_f32_e32 v33, v43, v32
	v_fma_f32 v32, v42, v34, -v41
	v_fmac_f32_e32 v35, v43, v34
	v_mul_f32_e32 v34, v25, v37
	v_mul_f32_e32 v41, v24, v37
	;; [unrolled: 1-line block ×4, first 2 shown]
	s_waitcnt lgkmcnt(9)
	v_mul_f32_e32 v88, v45, v37
	v_mul_f32_e32 v37, v44, v37
	;; [unrolled: 1-line block ×4, first 2 shown]
	v_fma_f32 v34, v24, v36, -v34
	v_fmac_f32_e32 v41, v25, v36
	v_fma_f32 v24, v24, v38, -v42
	v_fmac_f32_e32 v43, v25, v38
	;; [unrolled: 2-line block ×4, first 2 shown]
	s_waitcnt lgkmcnt(8)
	v_mul_f32_e32 v38, v27, v49
	v_mul_f32_e32 v42, v26, v49
	;; [unrolled: 1-line block ×4, first 2 shown]
	v_fma_f32 v38, v26, v48, -v38
	v_fmac_f32_e32 v42, v27, v48
	v_fma_f32 v26, v26, v50, -v44
	v_fmac_f32_e32 v45, v27, v50
	v_mul_f32_e32 v27, v47, v49
	v_mul_f32_e32 v44, v46, v49
	;; [unrolled: 1-line block ×4, first 2 shown]
	v_fma_f32 v27, v46, v48, -v27
	v_fmac_f32_e32 v44, v47, v48
	v_fma_f32 v46, v46, v50, -v49
	v_fmac_f32_e32 v51, v47, v50
	s_waitcnt lgkmcnt(5)
	v_mul_f32_e32 v47, v61, v53
	v_mul_f32_e32 v48, v60, v53
	;; [unrolled: 1-line block ×4, first 2 shown]
	s_waitcnt lgkmcnt(2)
	v_mul_f32_e32 v88, v73, v53
	v_mul_f32_e32 v53, v72, v53
	;; [unrolled: 1-line block ×4, first 2 shown]
	v_add_f32_e32 v0, v0, v11
	v_add_f32_e32 v2, v2, v29
	;; [unrolled: 1-line block ×8, first 2 shown]
	v_fma_f32 v47, v60, v52, -v47
	v_fmac_f32_e32 v48, v61, v52
	v_fma_f32 v49, v60, v54, -v49
	v_fmac_f32_e32 v50, v61, v54
	;; [unrolled: 2-line block ×4, first 2 shown]
	v_mul_f32_e32 v54, v63, v57
	v_mul_f32_e32 v61, v62, v57
	;; [unrolled: 1-line block ×4, first 2 shown]
	v_add_f32_e32 v11, v11, v30
	v_add_f32_e32 v17, v18, v40
	;; [unrolled: 1-line block ×8, first 2 shown]
	v_fma_f32 v54, v62, v56, -v54
	v_fmac_f32_e32 v61, v63, v56
	v_fma_f32 v62, v62, v58, -v72
	v_fmac_f32_e32 v73, v63, v58
	v_mul_f32_e32 v63, v75, v57
	v_mul_f32_e32 v57, v74, v57
	;; [unrolled: 1-line block ×4, first 2 shown]
	v_add_f32_e32 v11, v11, v34
	v_add_f32_e32 v13, v17, v41
	;; [unrolled: 1-line block ×8, first 2 shown]
	v_fma_f32 v63, v74, v56, -v63
	v_fmac_f32_e32 v57, v75, v56
	v_fma_f32 v56, v74, v58, -v72
	v_fmac_f32_e32 v59, v75, v58
	v_mul_f32_e32 v58, v65, v69
	v_mul_f32_e32 v72, v64, v69
	;; [unrolled: 1-line block ×4, first 2 shown]
	s_waitcnt lgkmcnt(1)
	v_mul_f32_e32 v88, v77, v69
	v_mul_f32_e32 v69, v76, v69
	;; [unrolled: 1-line block ×4, first 2 shown]
	v_add_f32_e32 v11, v11, v38
	v_add_f32_e32 v13, v13, v42
	;; [unrolled: 1-line block ×8, first 2 shown]
	v_fma_f32 v58, v64, v68, -v58
	v_fmac_f32_e32 v72, v65, v68
	v_fma_f32 v64, v64, v70, -v74
	v_fmac_f32_e32 v75, v65, v70
	v_fma_f32 v65, v76, v68, -v88
	v_fmac_f32_e32 v69, v77, v68
	v_fma_f32 v68, v76, v70, -v89
	v_fmac_f32_e32 v71, v77, v70
	s_waitcnt lgkmcnt(0)
	v_mul_f32_e32 v70, v67, v81
	v_mul_f32_e32 v74, v66, v81
	;; [unrolled: 1-line block ×4, first 2 shown]
	v_add_f32_e32 v11, v11, v47
	v_add_f32_e32 v13, v13, v48
	;; [unrolled: 1-line block ×8, first 2 shown]
	v_fma_f32 v70, v66, v80, -v70
	v_fmac_f32_e32 v74, v67, v80
	v_fma_f32 v66, v66, v82, -v76
	v_fmac_f32_e32 v77, v67, v82
	v_mul_f32_e32 v67, v79, v81
	v_mul_f32_e32 v76, v78, v81
	;; [unrolled: 1-line block ×4, first 2 shown]
	v_add_f32_e32 v11, v11, v54
	v_add_f32_e32 v13, v13, v61
	;; [unrolled: 1-line block ×8, first 2 shown]
	v_fma_f32 v67, v78, v80, -v67
	v_fmac_f32_e32 v76, v79, v80
	v_fma_f32 v78, v78, v82, -v81
	v_fmac_f32_e32 v83, v79, v82
	v_add_f32_e32 v11, v11, v58
	v_add_f32_e32 v13, v13, v72
	v_add_f32_e32 v10, v10, v64
	v_add_f32_e32 v12, v12, v75
	v_add_f32_e32 v0, v0, v65
	v_add_f32_e32 v2, v2, v69
	v_add_f32_e32 v3, v3, v68
	v_add_f32_e32 v1, v1, v71
	v_add_f32_e32 v18, v11, v70
	v_add_f32_e32 v19, v13, v74
	v_add_f32_e32 v16, v10, v66
	v_add_f32_e32 v17, v12, v77
	v_add_f32_e32 v0, v0, v67
	v_add_f32_e32 v2, v2, v76
	v_add_f32_e32 v3, v3, v78
	v_add_f32_e32 v1, v1, v83
	s_barrier
	s_cbranch_vccnz .LBB248_2
	s_branch .LBB248_4
.LBB248_3:
	v_mov_b32_e32 v18, 0
	v_mov_b32_e32 v19, 0
	;; [unrolled: 1-line block ×8, first 2 shown]
.LBB248_4:
	s_lshl_b64 s[2:3], s[2:3], 3
	s_waitcnt lgkmcnt(0)
	s_add_u32 s8, s8, s2
	v_mov_b32_e32 v4, s29
	v_add_co_u32_e32 v8, vcc, s28, v15
	s_addc_u32 s9, s9, s3
	v_addc_co_u32_e32 v9, vcc, 0, v4, vcc
	s_or_b32 s2, s10, s11
	s_bitset0_b32 s2, 31
	v_mov_b32_e32 v5, s7
	v_add_co_u32_e32 v4, vcc, s6, v14
	s_cmp_lg_u32 s2, 0
	v_addc_co_u32_e32 v5, vcc, 0, v5, vcc
	s_cbranch_scc1 .LBB248_6
; %bb.5:
	v_mul_lo_u32 v10, v9, s0
	v_mul_lo_u32 v11, v8, s1
	v_mad_u64_u32 v[6:7], s[2:3], v8, s0, 0
	v_add3_u32 v7, v7, v11, v10
	v_lshlrev_b64 v[6:7], 3, v[6:7]
	v_mov_b32_e32 v10, s9
	v_add_co_u32_e32 v12, vcc, s8, v6
	v_addc_co_u32_e32 v13, vcc, v10, v7, vcc
	v_lshlrev_b64 v[10:11], 3, v[4:5]
	v_mul_f32_e32 v6, s15, v19
	v_mul_f32_e32 v7, s14, v19
	v_add_co_u32_e32 v10, vcc, v12, v10
	v_fma_f32 v6, v18, s14, -v6
	v_fmac_f32_e32 v7, s15, v18
	v_addc_co_u32_e32 v11, vcc, v13, v11, vcc
	global_store_dwordx2 v[10:11], v[6:7], off
	v_mul_f32_e32 v6, s15, v17
	v_mul_f32_e32 v7, s14, v17
	v_fma_f32 v6, v16, s14, -v6
	v_fmac_f32_e32 v7, s15, v16
	s_lshl_b64 s[2:3], s[0:1], 7
	global_store_dwordx2 v[10:11], v[6:7], off offset:128
	v_mul_f32_e32 v6, s15, v2
	v_mul_f32_e32 v7, s14, v2
	v_mov_b32_e32 v13, s3
	v_add_co_u32_e32 v12, vcc, s2, v10
	v_fma_f32 v6, v0, s14, -v6
	v_fmac_f32_e32 v7, s15, v0
	v_addc_co_u32_e32 v13, vcc, v11, v13, vcc
	global_store_dwordx2 v[12:13], v[6:7], off
	v_mul_f32_e32 v6, s15, v1
	v_fma_f32 v11, v3, s14, -v6
	v_mul_f32_e32 v10, s14, v1
	v_add_co_u32_e32 v6, vcc, 0x80, v12
	v_fmac_f32_e32 v10, s15, v3
	v_addc_co_u32_e32 v7, vcc, 0, v13, vcc
	global_store_dword v[12:13], v11, off offset:128
	s_cbranch_execz .LBB248_7
	s_branch .LBB248_8
.LBB248_6:
                                        ; implicit-def: $vgpr10
                                        ; implicit-def: $vgpr6_vgpr7
.LBB248_7:
	s_lshl_b64 s[2:3], s[40:41], 3
	s_add_u32 s4, s4, s2
	s_addc_u32 s5, s5, s3
	v_mul_lo_u32 v10, v9, s38
	v_mul_lo_u32 v11, v8, s39
	v_mad_u64_u32 v[6:7], s[2:3], v8, s38, 0
	v_add3_u32 v7, v7, v11, v10
	v_lshlrev_b64 v[6:7], 3, v[6:7]
	v_mov_b32_e32 v10, s5
	v_add_co_u32_e32 v6, vcc, s4, v6
	v_addc_co_u32_e32 v7, vcc, v10, v7, vcc
	v_lshlrev_b64 v[4:5], 3, v[4:5]
	v_add_co_u32_e32 v6, vcc, v6, v4
	v_addc_co_u32_e32 v7, vcc, v7, v5, vcc
	global_load_dwordx2 v[10:11], v[6:7], off
	v_mul_lo_u32 v12, v9, s0
	v_mul_lo_u32 v13, v8, s1
	v_mad_u64_u32 v[8:9], s[2:3], v8, s0, 0
	v_add3_u32 v9, v9, v13, v12
	v_lshlrev_b64 v[8:9], 3, v[8:9]
	v_mov_b32_e32 v14, s9
	v_add_co_u32_e32 v8, vcc, s8, v8
	v_addc_co_u32_e32 v9, vcc, v14, v9, vcc
	v_add_co_u32_e32 v4, vcc, v8, v4
	v_mul_f32_e32 v15, s15, v19
	v_mul_f32_e32 v19, s14, v19
	v_addc_co_u32_e32 v5, vcc, v9, v5, vcc
	v_fma_f32 v12, v18, s14, -v15
	v_fmac_f32_e32 v19, s15, v18
	s_lshl_b64 s[2:3], s[38:39], 7
	s_lshl_b64 s[0:1], s[0:1], 7
	s_waitcnt vmcnt(0)
	v_mul_f32_e32 v8, s11, v11
	v_mul_f32_e32 v9, s10, v11
	v_fma_f32 v8, v10, s10, -v8
	v_fmac_f32_e32 v9, s11, v10
	v_add_f32_e32 v8, v12, v8
	v_add_f32_e32 v9, v19, v9
	global_store_dwordx2 v[4:5], v[8:9], off
	global_load_dwordx2 v[8:9], v[6:7], off offset:128
	v_mov_b32_e32 v12, s3
	v_add_co_u32_e32 v6, vcc, s2, v6
	v_mul_f32_e32 v10, s15, v17
	v_mul_f32_e32 v11, s14, v17
	v_addc_co_u32_e32 v7, vcc, v7, v12, vcc
	v_fma_f32 v10, v16, s14, -v10
	v_fmac_f32_e32 v11, s15, v16
	s_waitcnt vmcnt(0)
	v_mul_f32_e32 v12, s11, v9
	v_mul_f32_e32 v9, s10, v9
	v_fma_f32 v12, v8, s10, -v12
	v_fmac_f32_e32 v9, s11, v8
	v_add_f32_e32 v8, v10, v12
	v_add_f32_e32 v9, v11, v9
	global_store_dwordx2 v[4:5], v[8:9], off offset:128
	global_load_dwordx2 v[8:9], v[6:7], off
	v_pk_mul_f32 v[10:11], v[2:3], s[14:15] op_sel_hi:[0,1]
	v_pk_fma_f32 v[12:13], v[0:1], s[14:15], v[10:11] op_sel:[0,0,1] op_sel_hi:[1,1,0] neg_lo:[0,0,1] neg_hi:[0,0,1]
	v_pk_fma_f32 v[10:11], v[0:1], s[14:15], v[10:11] op_sel:[0,0,1] op_sel_hi:[0,1,0]
	v_mov_b32_e32 v13, v11
	v_mov_b32_e32 v0, s1
	v_add_co_u32_e32 v4, vcc, s0, v4
	v_addc_co_u32_e32 v5, vcc, v5, v0, vcc
	v_mul_f32_e32 v0, s15, v1
	v_mul_f32_e32 v2, s14, v1
	v_fmac_f32_e32 v2, s15, v3
	s_waitcnt vmcnt(0)
	v_pk_mul_f32 v[10:11], v[8:9], s[10:11] op_sel:[0,1]
	v_pk_fma_f32 v[14:15], v[8:9], s[10:11], v[10:11] op_sel:[0,0,1] op_sel_hi:[1,1,0] neg_lo:[0,0,1] neg_hi:[0,0,1]
	v_pk_fma_f32 v[8:9], v[8:9], s[10:11], v[10:11] op_sel:[0,0,1] op_sel_hi:[1,0,0]
	v_mov_b32_e32 v15, v9
	v_pk_add_f32 v[8:9], v[12:13], v[14:15]
	global_store_dwordx2 v[4:5], v[8:9], off
	global_load_dwordx2 v[8:9], v[6:7], off offset:128
	v_fma_f32 v7, v3, s14, -v0
	v_add_co_u32_e32 v6, vcc, 0x80, v4
	s_waitcnt vmcnt(0)
	v_mul_f32_e32 v3, s10, v8
	v_pk_mul_f32 v[0:1], v[8:9], s[10:11] op_sel:[0,1] op_sel_hi:[1,0]
	v_fma_f32 v3, -v9, s11, v3
	v_add_f32_e32 v0, v0, v1
	v_add_f32_e32 v1, v7, v3
	;; [unrolled: 1-line block ×3, first 2 shown]
	v_addc_co_u32_e32 v7, vcc, 0, v5, vcc
	global_store_dword v[4:5], v1, off offset:128
.LBB248_8:
	global_store_dword v[6:7], v10, off offset:4
	s_endpgm
	.section	.rodata,"a",@progbits
	.p2align	6, 0x0
	.amdhsa_kernel _ZN12_GLOBAL__N_127rocblas_gemm_batched_kernelI19rocblas_complex_numIfELi16ELi16ELi32ELi32ELi8ELi32ELi8ELi8ELi32ELc67ELc78EKPKS2_S5_KPS2_EEvlllT_PT11_llSA_llS8_PT12_llPT13_lli
		.amdhsa_group_segment_fixed_size 4096
		.amdhsa_private_segment_fixed_size 0
		.amdhsa_kernarg_size 140
		.amdhsa_user_sgpr_count 6
		.amdhsa_user_sgpr_private_segment_buffer 1
		.amdhsa_user_sgpr_dispatch_ptr 0
		.amdhsa_user_sgpr_queue_ptr 0
		.amdhsa_user_sgpr_kernarg_segment_ptr 1
		.amdhsa_user_sgpr_dispatch_id 0
		.amdhsa_user_sgpr_flat_scratch_init 0
		.amdhsa_user_sgpr_kernarg_preload_length 0
		.amdhsa_user_sgpr_kernarg_preload_offset 0
		.amdhsa_user_sgpr_private_segment_size 0
		.amdhsa_uses_dynamic_stack 0
		.amdhsa_system_sgpr_private_segment_wavefront_offset 0
		.amdhsa_system_sgpr_workgroup_id_x 1
		.amdhsa_system_sgpr_workgroup_id_y 1
		.amdhsa_system_sgpr_workgroup_id_z 1
		.amdhsa_system_sgpr_workgroup_info 0
		.amdhsa_system_vgpr_workitem_id 1
		.amdhsa_next_free_vgpr 90
		.amdhsa_next_free_sgpr 44
		.amdhsa_accum_offset 92
		.amdhsa_reserve_vcc 1
		.amdhsa_reserve_flat_scratch 0
		.amdhsa_float_round_mode_32 0
		.amdhsa_float_round_mode_16_64 0
		.amdhsa_float_denorm_mode_32 3
		.amdhsa_float_denorm_mode_16_64 3
		.amdhsa_dx10_clamp 1
		.amdhsa_ieee_mode 1
		.amdhsa_fp16_overflow 0
		.amdhsa_tg_split 0
		.amdhsa_exception_fp_ieee_invalid_op 0
		.amdhsa_exception_fp_denorm_src 0
		.amdhsa_exception_fp_ieee_div_zero 0
		.amdhsa_exception_fp_ieee_overflow 0
		.amdhsa_exception_fp_ieee_underflow 0
		.amdhsa_exception_fp_ieee_inexact 0
		.amdhsa_exception_int_div_zero 0
	.end_amdhsa_kernel
	.section	.text._ZN12_GLOBAL__N_127rocblas_gemm_batched_kernelI19rocblas_complex_numIfELi16ELi16ELi32ELi32ELi8ELi32ELi8ELi8ELi32ELc67ELc78EKPKS2_S5_KPS2_EEvlllT_PT11_llSA_llS8_PT12_llPT13_lli,"axG",@progbits,_ZN12_GLOBAL__N_127rocblas_gemm_batched_kernelI19rocblas_complex_numIfELi16ELi16ELi32ELi32ELi8ELi32ELi8ELi8ELi32ELc67ELc78EKPKS2_S5_KPS2_EEvlllT_PT11_llSA_llS8_PT12_llPT13_lli,comdat
.Lfunc_end248:
	.size	_ZN12_GLOBAL__N_127rocblas_gemm_batched_kernelI19rocblas_complex_numIfELi16ELi16ELi32ELi32ELi8ELi32ELi8ELi8ELi32ELc67ELc78EKPKS2_S5_KPS2_EEvlllT_PT11_llSA_llS8_PT12_llPT13_lli, .Lfunc_end248-_ZN12_GLOBAL__N_127rocblas_gemm_batched_kernelI19rocblas_complex_numIfELi16ELi16ELi32ELi32ELi8ELi32ELi8ELi8ELi32ELc67ELc78EKPKS2_S5_KPS2_EEvlllT_PT11_llSA_llS8_PT12_llPT13_lli
                                        ; -- End function
	.section	.AMDGPU.csdata,"",@progbits
; Kernel info:
; codeLenInByte = 2424
; NumSgprs: 48
; NumVgprs: 90
; NumAgprs: 0
; TotalNumVgprs: 90
; ScratchSize: 0
; MemoryBound: 0
; FloatMode: 240
; IeeeMode: 1
; LDSByteSize: 4096 bytes/workgroup (compile time only)
; SGPRBlocks: 5
; VGPRBlocks: 11
; NumSGPRsForWavesPerEU: 48
; NumVGPRsForWavesPerEU: 90
; AccumOffset: 92
; Occupancy: 5
; WaveLimiterHint : 1
; COMPUTE_PGM_RSRC2:SCRATCH_EN: 0
; COMPUTE_PGM_RSRC2:USER_SGPR: 6
; COMPUTE_PGM_RSRC2:TRAP_HANDLER: 0
; COMPUTE_PGM_RSRC2:TGID_X_EN: 1
; COMPUTE_PGM_RSRC2:TGID_Y_EN: 1
; COMPUTE_PGM_RSRC2:TGID_Z_EN: 1
; COMPUTE_PGM_RSRC2:TIDIG_COMP_CNT: 1
; COMPUTE_PGM_RSRC3_GFX90A:ACCUM_OFFSET: 22
; COMPUTE_PGM_RSRC3_GFX90A:TG_SPLIT: 0
	.section	.text._ZN12_GLOBAL__N_127rocblas_gemm_batched_kernelI19rocblas_complex_numIfELi16ELi16ELi32ELi32ELi8ELi32ELi8ELi8ELi32ELc67ELc84EKPKS2_S5_KPS2_EEvlllT_PT11_llSA_llS8_PT12_llPT13_lli,"axG",@progbits,_ZN12_GLOBAL__N_127rocblas_gemm_batched_kernelI19rocblas_complex_numIfELi16ELi16ELi32ELi32ELi8ELi32ELi8ELi8ELi32ELc67ELc84EKPKS2_S5_KPS2_EEvlllT_PT11_llSA_llS8_PT12_llPT13_lli,comdat
	.globl	_ZN12_GLOBAL__N_127rocblas_gemm_batched_kernelI19rocblas_complex_numIfELi16ELi16ELi32ELi32ELi8ELi32ELi8ELi8ELi32ELc67ELc84EKPKS2_S5_KPS2_EEvlllT_PT11_llSA_llS8_PT12_llPT13_lli ; -- Begin function _ZN12_GLOBAL__N_127rocblas_gemm_batched_kernelI19rocblas_complex_numIfELi16ELi16ELi32ELi32ELi8ELi32ELi8ELi8ELi32ELc67ELc84EKPKS2_S5_KPS2_EEvlllT_PT11_llSA_llS8_PT12_llPT13_lli
	.p2align	8
	.type	_ZN12_GLOBAL__N_127rocblas_gemm_batched_kernelI19rocblas_complex_numIfELi16ELi16ELi32ELi32ELi8ELi32ELi8ELi8ELi32ELc67ELc84EKPKS2_S5_KPS2_EEvlllT_PT11_llSA_llS8_PT12_llPT13_lli,@function
_ZN12_GLOBAL__N_127rocblas_gemm_batched_kernelI19rocblas_complex_numIfELi16ELi16ELi32ELi32ELi8ELi32ELi8ELi8ELi32ELc67ELc84EKPKS2_S5_KPS2_EEvlllT_PT11_llSA_llS8_PT12_llPT13_lli: ; @_ZN12_GLOBAL__N_127rocblas_gemm_batched_kernelI19rocblas_complex_numIfELi16ELi16ELi32ELi32ELi8ELi32ELi8ELi8ELi32ELc67ELc84EKPKS2_S5_KPS2_EEvlllT_PT11_llSA_llS8_PT12_llPT13_lli
; %bb.0:
	s_load_dwordx16 s[12:27], s[4:5], 0x10
	s_load_dwordx4 s[0:3], s[4:5], 0x78
	s_load_dwordx8 s[36:43], s[4:5], 0x58
	s_load_dwordx2 s[10:11], s[4:5], 0x50
	s_mov_b32 s9, 0
	s_lshl_b64 s[30:31], s[8:9], 3
	s_mov_b32 s28, s7
	s_waitcnt lgkmcnt(0)
	s_add_u32 s4, s36, s30
	s_addc_u32 s5, s37, s31
	s_add_u32 s8, s42, s30
	s_addc_u32 s9, s43, s31
	s_load_dwordx2 s[4:5], s[4:5], 0x0
	s_ashr_i32 s7, s6, 31
	s_load_dwordx2 s[8:9], s[8:9], 0x0
	s_ashr_i32 s29, s28, 31
	v_cmp_lt_i64_e64 s[34:35], s[12:13], 1
	v_bfe_u32 v47, v0, 10, 10
	v_and_b32_e32 v46, 0x3ff, v0
	s_lshl_b64 s[6:7], s[6:7], 5
	s_lshl_b64 s[28:29], s[28:29], 5
	s_and_b64 vcc, exec, s[34:35]
	s_cbranch_vccnz .LBB249_3
; %bb.1:
	v_lshl_add_u32 v4, v47, 4, v46
	s_add_u32 s16, s16, s30
	v_lshrrev_b32_e32 v5, 3, v4
	s_addc_u32 s17, s17, s31
	v_mov_b32_e32 v1, s29
	v_add_co_u32_e32 v0, vcc, s28, v5
	s_add_u32 s22, s22, s30
	v_addc_co_u32_e32 v1, vcc, 0, v1, vcc
	v_and_b32_e32 v6, 7, v46
	s_addc_u32 s23, s23, s31
	v_mad_u64_u32 v[0:1], s[30:31], v6, s24, v[0:1]
	v_mov_b32_e32 v2, v1
	v_mad_u64_u32 v[2:3], s[30:31], v6, s25, v[2:3]
	v_mov_b32_e32 v1, v2
	v_and_b32_e32 v2, 31, v4
	v_lshrrev_b32_e32 v4, 5, v4
	v_lshlrev_b32_e32 v3, 3, v2
	v_lshl_or_b32 v52, v4, 8, v3
	v_lshlrev_b32_e32 v3, 3, v6
	v_lshl_or_b32 v3, v5, 6, v3
	v_add_u32_e32 v53, 0x800, v3
	v_mov_b32_e32 v3, 0x800
	v_lshl_add_u32 v55, v47, 6, v3
	v_mov_b32_e32 v3, s7
	v_add_co_u32_e32 v2, vcc, s6, v2
	v_addc_co_u32_e32 v3, vcc, 0, v3, vcc
	v_mul_lo_u32 v5, s19, v2
	v_mul_lo_u32 v6, s18, v3
	v_mad_u64_u32 v[2:3], s[18:19], s18, v2, 0
	v_add3_u32 v3, v3, v6, v5
	s_load_dwordx2 s[16:17], s[16:17], 0x0
	v_lshlrev_b64 v[2:3], 3, v[2:3]
	s_lshl_b64 s[18:19], s[20:21], 3
	v_mov_b32_e32 v5, s19
	v_add_co_u32_e32 v2, vcc, s18, v2
	s_load_dwordx2 s[22:23], s[22:23], 0x0
	v_addc_co_u32_e32 v3, vcc, v3, v5, vcc
	v_lshlrev_b32_e32 v4, 3, v4
	v_add_co_u32_e32 v2, vcc, v2, v4
	v_addc_co_u32_e32 v3, vcc, 0, v3, vcc
	s_waitcnt lgkmcnt(0)
	v_mov_b32_e32 v4, s17
	v_add_co_u32_e32 v2, vcc, s16, v2
	v_addc_co_u32_e32 v3, vcc, v3, v4, vcc
	s_lshl_b64 s[16:17], s[26:27], 3
	v_add_co_u32_e32 v40, vcc, 4, v2
	s_add_u32 s16, s22, s16
	v_addc_co_u32_e32 v41, vcc, 0, v3, vcc
	v_lshlrev_b64 v[0:1], 3, v[0:1]
	s_addc_u32 s17, s23, s17
	v_mov_b32_e32 v2, s17
	v_add_co_u32_e32 v42, vcc, s16, v0
	s_lshl_b64 s[16:17], s[24:25], 6
	v_lshlrev_b32_e32 v54, 3, v46
	v_addc_co_u32_e32 v43, vcc, v2, v1, vcc
	s_mov_b64 s[18:19], 0
	v_mov_b32_e32 v37, 0
	v_mov_b32_e32 v56, s17
	v_pk_mov_b32 v[44:45], s[12:13], s[12:13] op_sel:[0,1]
	v_mov_b32_e32 v39, 0
	v_mov_b32_e32 v38, 0
	;; [unrolled: 1-line block ×7, first 2 shown]
.LBB249_2:                              ; =>This Inner Loop Header: Depth=1
	global_load_dwordx2 v[0:1], v[40:41], off offset:-4
	global_load_dwordx2 v[2:3], v[42:43], off
	v_add_co_u32_e32 v40, vcc, 64, v40
	v_addc_co_u32_e32 v41, vcc, 0, v41, vcc
	s_add_u32 s18, s18, 8
	v_add_co_u32_e32 v42, vcc, s16, v42
	v_addc_co_u32_e32 v43, vcc, v43, v56, vcc
	s_addc_u32 s19, s19, 0
	v_cmp_lt_i64_e32 vcc, s[18:19], v[44:45]
	s_and_b64 vcc, exec, vcc
	s_waitcnt vmcnt(1)
	v_xor_b32_e32 v1, 0x80000000, v1
	s_waitcnt vmcnt(0)
	ds_write_b64 v53, v[2:3]
	ds_write_b64 v52, v[0:1]
	s_waitcnt lgkmcnt(0)
	s_barrier
	ds_read_b128 v[4:7], v55
	ds_read_b128 v[0:3], v55 offset:16
	ds_read2_b64 v[8:11], v54 offset1:16
	ds_read2_b64 v[12:15], v54 offset0:32 offset1:48
	ds_read2_b64 v[16:19], v54 offset0:64 offset1:80
	ds_read_b128 v[24:27], v55 offset:1024
	ds_read_b128 v[20:23], v55 offset:1040
	ds_read2_b64 v[28:31], v54 offset0:96 offset1:112
	ds_read2_b64 v[32:35], v54 offset0:128 offset1:144
	;; [unrolled: 1-line block ×3, first 2 shown]
	ds_read_b128 v[62:65], v55 offset:32
	ds_read_b128 v[66:69], v55 offset:48
	ds_read2_b64 v[70:73], v54 offset0:192 offset1:208
	ds_read_b128 v[74:77], v55 offset:1056
	ds_read_b128 v[78:81], v55 offset:1072
	s_waitcnt lgkmcnt(12)
	v_mul_f32_e32 v57, v5, v9
	v_mul_f32_e32 v82, v4, v9
	;; [unrolled: 1-line block ×4, first 2 shown]
	s_waitcnt lgkmcnt(9)
	v_mul_f32_e32 v85, v25, v9
	v_mul_f32_e32 v9, v24, v9
	;; [unrolled: 1-line block ×5, first 2 shown]
	v_fma_f32 v57, v4, v8, -v57
	v_fmac_f32_e32 v82, v5, v8
	v_fma_f32 v4, v4, v10, -v83
	v_fmac_f32_e32 v84, v5, v10
	;; [unrolled: 2-line block ×4, first 2 shown]
	v_mul_f32_e32 v10, v6, v15
	v_mul_f32_e32 v87, v7, v13
	;; [unrolled: 1-line block ×6, first 2 shown]
	v_fmac_f32_e32 v88, v7, v12
	v_fmac_f32_e32 v10, v7, v14
	v_mul_f32_e32 v7, v26, v15
	v_fma_f32 v83, v6, v12, -v87
	v_fma_f32 v6, v6, v14, -v89
	v_mul_f32_e32 v15, v1, v17
	v_mul_f32_e32 v85, v0, v17
	;; [unrolled: 1-line block ×3, first 2 shown]
	v_fma_f32 v24, v26, v12, -v24
	v_fmac_f32_e32 v13, v27, v12
	v_fma_f32 v12, v26, v14, -v25
	v_fmac_f32_e32 v7, v27, v14
	v_mul_f32_e32 v14, v0, v19
	s_waitcnt lgkmcnt(8)
	v_mul_f32_e32 v25, v21, v17
	v_mul_f32_e32 v17, v20, v17
	;; [unrolled: 1-line block ×4, first 2 shown]
	s_waitcnt lgkmcnt(7)
	v_mul_f32_e32 v27, v3, v29
	v_mul_f32_e32 v87, v2, v29
	;; [unrolled: 1-line block ×3, first 2 shown]
	v_fma_f32 v15, v0, v16, -v15
	v_fmac_f32_e32 v85, v1, v16
	v_fma_f32 v86, v0, v18, -v86
	v_fmac_f32_e32 v14, v1, v18
	;; [unrolled: 2-line block ×4, first 2 shown]
	v_mul_f32_e32 v18, v2, v31
	v_mul_f32_e32 v0, v23, v29
	;; [unrolled: 1-line block ×4, first 2 shown]
	v_fma_f32 v21, v2, v28, -v27
	v_mul_f32_e32 v27, v22, v31
	v_fmac_f32_e32 v87, v3, v28
	v_fma_f32 v26, v2, v30, -v89
	v_fmac_f32_e32 v18, v3, v30
	s_waitcnt lgkmcnt(4)
	v_mul_f32_e32 v2, v63, v33
	v_mul_f32_e32 v29, v62, v33
	;; [unrolled: 1-line block ×3, first 2 shown]
	v_fma_f32 v31, v22, v28, -v0
	v_fmac_f32_e32 v20, v23, v28
	v_fma_f32 v22, v22, v30, -v1
	v_fmac_f32_e32 v27, v23, v30
	v_mul_f32_e32 v23, v62, v35
	s_waitcnt lgkmcnt(1)
	v_mul_f32_e32 v0, v75, v33
	v_mul_f32_e32 v28, v74, v33
	v_mul_f32_e32 v1, v75, v35
	v_mul_f32_e32 v30, v74, v35
	v_mul_f32_e32 v33, v65, v59
	v_mul_f32_e32 v35, v64, v59
	v_mul_f32_e32 v89, v65, v61
	v_fma_f32 v90, v62, v32, -v2
	v_fmac_f32_e32 v29, v63, v32
	v_fma_f32 v62, v62, v34, -v3
	v_fmac_f32_e32 v23, v63, v34
	;; [unrolled: 2-line block ×4, first 2 shown]
	v_mul_f32_e32 v34, v64, v61
	v_mul_f32_e32 v0, v77, v59
	;; [unrolled: 1-line block ×5, first 2 shown]
	v_fma_f32 v33, v64, v58, -v33
	v_fmac_f32_e32 v35, v65, v58
	v_fma_f32 v64, v64, v60, -v89
	v_fmac_f32_e32 v34, v65, v60
	v_mul_f32_e32 v2, v67, v71
	v_mul_f32_e32 v65, v66, v71
	;; [unrolled: 1-line block ×3, first 2 shown]
	v_fma_f32 v74, v76, v58, -v0
	v_fmac_f32_e32 v59, v77, v58
	v_fma_f32 v58, v76, v60, -v1
	v_fmac_f32_e32 v61, v77, v60
	v_mul_f32_e32 v60, v66, v73
	s_waitcnt lgkmcnt(0)
	v_mul_f32_e32 v0, v79, v71
	v_mul_f32_e32 v71, v78, v71
	;; [unrolled: 1-line block ×3, first 2 shown]
	v_fma_f32 v75, v66, v70, -v2
	v_fmac_f32_e32 v65, v67, v70
	v_fma_f32 v66, v66, v72, -v3
	v_fmac_f32_e32 v60, v67, v72
	;; [unrolled: 2-line block ×3, first 2 shown]
	v_fma_f32 v70, v78, v72, -v1
	ds_read2_b64 v[0:3], v54 offset0:224 offset1:240
	v_mul_f32_e32 v73, v78, v73
	v_fmac_f32_e32 v73, v79, v72
	v_add_f32_e32 v4, v48, v4
	v_add_f32_e32 v8, v39, v8
	s_waitcnt lgkmcnt(0)
	v_mul_f32_e32 v72, v69, v1
	v_mul_f32_e32 v77, v69, v3
	;; [unrolled: 1-line block ×3, first 2 shown]
	v_fma_f32 v72, v68, v0, -v72
	v_fma_f32 v77, v68, v2, -v77
	v_mul_f32_e32 v68, v68, v3
	v_fmac_f32_e32 v76, v69, v0
	v_fmac_f32_e32 v68, v69, v2
	v_mul_f32_e32 v69, v81, v1
	v_mul_f32_e32 v1, v80, v1
	;; [unrolled: 1-line block ×4, first 2 shown]
	v_fma_f32 v69, v80, v0, -v69
	v_fmac_f32_e32 v1, v81, v0
	v_fma_f32 v0, v80, v2, -v78
	v_fmac_f32_e32 v3, v81, v2
	v_add_f32_e32 v2, v36, v5
	v_add_f32_e32 v5, v38, v9
	;; [unrolled: 1-line block ×62, first 2 shown]
	s_barrier
	s_cbranch_vccnz .LBB249_2
	s_branch .LBB249_4
.LBB249_3:
	v_mov_b32_e32 v50, 0
	v_mov_b32_e32 v51, 0
	;; [unrolled: 1-line block ×8, first 2 shown]
.LBB249_4:
	s_lshl_b64 s[2:3], s[2:3], 3
	s_waitcnt lgkmcnt(0)
	s_add_u32 s8, s8, s2
	v_mov_b32_e32 v0, s29
	v_add_co_u32_e32 v4, vcc, s28, v47
	s_addc_u32 s9, s9, s3
	v_addc_co_u32_e32 v5, vcc, 0, v0, vcc
	s_or_b32 s2, s10, s11
	s_bitset0_b32 s2, 31
	v_mov_b32_e32 v1, s7
	v_add_co_u32_e32 v0, vcc, s6, v46
	s_cmp_lg_u32 s2, 0
	v_addc_co_u32_e32 v1, vcc, 0, v1, vcc
	s_cbranch_scc1 .LBB249_6
; %bb.5:
	v_mul_lo_u32 v6, v5, s0
	v_mul_lo_u32 v7, v4, s1
	v_mad_u64_u32 v[2:3], s[2:3], v4, s0, 0
	v_add3_u32 v3, v3, v7, v6
	v_lshlrev_b64 v[2:3], 3, v[2:3]
	v_mov_b32_e32 v6, s9
	v_add_co_u32_e32 v8, vcc, s8, v2
	v_addc_co_u32_e32 v9, vcc, v6, v3, vcc
	v_lshlrev_b64 v[6:7], 3, v[0:1]
	v_mul_f32_e32 v2, s15, v51
	v_mul_f32_e32 v3, s14, v51
	v_add_co_u32_e32 v6, vcc, v8, v6
	v_fma_f32 v2, v50, s14, -v2
	v_fmac_f32_e32 v3, s15, v50
	v_addc_co_u32_e32 v7, vcc, v9, v7, vcc
	global_store_dwordx2 v[6:7], v[2:3], off
	v_mul_f32_e32 v2, s15, v49
	v_mul_f32_e32 v3, s14, v49
	v_fma_f32 v2, v48, s14, -v2
	v_fmac_f32_e32 v3, s15, v48
	s_lshl_b64 s[2:3], s[0:1], 7
	global_store_dwordx2 v[6:7], v[2:3], off offset:128
	v_mul_f32_e32 v2, s15, v38
	v_mul_f32_e32 v3, s14, v38
	v_mov_b32_e32 v9, s3
	v_add_co_u32_e32 v8, vcc, s2, v6
	v_fma_f32 v2, v36, s14, -v2
	v_fmac_f32_e32 v3, s15, v36
	v_addc_co_u32_e32 v9, vcc, v7, v9, vcc
	global_store_dwordx2 v[8:9], v[2:3], off
	v_mul_f32_e32 v2, s15, v37
	v_fma_f32 v7, v39, s14, -v2
	v_mul_f32_e32 v6, s14, v37
	v_add_co_u32_e32 v2, vcc, 0x80, v8
	v_fmac_f32_e32 v6, s15, v39
	v_addc_co_u32_e32 v3, vcc, 0, v9, vcc
	global_store_dword v[8:9], v7, off offset:128
	s_cbranch_execz .LBB249_7
	s_branch .LBB249_8
.LBB249_6:
                                        ; implicit-def: $vgpr6
                                        ; implicit-def: $vgpr2_vgpr3
.LBB249_7:
	s_lshl_b64 s[2:3], s[40:41], 3
	s_add_u32 s4, s4, s2
	s_addc_u32 s5, s5, s3
	v_mul_lo_u32 v6, v5, s38
	v_mul_lo_u32 v7, v4, s39
	v_mad_u64_u32 v[2:3], s[2:3], v4, s38, 0
	v_add3_u32 v3, v3, v7, v6
	v_lshlrev_b64 v[2:3], 3, v[2:3]
	v_mov_b32_e32 v6, s5
	v_add_co_u32_e32 v2, vcc, s4, v2
	v_addc_co_u32_e32 v3, vcc, v6, v3, vcc
	v_lshlrev_b64 v[0:1], 3, v[0:1]
	v_add_co_u32_e32 v2, vcc, v2, v0
	v_addc_co_u32_e32 v3, vcc, v3, v1, vcc
	global_load_dwordx2 v[6:7], v[2:3], off
	v_mul_lo_u32 v8, v5, s0
	v_mul_lo_u32 v9, v4, s1
	v_mad_u64_u32 v[4:5], s[2:3], v4, s0, 0
	v_add3_u32 v5, v5, v9, v8
	v_lshlrev_b64 v[4:5], 3, v[4:5]
	v_mov_b32_e32 v10, s9
	v_add_co_u32_e32 v4, vcc, s8, v4
	v_addc_co_u32_e32 v5, vcc, v10, v5, vcc
	v_add_co_u32_e32 v0, vcc, v4, v0
	v_mul_f32_e32 v11, s15, v51
	v_mul_f32_e32 v12, s14, v51
	v_addc_co_u32_e32 v1, vcc, v5, v1, vcc
	v_fma_f32 v8, v50, s14, -v11
	v_fmac_f32_e32 v12, s15, v50
	s_lshl_b64 s[2:3], s[38:39], 7
	s_lshl_b64 s[0:1], s[0:1], 7
	s_waitcnt vmcnt(0)
	v_mul_f32_e32 v4, s11, v7
	v_mul_f32_e32 v5, s10, v7
	v_fma_f32 v4, v6, s10, -v4
	v_fmac_f32_e32 v5, s11, v6
	v_add_f32_e32 v4, v8, v4
	v_add_f32_e32 v5, v12, v5
	global_store_dwordx2 v[0:1], v[4:5], off
	global_load_dwordx2 v[4:5], v[2:3], off offset:128
	v_mov_b32_e32 v8, s3
	v_add_co_u32_e32 v2, vcc, s2, v2
	v_mul_f32_e32 v6, s15, v49
	v_mul_f32_e32 v7, s14, v49
	v_addc_co_u32_e32 v3, vcc, v3, v8, vcc
	v_fma_f32 v6, v48, s14, -v6
	v_fmac_f32_e32 v7, s15, v48
	s_waitcnt vmcnt(0)
	v_mul_f32_e32 v8, s11, v5
	v_mul_f32_e32 v5, s10, v5
	v_fma_f32 v8, v4, s10, -v8
	v_fmac_f32_e32 v5, s11, v4
	v_add_f32_e32 v4, v6, v8
	v_add_f32_e32 v5, v7, v5
	global_store_dwordx2 v[0:1], v[4:5], off offset:128
	global_load_dwordx2 v[4:5], v[2:3], off
	v_pk_mul_f32 v[6:7], v[38:39], s[14:15] op_sel_hi:[0,1]
	v_pk_fma_f32 v[8:9], v[36:37], s[14:15], v[6:7] op_sel:[0,0,1] op_sel_hi:[1,1,0] neg_lo:[0,0,1] neg_hi:[0,0,1]
	v_pk_fma_f32 v[6:7], v[36:37], s[14:15], v[6:7] op_sel:[0,0,1] op_sel_hi:[0,1,0]
	v_mov_b32_e32 v6, s1
	v_add_co_u32_e32 v0, vcc, s0, v0
	v_mov_b32_e32 v9, v7
	v_addc_co_u32_e32 v1, vcc, v1, v6, vcc
	s_waitcnt vmcnt(0)
	v_pk_mul_f32 v[6:7], v[4:5], s[10:11] op_sel:[0,1]
	v_pk_fma_f32 v[10:11], v[4:5], s[10:11], v[6:7] op_sel:[0,0,1] op_sel_hi:[1,1,0] neg_lo:[0,0,1] neg_hi:[0,0,1]
	v_pk_fma_f32 v[4:5], v[4:5], s[10:11], v[6:7] op_sel:[0,0,1] op_sel_hi:[1,0,0]
	v_mov_b32_e32 v11, v5
	v_pk_add_f32 v[4:5], v[8:9], v[10:11]
	global_store_dwordx2 v[0:1], v[4:5], off
	global_load_dwordx2 v[4:5], v[2:3], off offset:128
	v_mul_f32_e32 v2, s15, v37
	v_mul_f32_e32 v3, s14, v37
	v_fma_f32 v8, v39, s14, -v2
	v_fmac_f32_e32 v3, s15, v39
	v_add_co_u32_e32 v2, vcc, 0x80, v0
	s_waitcnt vmcnt(0)
	v_mul_f32_e32 v9, s10, v4
	v_pk_mul_f32 v[6:7], v[4:5], s[10:11] op_sel:[0,1] op_sel_hi:[1,0]
	v_fma_f32 v4, -v5, s11, v9
	v_add_f32_e32 v5, v6, v7
	v_add_f32_e32 v4, v8, v4
	;; [unrolled: 1-line block ×3, first 2 shown]
	v_addc_co_u32_e32 v3, vcc, 0, v1, vcc
	global_store_dword v[0:1], v4, off offset:128
.LBB249_8:
	global_store_dword v[2:3], v6, off offset:4
	s_endpgm
	.section	.rodata,"a",@progbits
	.p2align	6, 0x0
	.amdhsa_kernel _ZN12_GLOBAL__N_127rocblas_gemm_batched_kernelI19rocblas_complex_numIfELi16ELi16ELi32ELi32ELi8ELi32ELi8ELi8ELi32ELc67ELc84EKPKS2_S5_KPS2_EEvlllT_PT11_llSA_llS8_PT12_llPT13_lli
		.amdhsa_group_segment_fixed_size 4096
		.amdhsa_private_segment_fixed_size 0
		.amdhsa_kernarg_size 140
		.amdhsa_user_sgpr_count 6
		.amdhsa_user_sgpr_private_segment_buffer 1
		.amdhsa_user_sgpr_dispatch_ptr 0
		.amdhsa_user_sgpr_queue_ptr 0
		.amdhsa_user_sgpr_kernarg_segment_ptr 1
		.amdhsa_user_sgpr_dispatch_id 0
		.amdhsa_user_sgpr_flat_scratch_init 0
		.amdhsa_user_sgpr_kernarg_preload_length 0
		.amdhsa_user_sgpr_kernarg_preload_offset 0
		.amdhsa_user_sgpr_private_segment_size 0
		.amdhsa_uses_dynamic_stack 0
		.amdhsa_system_sgpr_private_segment_wavefront_offset 0
		.amdhsa_system_sgpr_workgroup_id_x 1
		.amdhsa_system_sgpr_workgroup_id_y 1
		.amdhsa_system_sgpr_workgroup_id_z 1
		.amdhsa_system_sgpr_workgroup_info 0
		.amdhsa_system_vgpr_workitem_id 1
		.amdhsa_next_free_vgpr 91
		.amdhsa_next_free_sgpr 44
		.amdhsa_accum_offset 92
		.amdhsa_reserve_vcc 1
		.amdhsa_reserve_flat_scratch 0
		.amdhsa_float_round_mode_32 0
		.amdhsa_float_round_mode_16_64 0
		.amdhsa_float_denorm_mode_32 3
		.amdhsa_float_denorm_mode_16_64 3
		.amdhsa_dx10_clamp 1
		.amdhsa_ieee_mode 1
		.amdhsa_fp16_overflow 0
		.amdhsa_tg_split 0
		.amdhsa_exception_fp_ieee_invalid_op 0
		.amdhsa_exception_fp_denorm_src 0
		.amdhsa_exception_fp_ieee_div_zero 0
		.amdhsa_exception_fp_ieee_overflow 0
		.amdhsa_exception_fp_ieee_underflow 0
		.amdhsa_exception_fp_ieee_inexact 0
		.amdhsa_exception_int_div_zero 0
	.end_amdhsa_kernel
	.section	.text._ZN12_GLOBAL__N_127rocblas_gemm_batched_kernelI19rocblas_complex_numIfELi16ELi16ELi32ELi32ELi8ELi32ELi8ELi8ELi32ELc67ELc84EKPKS2_S5_KPS2_EEvlllT_PT11_llSA_llS8_PT12_llPT13_lli,"axG",@progbits,_ZN12_GLOBAL__N_127rocblas_gemm_batched_kernelI19rocblas_complex_numIfELi16ELi16ELi32ELi32ELi8ELi32ELi8ELi8ELi32ELc67ELc84EKPKS2_S5_KPS2_EEvlllT_PT11_llSA_llS8_PT12_llPT13_lli,comdat
.Lfunc_end249:
	.size	_ZN12_GLOBAL__N_127rocblas_gemm_batched_kernelI19rocblas_complex_numIfELi16ELi16ELi32ELi32ELi8ELi32ELi8ELi8ELi32ELc67ELc84EKPKS2_S5_KPS2_EEvlllT_PT11_llSA_llS8_PT12_llPT13_lli, .Lfunc_end249-_ZN12_GLOBAL__N_127rocblas_gemm_batched_kernelI19rocblas_complex_numIfELi16ELi16ELi32ELi32ELi8ELi32ELi8ELi8ELi32ELc67ELc84EKPKS2_S5_KPS2_EEvlllT_PT11_llSA_llS8_PT12_llPT13_lli
                                        ; -- End function
	.section	.AMDGPU.csdata,"",@progbits
; Kernel info:
; codeLenInByte = 2408
; NumSgprs: 48
; NumVgprs: 91
; NumAgprs: 0
; TotalNumVgprs: 91
; ScratchSize: 0
; MemoryBound: 0
; FloatMode: 240
; IeeeMode: 1
; LDSByteSize: 4096 bytes/workgroup (compile time only)
; SGPRBlocks: 5
; VGPRBlocks: 11
; NumSGPRsForWavesPerEU: 48
; NumVGPRsForWavesPerEU: 91
; AccumOffset: 92
; Occupancy: 5
; WaveLimiterHint : 1
; COMPUTE_PGM_RSRC2:SCRATCH_EN: 0
; COMPUTE_PGM_RSRC2:USER_SGPR: 6
; COMPUTE_PGM_RSRC2:TRAP_HANDLER: 0
; COMPUTE_PGM_RSRC2:TGID_X_EN: 1
; COMPUTE_PGM_RSRC2:TGID_Y_EN: 1
; COMPUTE_PGM_RSRC2:TGID_Z_EN: 1
; COMPUTE_PGM_RSRC2:TIDIG_COMP_CNT: 1
; COMPUTE_PGM_RSRC3_GFX90A:ACCUM_OFFSET: 22
; COMPUTE_PGM_RSRC3_GFX90A:TG_SPLIT: 0
	.section	.text._ZN12_GLOBAL__N_127rocblas_gemm_batched_kernelI19rocblas_complex_numIfELi16ELi16ELi32ELi32ELi8ELi32ELi8ELi8ELi32ELc78ELc67EKPKS2_S5_KPS2_EEvlllT_PT11_llSA_llS8_PT12_llPT13_lli,"axG",@progbits,_ZN12_GLOBAL__N_127rocblas_gemm_batched_kernelI19rocblas_complex_numIfELi16ELi16ELi32ELi32ELi8ELi32ELi8ELi8ELi32ELc78ELc67EKPKS2_S5_KPS2_EEvlllT_PT11_llSA_llS8_PT12_llPT13_lli,comdat
	.globl	_ZN12_GLOBAL__N_127rocblas_gemm_batched_kernelI19rocblas_complex_numIfELi16ELi16ELi32ELi32ELi8ELi32ELi8ELi8ELi32ELc78ELc67EKPKS2_S5_KPS2_EEvlllT_PT11_llSA_llS8_PT12_llPT13_lli ; -- Begin function _ZN12_GLOBAL__N_127rocblas_gemm_batched_kernelI19rocblas_complex_numIfELi16ELi16ELi32ELi32ELi8ELi32ELi8ELi8ELi32ELc78ELc67EKPKS2_S5_KPS2_EEvlllT_PT11_llSA_llS8_PT12_llPT13_lli
	.p2align	8
	.type	_ZN12_GLOBAL__N_127rocblas_gemm_batched_kernelI19rocblas_complex_numIfELi16ELi16ELi32ELi32ELi8ELi32ELi8ELi8ELi32ELc78ELc67EKPKS2_S5_KPS2_EEvlllT_PT11_llSA_llS8_PT12_llPT13_lli,@function
_ZN12_GLOBAL__N_127rocblas_gemm_batched_kernelI19rocblas_complex_numIfELi16ELi16ELi32ELi32ELi8ELi32ELi8ELi8ELi32ELc78ELc67EKPKS2_S5_KPS2_EEvlllT_PT11_llSA_llS8_PT12_llPT13_lli: ; @_ZN12_GLOBAL__N_127rocblas_gemm_batched_kernelI19rocblas_complex_numIfELi16ELi16ELi32ELi32ELi8ELi32ELi8ELi8ELi32ELc78ELc67EKPKS2_S5_KPS2_EEvlllT_PT11_llSA_llS8_PT12_llPT13_lli
; %bb.0:
	s_load_dwordx16 s[12:27], s[4:5], 0x10
	s_load_dwordx4 s[0:3], s[4:5], 0x78
	s_load_dwordx8 s[36:43], s[4:5], 0x58
	s_load_dwordx2 s[10:11], s[4:5], 0x50
	s_mov_b32 s9, 0
	s_lshl_b64 s[30:31], s[8:9], 3
	s_mov_b32 s28, s7
	s_waitcnt lgkmcnt(0)
	s_add_u32 s4, s36, s30
	s_addc_u32 s5, s37, s31
	s_add_u32 s8, s42, s30
	s_addc_u32 s9, s43, s31
	s_load_dwordx2 s[4:5], s[4:5], 0x0
	s_ashr_i32 s7, s6, 31
	s_load_dwordx2 s[8:9], s[8:9], 0x0
	s_ashr_i32 s29, s28, 31
	v_cmp_lt_i64_e64 s[34:35], s[12:13], 1
	v_bfe_u32 v47, v0, 10, 10
	v_and_b32_e32 v46, 0x3ff, v0
	s_lshl_b64 s[6:7], s[6:7], 5
	s_lshl_b64 s[28:29], s[28:29], 5
	s_and_b64 vcc, exec, s[34:35]
	s_cbranch_vccnz .LBB250_3
; %bb.1:
	v_lshl_add_u32 v4, v47, 4, v46
	s_add_u32 s16, s16, s30
	v_lshrrev_b32_e32 v5, 3, v4
	s_addc_u32 s17, s17, s31
	v_mov_b32_e32 v1, s29
	v_add_co_u32_e32 v0, vcc, s28, v5
	s_add_u32 s22, s22, s30
	v_addc_co_u32_e32 v1, vcc, 0, v1, vcc
	v_and_b32_e32 v6, 7, v46
	s_addc_u32 s23, s23, s31
	v_mad_u64_u32 v[0:1], s[30:31], v6, s24, v[0:1]
	v_mov_b32_e32 v2, v1
	v_mad_u64_u32 v[2:3], s[30:31], v6, s25, v[2:3]
	v_and_b32_e32 v7, 31, v4
	v_mov_b32_e32 v1, v2
	v_lshrrev_b32_e32 v8, 5, v4
	v_lshlrev_b32_e32 v2, 3, v7
	v_lshl_or_b32 v52, v8, 8, v2
	v_lshlrev_b32_e32 v2, 3, v6
	v_lshl_or_b32 v2, v5, 6, v2
	v_add_u32_e32 v53, 0x800, v2
	v_mov_b32_e32 v2, 0x800
	s_load_dwordx2 s[16:17], s[16:17], 0x0
	v_lshl_add_u32 v55, v47, 6, v2
	v_pk_mov_b32 v[2:3], s[6:7], s[6:7] op_sel:[0,1]
	v_mad_u64_u32 v[2:3], s[30:31], v8, s18, v[2:3]
	v_mov_b32_e32 v4, v3
	s_load_dwordx2 s[22:23], s[22:23], 0x0
	v_mad_u64_u32 v[4:5], s[30:31], v8, s19, v[4:5]
	s_lshl_b64 s[20:21], s[20:21], 3
	v_mov_b32_e32 v3, v4
	v_add_co_u32_e32 v2, vcc, v2, v7
	v_addc_co_u32_e32 v3, vcc, 0, v3, vcc
	s_waitcnt lgkmcnt(0)
	s_add_u32 s16, s16, s20
	v_lshlrev_b64 v[2:3], 3, v[2:3]
	s_addc_u32 s17, s17, s21
	v_mov_b32_e32 v4, s17
	v_add_co_u32_e32 v40, vcc, s16, v2
	s_lshl_b64 s[16:17], s[18:19], 6
	s_lshl_b64 s[18:19], s[26:27], 3
	s_add_u32 s18, s22, s18
	v_addc_co_u32_e32 v41, vcc, v4, v3, vcc
	v_lshlrev_b64 v[0:1], 3, v[0:1]
	s_addc_u32 s19, s23, s19
	v_mov_b32_e32 v2, s19
	v_add_co_u32_e32 v0, vcc, s18, v0
	v_addc_co_u32_e32 v1, vcc, v2, v1, vcc
	v_add_co_u32_e32 v42, vcc, 4, v0
	s_lshl_b64 s[18:19], s[24:25], 6
	v_lshlrev_b32_e32 v54, 3, v46
	v_addc_co_u32_e32 v43, vcc, 0, v1, vcc
	s_mov_b64 s[20:21], 0
	v_mov_b32_e32 v37, 0
	v_mov_b32_e32 v56, s17
	;; [unrolled: 1-line block ×3, first 2 shown]
	v_pk_mov_b32 v[44:45], s[12:13], s[12:13] op_sel:[0,1]
	v_mov_b32_e32 v39, 0
	v_mov_b32_e32 v38, 0
	;; [unrolled: 1-line block ×7, first 2 shown]
.LBB250_2:                              ; =>This Inner Loop Header: Depth=1
	global_load_dwordx2 v[0:1], v[40:41], off
	global_load_dwordx2 v[2:3], v[42:43], off offset:-4
	v_add_co_u32_e32 v40, vcc, s16, v40
	v_addc_co_u32_e32 v41, vcc, v41, v56, vcc
	s_add_u32 s20, s20, 8
	v_add_co_u32_e32 v42, vcc, s18, v42
	v_addc_co_u32_e32 v43, vcc, v43, v57, vcc
	s_addc_u32 s21, s21, 0
	v_cmp_lt_i64_e32 vcc, s[20:21], v[44:45]
	s_and_b64 vcc, exec, vcc
	s_waitcnt vmcnt(1)
	ds_write_b64 v52, v[0:1]
	s_waitcnt vmcnt(0)
	v_xor_b32_e32 v3, 0x80000000, v3
	ds_write_b64 v53, v[2:3]
	s_waitcnt lgkmcnt(0)
	s_barrier
	ds_read_b128 v[4:7], v55
	ds_read_b128 v[0:3], v55 offset:16
	ds_read2_b64 v[8:11], v54 offset1:16
	ds_read2_b64 v[12:15], v54 offset0:32 offset1:48
	ds_read2_b64 v[16:19], v54 offset0:64 offset1:80
	ds_read_b128 v[24:27], v55 offset:1024
	ds_read_b128 v[20:23], v55 offset:1040
	ds_read2_b64 v[28:31], v54 offset0:96 offset1:112
	ds_read2_b64 v[32:35], v54 offset0:128 offset1:144
	;; [unrolled: 1-line block ×3, first 2 shown]
	ds_read_b128 v[62:65], v55 offset:32
	ds_read_b128 v[66:69], v55 offset:48
	ds_read2_b64 v[70:73], v54 offset0:192 offset1:208
	ds_read_b128 v[74:77], v55 offset:1056
	ds_read_b128 v[78:81], v55 offset:1072
	s_waitcnt lgkmcnt(12)
	v_mul_f32_e32 v82, v5, v9
	v_mul_f32_e32 v83, v4, v9
	;; [unrolled: 1-line block ×4, first 2 shown]
	s_waitcnt lgkmcnt(9)
	v_mul_f32_e32 v86, v25, v9
	v_mul_f32_e32 v9, v24, v9
	;; [unrolled: 1-line block ×6, first 2 shown]
	v_fma_f32 v82, v4, v8, -v82
	v_fmac_f32_e32 v83, v5, v8
	v_fma_f32 v4, v4, v10, -v84
	v_fmac_f32_e32 v85, v5, v10
	;; [unrolled: 2-line block ×4, first 2 shown]
	v_mul_f32_e32 v10, v7, v15
	v_mul_f32_e32 v24, v6, v15
	;; [unrolled: 1-line block ×4, first 2 shown]
	v_fma_f32 v84, v6, v12, -v88
	v_fmac_f32_e32 v89, v7, v12
	v_fma_f32 v6, v6, v14, -v10
	v_fmac_f32_e32 v24, v7, v14
	v_mul_f32_e32 v7, v27, v15
	v_mul_f32_e32 v10, v26, v15
	;; [unrolled: 1-line block ×3, first 2 shown]
	v_fma_f32 v25, v26, v12, -v25
	v_fmac_f32_e32 v13, v27, v12
	v_mul_f32_e32 v12, v1, v19
	v_mul_f32_e32 v86, v0, v17
	v_fma_f32 v7, v26, v14, -v7
	v_fmac_f32_e32 v10, v27, v14
	v_mul_f32_e32 v14, v0, v19
	s_waitcnt lgkmcnt(8)
	v_mul_f32_e32 v26, v21, v17
	v_mul_f32_e32 v17, v20, v17
	;; [unrolled: 1-line block ×3, first 2 shown]
	v_fma_f32 v15, v0, v16, -v15
	v_fma_f32 v12, v0, v18, -v12
	s_waitcnt lgkmcnt(7)
	v_mul_f32_e32 v0, v3, v31
	v_mul_f32_e32 v19, v20, v19
	;; [unrolled: 1-line block ×3, first 2 shown]
	v_fmac_f32_e32 v86, v1, v16
	v_fmac_f32_e32 v14, v1, v18
	v_fma_f32 v26, v20, v16, -v26
	v_fmac_f32_e32 v17, v21, v16
	v_fma_f32 v16, v20, v18, -v27
	v_mul_f32_e32 v1, v23, v29
	v_fma_f32 v27, v2, v30, -v0
	v_mul_f32_e32 v0, v23, v31
	v_mul_f32_e32 v88, v2, v29
	v_fmac_f32_e32 v19, v21, v18
	v_mul_f32_e32 v18, v2, v31
	v_mul_f32_e32 v20, v22, v29
	v_fma_f32 v21, v2, v28, -v87
	v_mul_f32_e32 v29, v22, v31
	s_waitcnt lgkmcnt(4)
	v_mul_f32_e32 v2, v63, v33
	v_fma_f32 v87, v22, v28, -v1
	v_fma_f32 v22, v22, v30, -v0
	v_mul_f32_e32 v0, v63, v35
	v_fmac_f32_e32 v88, v3, v28
	v_fmac_f32_e32 v18, v3, v30
	v_mul_f32_e32 v31, v62, v33
	v_fmac_f32_e32 v20, v23, v28
	v_fmac_f32_e32 v29, v23, v30
	v_mul_f32_e32 v23, v62, v35
	s_waitcnt lgkmcnt(1)
	v_mul_f32_e32 v1, v75, v33
	v_mul_f32_e32 v28, v74, v33
	;; [unrolled: 1-line block ×5, first 2 shown]
	v_fma_f32 v90, v62, v32, -v2
	v_fma_f32 v62, v62, v34, -v0
	v_mul_f32_e32 v0, v65, v61
	v_mul_f32_e32 v35, v64, v59
	v_fmac_f32_e32 v31, v63, v32
	v_fmac_f32_e32 v23, v63, v34
	v_fma_f32 v63, v74, v32, -v1
	v_fmac_f32_e32 v28, v75, v32
	v_fma_f32 v32, v74, v34, -v3
	v_fmac_f32_e32 v30, v75, v34
	v_mul_f32_e32 v34, v64, v61
	v_mul_f32_e32 v1, v77, v59
	;; [unrolled: 1-line block ×3, first 2 shown]
	v_fma_f32 v33, v64, v58, -v33
	v_fma_f32 v64, v64, v60, -v0
	v_mul_f32_e32 v0, v77, v61
	v_mul_f32_e32 v61, v76, v61
	v_fmac_f32_e32 v35, v65, v58
	v_fmac_f32_e32 v34, v65, v60
	v_mul_f32_e32 v2, v67, v71
	v_mul_f32_e32 v65, v66, v71
	v_fma_f32 v74, v76, v58, -v1
	v_fmac_f32_e32 v59, v77, v58
	v_fma_f32 v58, v76, v60, -v0
	v_fmac_f32_e32 v61, v77, v60
	v_mul_f32_e32 v0, v67, v73
	v_mul_f32_e32 v60, v66, v73
	s_waitcnt lgkmcnt(0)
	v_mul_f32_e32 v1, v79, v71
	v_mul_f32_e32 v71, v78, v71
	;; [unrolled: 1-line block ×3, first 2 shown]
	v_fma_f32 v75, v66, v70, -v2
	v_fmac_f32_e32 v65, v67, v70
	v_fma_f32 v66, v66, v72, -v0
	v_fmac_f32_e32 v60, v67, v72
	;; [unrolled: 2-line block ×3, first 2 shown]
	v_fma_f32 v70, v78, v72, -v3
	ds_read2_b64 v[0:3], v54 offset0:224 offset1:240
	v_mul_f32_e32 v73, v78, v73
	v_fmac_f32_e32 v73, v79, v72
	v_add_f32_e32 v4, v48, v4
	v_add_f32_e32 v8, v39, v8
	s_waitcnt lgkmcnt(0)
	v_mul_f32_e32 v72, v69, v1
	v_mul_f32_e32 v77, v69, v3
	;; [unrolled: 1-line block ×3, first 2 shown]
	v_fma_f32 v72, v68, v0, -v72
	v_fma_f32 v77, v68, v2, -v77
	v_mul_f32_e32 v68, v68, v3
	v_fmac_f32_e32 v76, v69, v0
	v_fmac_f32_e32 v68, v69, v2
	v_mul_f32_e32 v69, v81, v1
	v_mul_f32_e32 v1, v80, v1
	v_fma_f32 v69, v80, v0, -v69
	v_fmac_f32_e32 v1, v81, v0
	v_mul_f32_e32 v0, v81, v3
	v_mul_f32_e32 v3, v80, v3
	v_fma_f32 v0, v80, v2, -v0
	v_fmac_f32_e32 v3, v81, v2
	v_add_f32_e32 v2, v36, v5
	v_add_f32_e32 v5, v38, v9
	;; [unrolled: 1-line block ×62, first 2 shown]
	s_barrier
	s_cbranch_vccnz .LBB250_2
	s_branch .LBB250_4
.LBB250_3:
	v_mov_b32_e32 v50, 0
	v_mov_b32_e32 v51, 0
	;; [unrolled: 1-line block ×8, first 2 shown]
.LBB250_4:
	s_lshl_b64 s[2:3], s[2:3], 3
	s_waitcnt lgkmcnt(0)
	s_add_u32 s8, s8, s2
	v_mov_b32_e32 v0, s29
	v_add_co_u32_e32 v4, vcc, s28, v47
	s_addc_u32 s9, s9, s3
	v_addc_co_u32_e32 v5, vcc, 0, v0, vcc
	s_or_b32 s2, s10, s11
	s_bitset0_b32 s2, 31
	v_mov_b32_e32 v1, s7
	v_add_co_u32_e32 v0, vcc, s6, v46
	s_cmp_lg_u32 s2, 0
	v_addc_co_u32_e32 v1, vcc, 0, v1, vcc
	s_cbranch_scc1 .LBB250_6
; %bb.5:
	v_mul_lo_u32 v6, v5, s0
	v_mul_lo_u32 v7, v4, s1
	v_mad_u64_u32 v[2:3], s[2:3], v4, s0, 0
	v_add3_u32 v3, v3, v7, v6
	v_lshlrev_b64 v[2:3], 3, v[2:3]
	v_mov_b32_e32 v6, s9
	v_add_co_u32_e32 v8, vcc, s8, v2
	v_addc_co_u32_e32 v9, vcc, v6, v3, vcc
	v_lshlrev_b64 v[6:7], 3, v[0:1]
	v_mul_f32_e32 v2, s15, v51
	v_mul_f32_e32 v3, s14, v51
	v_add_co_u32_e32 v6, vcc, v8, v6
	v_fma_f32 v2, v50, s14, -v2
	v_fmac_f32_e32 v3, s15, v50
	v_addc_co_u32_e32 v7, vcc, v9, v7, vcc
	global_store_dwordx2 v[6:7], v[2:3], off
	v_mul_f32_e32 v2, s15, v49
	v_mul_f32_e32 v3, s14, v49
	v_fma_f32 v2, v48, s14, -v2
	v_fmac_f32_e32 v3, s15, v48
	s_lshl_b64 s[2:3], s[0:1], 7
	global_store_dwordx2 v[6:7], v[2:3], off offset:128
	v_mul_f32_e32 v2, s15, v38
	v_mul_f32_e32 v3, s14, v38
	v_mov_b32_e32 v9, s3
	v_add_co_u32_e32 v8, vcc, s2, v6
	v_fma_f32 v2, v36, s14, -v2
	v_fmac_f32_e32 v3, s15, v36
	v_addc_co_u32_e32 v9, vcc, v7, v9, vcc
	global_store_dwordx2 v[8:9], v[2:3], off
	v_mul_f32_e32 v2, s15, v37
	v_fma_f32 v7, v39, s14, -v2
	v_mul_f32_e32 v6, s14, v37
	v_add_co_u32_e32 v2, vcc, 0x80, v8
	v_fmac_f32_e32 v6, s15, v39
	v_addc_co_u32_e32 v3, vcc, 0, v9, vcc
	global_store_dword v[8:9], v7, off offset:128
	s_cbranch_execz .LBB250_7
	s_branch .LBB250_8
.LBB250_6:
                                        ; implicit-def: $vgpr6
                                        ; implicit-def: $vgpr2_vgpr3
.LBB250_7:
	s_lshl_b64 s[2:3], s[40:41], 3
	s_add_u32 s4, s4, s2
	s_addc_u32 s5, s5, s3
	v_mul_lo_u32 v6, v5, s38
	v_mul_lo_u32 v7, v4, s39
	v_mad_u64_u32 v[2:3], s[2:3], v4, s38, 0
	v_add3_u32 v3, v3, v7, v6
	v_lshlrev_b64 v[2:3], 3, v[2:3]
	v_mov_b32_e32 v6, s5
	v_add_co_u32_e32 v2, vcc, s4, v2
	v_addc_co_u32_e32 v3, vcc, v6, v3, vcc
	v_lshlrev_b64 v[0:1], 3, v[0:1]
	v_add_co_u32_e32 v2, vcc, v2, v0
	v_addc_co_u32_e32 v3, vcc, v3, v1, vcc
	global_load_dwordx2 v[6:7], v[2:3], off
	v_mul_lo_u32 v8, v5, s0
	v_mul_lo_u32 v9, v4, s1
	v_mad_u64_u32 v[4:5], s[2:3], v4, s0, 0
	v_add3_u32 v5, v5, v9, v8
	v_lshlrev_b64 v[4:5], 3, v[4:5]
	v_mov_b32_e32 v10, s9
	v_add_co_u32_e32 v4, vcc, s8, v4
	v_addc_co_u32_e32 v5, vcc, v10, v5, vcc
	v_add_co_u32_e32 v0, vcc, v4, v0
	v_mul_f32_e32 v11, s15, v51
	v_mul_f32_e32 v12, s14, v51
	v_addc_co_u32_e32 v1, vcc, v5, v1, vcc
	v_fma_f32 v8, v50, s14, -v11
	v_fmac_f32_e32 v12, s15, v50
	s_lshl_b64 s[2:3], s[38:39], 7
	s_lshl_b64 s[0:1], s[0:1], 7
	s_waitcnt vmcnt(0)
	v_mul_f32_e32 v4, s11, v7
	v_mul_f32_e32 v5, s10, v7
	v_fma_f32 v4, v6, s10, -v4
	v_fmac_f32_e32 v5, s11, v6
	v_add_f32_e32 v4, v8, v4
	v_add_f32_e32 v5, v12, v5
	global_store_dwordx2 v[0:1], v[4:5], off
	global_load_dwordx2 v[4:5], v[2:3], off offset:128
	v_mov_b32_e32 v8, s3
	v_add_co_u32_e32 v2, vcc, s2, v2
	v_mul_f32_e32 v6, s15, v49
	v_mul_f32_e32 v7, s14, v49
	v_addc_co_u32_e32 v3, vcc, v3, v8, vcc
	v_fma_f32 v6, v48, s14, -v6
	v_fmac_f32_e32 v7, s15, v48
	s_waitcnt vmcnt(0)
	v_mul_f32_e32 v8, s11, v5
	v_mul_f32_e32 v5, s10, v5
	v_fma_f32 v8, v4, s10, -v8
	v_fmac_f32_e32 v5, s11, v4
	v_add_f32_e32 v4, v6, v8
	v_add_f32_e32 v5, v7, v5
	global_store_dwordx2 v[0:1], v[4:5], off offset:128
	global_load_dwordx2 v[4:5], v[2:3], off
	v_pk_mul_f32 v[6:7], v[38:39], s[14:15] op_sel_hi:[0,1]
	v_pk_fma_f32 v[8:9], v[36:37], s[14:15], v[6:7] op_sel:[0,0,1] op_sel_hi:[1,1,0] neg_lo:[0,0,1] neg_hi:[0,0,1]
	v_pk_fma_f32 v[6:7], v[36:37], s[14:15], v[6:7] op_sel:[0,0,1] op_sel_hi:[0,1,0]
	v_mov_b32_e32 v6, s1
	v_add_co_u32_e32 v0, vcc, s0, v0
	v_mov_b32_e32 v9, v7
	v_addc_co_u32_e32 v1, vcc, v1, v6, vcc
	s_waitcnt vmcnt(0)
	v_pk_mul_f32 v[6:7], v[4:5], s[10:11] op_sel:[0,1]
	v_pk_fma_f32 v[10:11], v[4:5], s[10:11], v[6:7] op_sel:[0,0,1] op_sel_hi:[1,1,0] neg_lo:[0,0,1] neg_hi:[0,0,1]
	v_pk_fma_f32 v[4:5], v[4:5], s[10:11], v[6:7] op_sel:[0,0,1] op_sel_hi:[1,0,0]
	v_mov_b32_e32 v11, v5
	v_pk_add_f32 v[4:5], v[8:9], v[10:11]
	global_store_dwordx2 v[0:1], v[4:5], off
	global_load_dwordx2 v[4:5], v[2:3], off offset:128
	v_mul_f32_e32 v2, s15, v37
	v_mul_f32_e32 v3, s14, v37
	v_fma_f32 v8, v39, s14, -v2
	v_fmac_f32_e32 v3, s15, v39
	v_add_co_u32_e32 v2, vcc, 0x80, v0
	s_waitcnt vmcnt(0)
	v_mul_f32_e32 v9, s10, v4
	v_pk_mul_f32 v[6:7], v[4:5], s[10:11] op_sel:[0,1] op_sel_hi:[1,0]
	v_fma_f32 v4, -v5, s11, v9
	v_add_f32_e32 v5, v6, v7
	v_add_f32_e32 v4, v8, v4
	;; [unrolled: 1-line block ×3, first 2 shown]
	v_addc_co_u32_e32 v3, vcc, 0, v1, vcc
	global_store_dword v[0:1], v4, off offset:128
.LBB250_8:
	global_store_dword v[2:3], v6, off offset:4
	s_endpgm
	.section	.rodata,"a",@progbits
	.p2align	6, 0x0
	.amdhsa_kernel _ZN12_GLOBAL__N_127rocblas_gemm_batched_kernelI19rocblas_complex_numIfELi16ELi16ELi32ELi32ELi8ELi32ELi8ELi8ELi32ELc78ELc67EKPKS2_S5_KPS2_EEvlllT_PT11_llSA_llS8_PT12_llPT13_lli
		.amdhsa_group_segment_fixed_size 4096
		.amdhsa_private_segment_fixed_size 0
		.amdhsa_kernarg_size 140
		.amdhsa_user_sgpr_count 6
		.amdhsa_user_sgpr_private_segment_buffer 1
		.amdhsa_user_sgpr_dispatch_ptr 0
		.amdhsa_user_sgpr_queue_ptr 0
		.amdhsa_user_sgpr_kernarg_segment_ptr 1
		.amdhsa_user_sgpr_dispatch_id 0
		.amdhsa_user_sgpr_flat_scratch_init 0
		.amdhsa_user_sgpr_kernarg_preload_length 0
		.amdhsa_user_sgpr_kernarg_preload_offset 0
		.amdhsa_user_sgpr_private_segment_size 0
		.amdhsa_uses_dynamic_stack 0
		.amdhsa_system_sgpr_private_segment_wavefront_offset 0
		.amdhsa_system_sgpr_workgroup_id_x 1
		.amdhsa_system_sgpr_workgroup_id_y 1
		.amdhsa_system_sgpr_workgroup_id_z 1
		.amdhsa_system_sgpr_workgroup_info 0
		.amdhsa_system_vgpr_workitem_id 1
		.amdhsa_next_free_vgpr 91
		.amdhsa_next_free_sgpr 44
		.amdhsa_accum_offset 92
		.amdhsa_reserve_vcc 1
		.amdhsa_reserve_flat_scratch 0
		.amdhsa_float_round_mode_32 0
		.amdhsa_float_round_mode_16_64 0
		.amdhsa_float_denorm_mode_32 3
		.amdhsa_float_denorm_mode_16_64 3
		.amdhsa_dx10_clamp 1
		.amdhsa_ieee_mode 1
		.amdhsa_fp16_overflow 0
		.amdhsa_tg_split 0
		.amdhsa_exception_fp_ieee_invalid_op 0
		.amdhsa_exception_fp_denorm_src 0
		.amdhsa_exception_fp_ieee_div_zero 0
		.amdhsa_exception_fp_ieee_overflow 0
		.amdhsa_exception_fp_ieee_underflow 0
		.amdhsa_exception_fp_ieee_inexact 0
		.amdhsa_exception_int_div_zero 0
	.end_amdhsa_kernel
	.section	.text._ZN12_GLOBAL__N_127rocblas_gemm_batched_kernelI19rocblas_complex_numIfELi16ELi16ELi32ELi32ELi8ELi32ELi8ELi8ELi32ELc78ELc67EKPKS2_S5_KPS2_EEvlllT_PT11_llSA_llS8_PT12_llPT13_lli,"axG",@progbits,_ZN12_GLOBAL__N_127rocblas_gemm_batched_kernelI19rocblas_complex_numIfELi16ELi16ELi32ELi32ELi8ELi32ELi8ELi8ELi32ELc78ELc67EKPKS2_S5_KPS2_EEvlllT_PT11_llSA_llS8_PT12_llPT13_lli,comdat
.Lfunc_end250:
	.size	_ZN12_GLOBAL__N_127rocblas_gemm_batched_kernelI19rocblas_complex_numIfELi16ELi16ELi32ELi32ELi8ELi32ELi8ELi8ELi32ELc78ELc67EKPKS2_S5_KPS2_EEvlllT_PT11_llSA_llS8_PT12_llPT13_lli, .Lfunc_end250-_ZN12_GLOBAL__N_127rocblas_gemm_batched_kernelI19rocblas_complex_numIfELi16ELi16ELi32ELi32ELi8ELi32ELi8ELi8ELi32ELc78ELc67EKPKS2_S5_KPS2_EEvlllT_PT11_llSA_llS8_PT12_llPT13_lli
                                        ; -- End function
	.section	.AMDGPU.csdata,"",@progbits
; Kernel info:
; codeLenInByte = 2396
; NumSgprs: 48
; NumVgprs: 91
; NumAgprs: 0
; TotalNumVgprs: 91
; ScratchSize: 0
; MemoryBound: 0
; FloatMode: 240
; IeeeMode: 1
; LDSByteSize: 4096 bytes/workgroup (compile time only)
; SGPRBlocks: 5
; VGPRBlocks: 11
; NumSGPRsForWavesPerEU: 48
; NumVGPRsForWavesPerEU: 91
; AccumOffset: 92
; Occupancy: 5
; WaveLimiterHint : 1
; COMPUTE_PGM_RSRC2:SCRATCH_EN: 0
; COMPUTE_PGM_RSRC2:USER_SGPR: 6
; COMPUTE_PGM_RSRC2:TRAP_HANDLER: 0
; COMPUTE_PGM_RSRC2:TGID_X_EN: 1
; COMPUTE_PGM_RSRC2:TGID_Y_EN: 1
; COMPUTE_PGM_RSRC2:TGID_Z_EN: 1
; COMPUTE_PGM_RSRC2:TIDIG_COMP_CNT: 1
; COMPUTE_PGM_RSRC3_GFX90A:ACCUM_OFFSET: 22
; COMPUTE_PGM_RSRC3_GFX90A:TG_SPLIT: 0
	.section	.text._ZN12_GLOBAL__N_127rocblas_gemm_batched_kernelI19rocblas_complex_numIfELi16ELi16ELi32ELi32ELi8ELi32ELi8ELi8ELi32ELc84ELc67EKPKS2_S5_KPS2_EEvlllT_PT11_llSA_llS8_PT12_llPT13_lli,"axG",@progbits,_ZN12_GLOBAL__N_127rocblas_gemm_batched_kernelI19rocblas_complex_numIfELi16ELi16ELi32ELi32ELi8ELi32ELi8ELi8ELi32ELc84ELc67EKPKS2_S5_KPS2_EEvlllT_PT11_llSA_llS8_PT12_llPT13_lli,comdat
	.globl	_ZN12_GLOBAL__N_127rocblas_gemm_batched_kernelI19rocblas_complex_numIfELi16ELi16ELi32ELi32ELi8ELi32ELi8ELi8ELi32ELc84ELc67EKPKS2_S5_KPS2_EEvlllT_PT11_llSA_llS8_PT12_llPT13_lli ; -- Begin function _ZN12_GLOBAL__N_127rocblas_gemm_batched_kernelI19rocblas_complex_numIfELi16ELi16ELi32ELi32ELi8ELi32ELi8ELi8ELi32ELc84ELc67EKPKS2_S5_KPS2_EEvlllT_PT11_llSA_llS8_PT12_llPT13_lli
	.p2align	8
	.type	_ZN12_GLOBAL__N_127rocblas_gemm_batched_kernelI19rocblas_complex_numIfELi16ELi16ELi32ELi32ELi8ELi32ELi8ELi8ELi32ELc84ELc67EKPKS2_S5_KPS2_EEvlllT_PT11_llSA_llS8_PT12_llPT13_lli,@function
_ZN12_GLOBAL__N_127rocblas_gemm_batched_kernelI19rocblas_complex_numIfELi16ELi16ELi32ELi32ELi8ELi32ELi8ELi8ELi32ELc84ELc67EKPKS2_S5_KPS2_EEvlllT_PT11_llSA_llS8_PT12_llPT13_lli: ; @_ZN12_GLOBAL__N_127rocblas_gemm_batched_kernelI19rocblas_complex_numIfELi16ELi16ELi32ELi32ELi8ELi32ELi8ELi8ELi32ELc84ELc67EKPKS2_S5_KPS2_EEvlllT_PT11_llSA_llS8_PT12_llPT13_lli
; %bb.0:
	s_load_dwordx16 s[12:27], s[4:5], 0x10
	s_load_dwordx4 s[0:3], s[4:5], 0x78
	s_load_dwordx8 s[36:43], s[4:5], 0x58
	s_load_dwordx2 s[10:11], s[4:5], 0x50
	s_mov_b32 s9, 0
	s_lshl_b64 s[30:31], s[8:9], 3
	s_mov_b32 s28, s7
	s_waitcnt lgkmcnt(0)
	s_add_u32 s4, s36, s30
	s_addc_u32 s5, s37, s31
	s_add_u32 s8, s42, s30
	s_addc_u32 s9, s43, s31
	s_load_dwordx2 s[4:5], s[4:5], 0x0
	s_ashr_i32 s7, s6, 31
	s_load_dwordx2 s[8:9], s[8:9], 0x0
	s_ashr_i32 s29, s28, 31
	v_cmp_lt_i64_e64 s[34:35], s[12:13], 1
	v_bfe_u32 v47, v0, 10, 10
	v_and_b32_e32 v46, 0x3ff, v0
	s_lshl_b64 s[6:7], s[6:7], 5
	s_lshl_b64 s[28:29], s[28:29], 5
	s_and_b64 vcc, exec, s[34:35]
	s_cbranch_vccnz .LBB251_3
; %bb.1:
	v_lshl_add_u32 v4, v47, 4, v46
	s_add_u32 s16, s16, s30
	v_lshrrev_b32_e32 v5, 3, v4
	s_addc_u32 s17, s17, s31
	v_mov_b32_e32 v1, s29
	v_add_co_u32_e32 v0, vcc, s28, v5
	s_add_u32 s22, s22, s30
	v_addc_co_u32_e32 v1, vcc, 0, v1, vcc
	v_and_b32_e32 v6, 7, v46
	s_addc_u32 s23, s23, s31
	v_mad_u64_u32 v[0:1], s[30:31], v6, s24, v[0:1]
	v_mov_b32_e32 v2, v1
	v_mad_u64_u32 v[2:3], s[30:31], v6, s25, v[2:3]
	v_mov_b32_e32 v1, v2
	v_and_b32_e32 v2, 31, v4
	v_lshrrev_b32_e32 v4, 5, v4
	v_lshlrev_b32_e32 v3, 3, v2
	v_lshl_or_b32 v52, v4, 8, v3
	v_lshlrev_b32_e32 v3, 3, v6
	v_lshl_or_b32 v3, v5, 6, v3
	v_add_u32_e32 v53, 0x800, v3
	v_mov_b32_e32 v3, 0x800
	v_lshl_add_u32 v55, v47, 6, v3
	v_mov_b32_e32 v3, s7
	v_add_co_u32_e32 v2, vcc, s6, v2
	v_addc_co_u32_e32 v3, vcc, 0, v3, vcc
	v_mul_lo_u32 v5, s19, v2
	v_mul_lo_u32 v6, s18, v3
	v_mad_u64_u32 v[2:3], s[18:19], s18, v2, 0
	v_add3_u32 v3, v3, v6, v5
	s_load_dwordx2 s[16:17], s[16:17], 0x0
	v_lshlrev_b64 v[2:3], 3, v[2:3]
	s_lshl_b64 s[18:19], s[20:21], 3
	s_load_dwordx2 s[22:23], s[22:23], 0x0
	v_mov_b32_e32 v5, s19
	v_add_co_u32_e32 v2, vcc, s18, v2
	v_addc_co_u32_e32 v3, vcc, v3, v5, vcc
	v_lshlrev_b32_e32 v4, 3, v4
	v_add_co_u32_e32 v2, vcc, v2, v4
	v_addc_co_u32_e32 v3, vcc, 0, v3, vcc
	s_waitcnt lgkmcnt(0)
	v_mov_b32_e32 v4, s17
	v_add_co_u32_e32 v40, vcc, s16, v2
	s_lshl_b64 s[16:17], s[26:27], 3
	s_add_u32 s16, s22, s16
	v_addc_co_u32_e32 v41, vcc, v4, v3, vcc
	v_lshlrev_b64 v[0:1], 3, v[0:1]
	s_addc_u32 s17, s23, s17
	v_mov_b32_e32 v2, s17
	v_add_co_u32_e32 v0, vcc, s16, v0
	v_addc_co_u32_e32 v1, vcc, v2, v1, vcc
	v_add_co_u32_e32 v42, vcc, 4, v0
	s_lshl_b64 s[16:17], s[24:25], 6
	v_lshlrev_b32_e32 v54, 3, v46
	v_addc_co_u32_e32 v43, vcc, 0, v1, vcc
	s_mov_b64 s[18:19], 0
	v_mov_b32_e32 v37, 0
	v_mov_b32_e32 v56, s17
	v_pk_mov_b32 v[44:45], s[12:13], s[12:13] op_sel:[0,1]
	v_mov_b32_e32 v39, 0
	v_mov_b32_e32 v38, 0
	;; [unrolled: 1-line block ×7, first 2 shown]
.LBB251_2:                              ; =>This Inner Loop Header: Depth=1
	global_load_dwordx2 v[0:1], v[40:41], off
	global_load_dwordx2 v[2:3], v[42:43], off offset:-4
	v_add_co_u32_e32 v40, vcc, 64, v40
	v_addc_co_u32_e32 v41, vcc, 0, v41, vcc
	s_add_u32 s18, s18, 8
	v_add_co_u32_e32 v42, vcc, s16, v42
	v_addc_co_u32_e32 v43, vcc, v43, v56, vcc
	s_addc_u32 s19, s19, 0
	v_cmp_lt_i64_e32 vcc, s[18:19], v[44:45]
	s_and_b64 vcc, exec, vcc
	s_waitcnt vmcnt(1)
	ds_write_b64 v52, v[0:1]
	s_waitcnt vmcnt(0)
	v_xor_b32_e32 v3, 0x80000000, v3
	ds_write_b64 v53, v[2:3]
	s_waitcnt lgkmcnt(0)
	s_barrier
	ds_read_b128 v[4:7], v55
	ds_read_b128 v[0:3], v55 offset:16
	ds_read2_b64 v[8:11], v54 offset1:16
	ds_read2_b64 v[12:15], v54 offset0:32 offset1:48
	ds_read2_b64 v[16:19], v54 offset0:64 offset1:80
	ds_read_b128 v[24:27], v55 offset:1024
	ds_read_b128 v[20:23], v55 offset:1040
	ds_read2_b64 v[28:31], v54 offset0:96 offset1:112
	ds_read2_b64 v[32:35], v54 offset0:128 offset1:144
	ds_read2_b64 v[58:61], v54 offset0:160 offset1:176
	ds_read_b128 v[62:65], v55 offset:32
	ds_read_b128 v[66:69], v55 offset:48
	ds_read2_b64 v[70:73], v54 offset0:192 offset1:208
	ds_read_b128 v[74:77], v55 offset:1056
	ds_read_b128 v[78:81], v55 offset:1072
	s_waitcnt lgkmcnt(12)
	v_mul_f32_e32 v57, v5, v9
	v_mul_f32_e32 v82, v4, v9
	v_mul_f32_e32 v83, v5, v11
	v_mul_f32_e32 v84, v4, v11
	s_waitcnt lgkmcnt(9)
	v_mul_f32_e32 v85, v25, v9
	v_mul_f32_e32 v9, v24, v9
	;; [unrolled: 1-line block ×5, first 2 shown]
	v_fma_f32 v57, v4, v8, -v57
	v_fmac_f32_e32 v82, v5, v8
	v_fma_f32 v4, v4, v10, -v83
	v_fmac_f32_e32 v84, v5, v10
	;; [unrolled: 2-line block ×4, first 2 shown]
	v_mul_f32_e32 v10, v6, v15
	v_mul_f32_e32 v87, v7, v13
	;; [unrolled: 1-line block ×6, first 2 shown]
	v_fmac_f32_e32 v88, v7, v12
	v_fmac_f32_e32 v10, v7, v14
	v_mul_f32_e32 v7, v26, v15
	v_fma_f32 v83, v6, v12, -v87
	v_fma_f32 v6, v6, v14, -v89
	v_mul_f32_e32 v15, v1, v17
	v_mul_f32_e32 v85, v0, v17
	;; [unrolled: 1-line block ×3, first 2 shown]
	v_fma_f32 v24, v26, v12, -v24
	v_fmac_f32_e32 v13, v27, v12
	v_fma_f32 v12, v26, v14, -v25
	v_fmac_f32_e32 v7, v27, v14
	v_mul_f32_e32 v14, v0, v19
	s_waitcnt lgkmcnt(8)
	v_mul_f32_e32 v25, v21, v17
	v_mul_f32_e32 v17, v20, v17
	;; [unrolled: 1-line block ×4, first 2 shown]
	s_waitcnt lgkmcnt(7)
	v_mul_f32_e32 v27, v3, v29
	v_mul_f32_e32 v87, v2, v29
	;; [unrolled: 1-line block ×3, first 2 shown]
	v_fma_f32 v15, v0, v16, -v15
	v_fmac_f32_e32 v85, v1, v16
	v_fma_f32 v86, v0, v18, -v86
	v_fmac_f32_e32 v14, v1, v18
	;; [unrolled: 2-line block ×4, first 2 shown]
	v_mul_f32_e32 v18, v2, v31
	v_mul_f32_e32 v0, v23, v29
	;; [unrolled: 1-line block ×4, first 2 shown]
	v_fma_f32 v21, v2, v28, -v27
	v_mul_f32_e32 v27, v22, v31
	v_fmac_f32_e32 v87, v3, v28
	v_fma_f32 v26, v2, v30, -v89
	v_fmac_f32_e32 v18, v3, v30
	s_waitcnt lgkmcnt(4)
	v_mul_f32_e32 v2, v63, v33
	v_mul_f32_e32 v29, v62, v33
	;; [unrolled: 1-line block ×3, first 2 shown]
	v_fma_f32 v31, v22, v28, -v0
	v_fmac_f32_e32 v20, v23, v28
	v_fma_f32 v22, v22, v30, -v1
	v_fmac_f32_e32 v27, v23, v30
	v_mul_f32_e32 v23, v62, v35
	s_waitcnt lgkmcnt(1)
	v_mul_f32_e32 v0, v75, v33
	v_mul_f32_e32 v28, v74, v33
	;; [unrolled: 1-line block ×7, first 2 shown]
	v_fma_f32 v90, v62, v32, -v2
	v_fmac_f32_e32 v29, v63, v32
	v_fma_f32 v62, v62, v34, -v3
	v_fmac_f32_e32 v23, v63, v34
	v_fma_f32 v63, v74, v32, -v0
	v_fmac_f32_e32 v28, v75, v32
	v_fma_f32 v32, v74, v34, -v1
	v_fmac_f32_e32 v30, v75, v34
	v_mul_f32_e32 v34, v64, v61
	v_mul_f32_e32 v0, v77, v59
	;; [unrolled: 1-line block ×5, first 2 shown]
	v_fma_f32 v33, v64, v58, -v33
	v_fmac_f32_e32 v35, v65, v58
	v_fma_f32 v64, v64, v60, -v89
	v_fmac_f32_e32 v34, v65, v60
	v_mul_f32_e32 v2, v67, v71
	v_mul_f32_e32 v65, v66, v71
	;; [unrolled: 1-line block ×3, first 2 shown]
	v_fma_f32 v74, v76, v58, -v0
	v_fmac_f32_e32 v59, v77, v58
	v_fma_f32 v58, v76, v60, -v1
	v_fmac_f32_e32 v61, v77, v60
	v_mul_f32_e32 v60, v66, v73
	s_waitcnt lgkmcnt(0)
	v_mul_f32_e32 v0, v79, v71
	v_mul_f32_e32 v71, v78, v71
	;; [unrolled: 1-line block ×3, first 2 shown]
	v_fma_f32 v75, v66, v70, -v2
	v_fmac_f32_e32 v65, v67, v70
	v_fma_f32 v66, v66, v72, -v3
	v_fmac_f32_e32 v60, v67, v72
	;; [unrolled: 2-line block ×3, first 2 shown]
	v_fma_f32 v70, v78, v72, -v1
	ds_read2_b64 v[0:3], v54 offset0:224 offset1:240
	v_mul_f32_e32 v73, v78, v73
	v_fmac_f32_e32 v73, v79, v72
	v_add_f32_e32 v4, v48, v4
	v_add_f32_e32 v8, v39, v8
	s_waitcnt lgkmcnt(0)
	v_mul_f32_e32 v72, v69, v1
	v_mul_f32_e32 v77, v69, v3
	;; [unrolled: 1-line block ×3, first 2 shown]
	v_fma_f32 v72, v68, v0, -v72
	v_fma_f32 v77, v68, v2, -v77
	v_mul_f32_e32 v68, v68, v3
	v_fmac_f32_e32 v76, v69, v0
	v_fmac_f32_e32 v68, v69, v2
	v_mul_f32_e32 v69, v81, v1
	v_mul_f32_e32 v1, v80, v1
	;; [unrolled: 1-line block ×4, first 2 shown]
	v_fma_f32 v69, v80, v0, -v69
	v_fmac_f32_e32 v1, v81, v0
	v_fma_f32 v0, v80, v2, -v78
	v_fmac_f32_e32 v3, v81, v2
	v_add_f32_e32 v2, v36, v5
	v_add_f32_e32 v5, v38, v9
	;; [unrolled: 1-line block ×62, first 2 shown]
	s_barrier
	s_cbranch_vccnz .LBB251_2
	s_branch .LBB251_4
.LBB251_3:
	v_mov_b32_e32 v50, 0
	v_mov_b32_e32 v51, 0
	v_mov_b32_e32 v48, 0
	v_mov_b32_e32 v49, 0
	v_mov_b32_e32 v36, 0
	v_mov_b32_e32 v38, 0
	v_mov_b32_e32 v39, 0
	v_mov_b32_e32 v37, 0
.LBB251_4:
	s_lshl_b64 s[2:3], s[2:3], 3
	s_waitcnt lgkmcnt(0)
	s_add_u32 s8, s8, s2
	v_mov_b32_e32 v0, s29
	v_add_co_u32_e32 v4, vcc, s28, v47
	s_addc_u32 s9, s9, s3
	v_addc_co_u32_e32 v5, vcc, 0, v0, vcc
	s_or_b32 s2, s10, s11
	s_bitset0_b32 s2, 31
	v_mov_b32_e32 v1, s7
	v_add_co_u32_e32 v0, vcc, s6, v46
	s_cmp_lg_u32 s2, 0
	v_addc_co_u32_e32 v1, vcc, 0, v1, vcc
	s_cbranch_scc1 .LBB251_6
; %bb.5:
	v_mul_lo_u32 v6, v5, s0
	v_mul_lo_u32 v7, v4, s1
	v_mad_u64_u32 v[2:3], s[2:3], v4, s0, 0
	v_add3_u32 v3, v3, v7, v6
	v_lshlrev_b64 v[2:3], 3, v[2:3]
	v_mov_b32_e32 v6, s9
	v_add_co_u32_e32 v8, vcc, s8, v2
	v_addc_co_u32_e32 v9, vcc, v6, v3, vcc
	v_lshlrev_b64 v[6:7], 3, v[0:1]
	v_mul_f32_e32 v2, s15, v51
	v_mul_f32_e32 v3, s14, v51
	v_add_co_u32_e32 v6, vcc, v8, v6
	v_fma_f32 v2, v50, s14, -v2
	v_fmac_f32_e32 v3, s15, v50
	v_addc_co_u32_e32 v7, vcc, v9, v7, vcc
	global_store_dwordx2 v[6:7], v[2:3], off
	v_mul_f32_e32 v2, s15, v49
	v_mul_f32_e32 v3, s14, v49
	v_fma_f32 v2, v48, s14, -v2
	v_fmac_f32_e32 v3, s15, v48
	s_lshl_b64 s[2:3], s[0:1], 7
	global_store_dwordx2 v[6:7], v[2:3], off offset:128
	v_mul_f32_e32 v2, s15, v38
	v_mul_f32_e32 v3, s14, v38
	v_mov_b32_e32 v9, s3
	v_add_co_u32_e32 v8, vcc, s2, v6
	v_fma_f32 v2, v36, s14, -v2
	v_fmac_f32_e32 v3, s15, v36
	v_addc_co_u32_e32 v9, vcc, v7, v9, vcc
	global_store_dwordx2 v[8:9], v[2:3], off
	v_mul_f32_e32 v2, s15, v37
	v_fma_f32 v7, v39, s14, -v2
	v_mul_f32_e32 v6, s14, v37
	v_add_co_u32_e32 v2, vcc, 0x80, v8
	v_fmac_f32_e32 v6, s15, v39
	v_addc_co_u32_e32 v3, vcc, 0, v9, vcc
	global_store_dword v[8:9], v7, off offset:128
	s_cbranch_execz .LBB251_7
	s_branch .LBB251_8
.LBB251_6:
                                        ; implicit-def: $vgpr6
                                        ; implicit-def: $vgpr2_vgpr3
.LBB251_7:
	s_lshl_b64 s[2:3], s[40:41], 3
	s_add_u32 s4, s4, s2
	s_addc_u32 s5, s5, s3
	v_mul_lo_u32 v6, v5, s38
	v_mul_lo_u32 v7, v4, s39
	v_mad_u64_u32 v[2:3], s[2:3], v4, s38, 0
	v_add3_u32 v3, v3, v7, v6
	v_lshlrev_b64 v[2:3], 3, v[2:3]
	v_mov_b32_e32 v6, s5
	v_add_co_u32_e32 v2, vcc, s4, v2
	v_addc_co_u32_e32 v3, vcc, v6, v3, vcc
	v_lshlrev_b64 v[0:1], 3, v[0:1]
	v_add_co_u32_e32 v2, vcc, v2, v0
	v_addc_co_u32_e32 v3, vcc, v3, v1, vcc
	global_load_dwordx2 v[6:7], v[2:3], off
	v_mul_lo_u32 v8, v5, s0
	v_mul_lo_u32 v9, v4, s1
	v_mad_u64_u32 v[4:5], s[2:3], v4, s0, 0
	v_add3_u32 v5, v5, v9, v8
	v_lshlrev_b64 v[4:5], 3, v[4:5]
	v_mov_b32_e32 v10, s9
	v_add_co_u32_e32 v4, vcc, s8, v4
	v_addc_co_u32_e32 v5, vcc, v10, v5, vcc
	v_add_co_u32_e32 v0, vcc, v4, v0
	v_mul_f32_e32 v11, s15, v51
	v_mul_f32_e32 v12, s14, v51
	v_addc_co_u32_e32 v1, vcc, v5, v1, vcc
	v_fma_f32 v8, v50, s14, -v11
	v_fmac_f32_e32 v12, s15, v50
	s_lshl_b64 s[2:3], s[38:39], 7
	s_lshl_b64 s[0:1], s[0:1], 7
	s_waitcnt vmcnt(0)
	v_mul_f32_e32 v4, s11, v7
	v_mul_f32_e32 v5, s10, v7
	v_fma_f32 v4, v6, s10, -v4
	v_fmac_f32_e32 v5, s11, v6
	v_add_f32_e32 v4, v8, v4
	v_add_f32_e32 v5, v12, v5
	global_store_dwordx2 v[0:1], v[4:5], off
	global_load_dwordx2 v[4:5], v[2:3], off offset:128
	v_mov_b32_e32 v8, s3
	v_add_co_u32_e32 v2, vcc, s2, v2
	v_mul_f32_e32 v6, s15, v49
	v_mul_f32_e32 v7, s14, v49
	v_addc_co_u32_e32 v3, vcc, v3, v8, vcc
	v_fma_f32 v6, v48, s14, -v6
	v_fmac_f32_e32 v7, s15, v48
	s_waitcnt vmcnt(0)
	v_mul_f32_e32 v8, s11, v5
	v_mul_f32_e32 v5, s10, v5
	v_fma_f32 v8, v4, s10, -v8
	v_fmac_f32_e32 v5, s11, v4
	v_add_f32_e32 v4, v6, v8
	v_add_f32_e32 v5, v7, v5
	global_store_dwordx2 v[0:1], v[4:5], off offset:128
	global_load_dwordx2 v[4:5], v[2:3], off
	v_pk_mul_f32 v[6:7], v[38:39], s[14:15] op_sel_hi:[0,1]
	v_pk_fma_f32 v[8:9], v[36:37], s[14:15], v[6:7] op_sel:[0,0,1] op_sel_hi:[1,1,0] neg_lo:[0,0,1] neg_hi:[0,0,1]
	v_pk_fma_f32 v[6:7], v[36:37], s[14:15], v[6:7] op_sel:[0,0,1] op_sel_hi:[0,1,0]
	v_mov_b32_e32 v6, s1
	v_add_co_u32_e32 v0, vcc, s0, v0
	v_mov_b32_e32 v9, v7
	v_addc_co_u32_e32 v1, vcc, v1, v6, vcc
	s_waitcnt vmcnt(0)
	v_pk_mul_f32 v[6:7], v[4:5], s[10:11] op_sel:[0,1]
	v_pk_fma_f32 v[10:11], v[4:5], s[10:11], v[6:7] op_sel:[0,0,1] op_sel_hi:[1,1,0] neg_lo:[0,0,1] neg_hi:[0,0,1]
	v_pk_fma_f32 v[4:5], v[4:5], s[10:11], v[6:7] op_sel:[0,0,1] op_sel_hi:[1,0,0]
	v_mov_b32_e32 v11, v5
	v_pk_add_f32 v[4:5], v[8:9], v[10:11]
	global_store_dwordx2 v[0:1], v[4:5], off
	global_load_dwordx2 v[4:5], v[2:3], off offset:128
	v_mul_f32_e32 v2, s15, v37
	v_mul_f32_e32 v3, s14, v37
	v_fma_f32 v8, v39, s14, -v2
	v_fmac_f32_e32 v3, s15, v39
	v_add_co_u32_e32 v2, vcc, 0x80, v0
	s_waitcnt vmcnt(0)
	v_mul_f32_e32 v9, s10, v4
	v_pk_mul_f32 v[6:7], v[4:5], s[10:11] op_sel:[0,1] op_sel_hi:[1,0]
	v_fma_f32 v4, -v5, s11, v9
	v_add_f32_e32 v5, v6, v7
	v_add_f32_e32 v4, v8, v4
	;; [unrolled: 1-line block ×3, first 2 shown]
	v_addc_co_u32_e32 v3, vcc, 0, v1, vcc
	global_store_dword v[0:1], v4, off offset:128
.LBB251_8:
	global_store_dword v[2:3], v6, off offset:4
	s_endpgm
	.section	.rodata,"a",@progbits
	.p2align	6, 0x0
	.amdhsa_kernel _ZN12_GLOBAL__N_127rocblas_gemm_batched_kernelI19rocblas_complex_numIfELi16ELi16ELi32ELi32ELi8ELi32ELi8ELi8ELi32ELc84ELc67EKPKS2_S5_KPS2_EEvlllT_PT11_llSA_llS8_PT12_llPT13_lli
		.amdhsa_group_segment_fixed_size 4096
		.amdhsa_private_segment_fixed_size 0
		.amdhsa_kernarg_size 140
		.amdhsa_user_sgpr_count 6
		.amdhsa_user_sgpr_private_segment_buffer 1
		.amdhsa_user_sgpr_dispatch_ptr 0
		.amdhsa_user_sgpr_queue_ptr 0
		.amdhsa_user_sgpr_kernarg_segment_ptr 1
		.amdhsa_user_sgpr_dispatch_id 0
		.amdhsa_user_sgpr_flat_scratch_init 0
		.amdhsa_user_sgpr_kernarg_preload_length 0
		.amdhsa_user_sgpr_kernarg_preload_offset 0
		.amdhsa_user_sgpr_private_segment_size 0
		.amdhsa_uses_dynamic_stack 0
		.amdhsa_system_sgpr_private_segment_wavefront_offset 0
		.amdhsa_system_sgpr_workgroup_id_x 1
		.amdhsa_system_sgpr_workgroup_id_y 1
		.amdhsa_system_sgpr_workgroup_id_z 1
		.amdhsa_system_sgpr_workgroup_info 0
		.amdhsa_system_vgpr_workitem_id 1
		.amdhsa_next_free_vgpr 91
		.amdhsa_next_free_sgpr 44
		.amdhsa_accum_offset 92
		.amdhsa_reserve_vcc 1
		.amdhsa_reserve_flat_scratch 0
		.amdhsa_float_round_mode_32 0
		.amdhsa_float_round_mode_16_64 0
		.amdhsa_float_denorm_mode_32 3
		.amdhsa_float_denorm_mode_16_64 3
		.amdhsa_dx10_clamp 1
		.amdhsa_ieee_mode 1
		.amdhsa_fp16_overflow 0
		.amdhsa_tg_split 0
		.amdhsa_exception_fp_ieee_invalid_op 0
		.amdhsa_exception_fp_denorm_src 0
		.amdhsa_exception_fp_ieee_div_zero 0
		.amdhsa_exception_fp_ieee_overflow 0
		.amdhsa_exception_fp_ieee_underflow 0
		.amdhsa_exception_fp_ieee_inexact 0
		.amdhsa_exception_int_div_zero 0
	.end_amdhsa_kernel
	.section	.text._ZN12_GLOBAL__N_127rocblas_gemm_batched_kernelI19rocblas_complex_numIfELi16ELi16ELi32ELi32ELi8ELi32ELi8ELi8ELi32ELc84ELc67EKPKS2_S5_KPS2_EEvlllT_PT11_llSA_llS8_PT12_llPT13_lli,"axG",@progbits,_ZN12_GLOBAL__N_127rocblas_gemm_batched_kernelI19rocblas_complex_numIfELi16ELi16ELi32ELi32ELi8ELi32ELi8ELi8ELi32ELc84ELc67EKPKS2_S5_KPS2_EEvlllT_PT11_llSA_llS8_PT12_llPT13_lli,comdat
.Lfunc_end251:
	.size	_ZN12_GLOBAL__N_127rocblas_gemm_batched_kernelI19rocblas_complex_numIfELi16ELi16ELi32ELi32ELi8ELi32ELi8ELi8ELi32ELc84ELc67EKPKS2_S5_KPS2_EEvlllT_PT11_llSA_llS8_PT12_llPT13_lli, .Lfunc_end251-_ZN12_GLOBAL__N_127rocblas_gemm_batched_kernelI19rocblas_complex_numIfELi16ELi16ELi32ELi32ELi8ELi32ELi8ELi8ELi32ELc84ELc67EKPKS2_S5_KPS2_EEvlllT_PT11_llSA_llS8_PT12_llPT13_lli
                                        ; -- End function
	.section	.AMDGPU.csdata,"",@progbits
; Kernel info:
; codeLenInByte = 2408
; NumSgprs: 48
; NumVgprs: 91
; NumAgprs: 0
; TotalNumVgprs: 91
; ScratchSize: 0
; MemoryBound: 0
; FloatMode: 240
; IeeeMode: 1
; LDSByteSize: 4096 bytes/workgroup (compile time only)
; SGPRBlocks: 5
; VGPRBlocks: 11
; NumSGPRsForWavesPerEU: 48
; NumVGPRsForWavesPerEU: 91
; AccumOffset: 92
; Occupancy: 5
; WaveLimiterHint : 1
; COMPUTE_PGM_RSRC2:SCRATCH_EN: 0
; COMPUTE_PGM_RSRC2:USER_SGPR: 6
; COMPUTE_PGM_RSRC2:TRAP_HANDLER: 0
; COMPUTE_PGM_RSRC2:TGID_X_EN: 1
; COMPUTE_PGM_RSRC2:TGID_Y_EN: 1
; COMPUTE_PGM_RSRC2:TGID_Z_EN: 1
; COMPUTE_PGM_RSRC2:TIDIG_COMP_CNT: 1
; COMPUTE_PGM_RSRC3_GFX90A:ACCUM_OFFSET: 22
; COMPUTE_PGM_RSRC3_GFX90A:TG_SPLIT: 0
	.section	.text._ZN12_GLOBAL__N_135rocblas_gemm_batched_general_kernelI19rocblas_complex_numIfELi16ELi16ELi32ELi32ELi8ELi32ELi8ELi8ELi32ELc78ELc78EKPKS2_S5_KPS2_EEvlllT_PT11_llSA_llS8_PT12_llPT13_lli,"axG",@progbits,_ZN12_GLOBAL__N_135rocblas_gemm_batched_general_kernelI19rocblas_complex_numIfELi16ELi16ELi32ELi32ELi8ELi32ELi8ELi8ELi32ELc78ELc78EKPKS2_S5_KPS2_EEvlllT_PT11_llSA_llS8_PT12_llPT13_lli,comdat
	.globl	_ZN12_GLOBAL__N_135rocblas_gemm_batched_general_kernelI19rocblas_complex_numIfELi16ELi16ELi32ELi32ELi8ELi32ELi8ELi8ELi32ELc78ELc78EKPKS2_S5_KPS2_EEvlllT_PT11_llSA_llS8_PT12_llPT13_lli ; -- Begin function _ZN12_GLOBAL__N_135rocblas_gemm_batched_general_kernelI19rocblas_complex_numIfELi16ELi16ELi32ELi32ELi8ELi32ELi8ELi8ELi32ELc78ELc78EKPKS2_S5_KPS2_EEvlllT_PT11_llSA_llS8_PT12_llPT13_lli
	.p2align	8
	.type	_ZN12_GLOBAL__N_135rocblas_gemm_batched_general_kernelI19rocblas_complex_numIfELi16ELi16ELi32ELi32ELi8ELi32ELi8ELi8ELi32ELc78ELc78EKPKS2_S5_KPS2_EEvlllT_PT11_llSA_llS8_PT12_llPT13_lli,@function
_ZN12_GLOBAL__N_135rocblas_gemm_batched_general_kernelI19rocblas_complex_numIfELi16ELi16ELi32ELi32ELi8ELi32ELi8ELi8ELi32ELc78ELc78EKPKS2_S5_KPS2_EEvlllT_PT11_llSA_llS8_PT12_llPT13_lli: ; @_ZN12_GLOBAL__N_135rocblas_gemm_batched_general_kernelI19rocblas_complex_numIfELi16ELi16ELi32ELi32ELi8ELi32ELi8ELi8ELi32ELc78ELc78EKPKS2_S5_KPS2_EEvlllT_PT11_llSA_llS8_PT12_llPT13_lli
; %bb.0:
	s_load_dwordx16 s[12:27], s[4:5], 0x0
	s_load_dwordx4 s[28:31], s[4:5], 0x78
	s_load_dwordx8 s[36:43], s[4:5], 0x58
	s_load_dwordx2 s[34:35], s[4:5], 0x50
	s_add_u32 s0, s0, s11
	s_mov_b32 s11, 0
	s_addc_u32 s1, s1, 0
	s_lshl_b64 s[6:7], s[10:11], 3
	s_waitcnt lgkmcnt(0)
	s_add_u32 s10, s36, s6
	s_addc_u32 s11, s37, s7
	s_add_u32 s36, s42, s6
	s_addc_u32 s37, s43, s7
	s_load_dwordx2 s[10:11], s[10:11], 0x0
	s_mov_b32 s44, s9
	s_load_dwordx2 s[42:43], s[36:37], 0x0
	s_ashr_i32 s45, s44, 31
	v_mov_b32_e32 v29, 0
	s_ashr_i32 s9, s8, 31
	s_lshl_b64 s[48:49], s[44:45], 5
	v_cmp_lt_i64_e64 s[44:45], s[16:17], 1
	v_and_b32_e32 v31, 0x3ff, v0
	v_bfe_u32 v33, v0, 10, 10
	s_lshl_b64 s[36:37], s[8:9], 5
	s_and_b64 vcc, exec, s[44:45]
	v_mov_b32_e32 v28, v29
	buffer_store_dword v29, off, s[0:3], 0 offset:4
	buffer_store_dword v29, off, s[0:3], 0
	buffer_store_dword v29, off, s[0:3], 0 offset:12
	buffer_store_dword v29, off, s[0:3], 0 offset:8
	;; [unrolled: 1-line block ×4, first 2 shown]
	s_cbranch_vccnz .LBB252_7
; %bb.1:
	s_load_dwordx4 s[44:47], s[4:5], 0x40
	s_add_u32 s4, s20, s6
	s_addc_u32 s5, s21, s7
	v_lshl_add_u32 v2, v33, 4, v31
	s_load_dwordx2 s[20:21], s[4:5], 0x0
	s_add_u32 s4, s26, s6
	v_and_b32_e32 v5, 31, v2
	s_addc_u32 s5, s27, s7
	v_lshrrev_b32_e32 v30, 5, v2
	v_and_b32_e32 v32, 7, v31
	v_lshrrev_b32_e32 v4, 3, v2
	v_mov_b32_e32 v3, s37
	v_or_b32_e32 v2, s36, v5
	s_load_dwordx2 s[26:27], s[4:5], 0x0
	v_cmp_gt_i64_e64 s[4:5], s[12:13], v[2:3]
	v_lshlrev_b32_e32 v2, 3, v32
	v_mov_b32_e32 v1, s49
	v_add_co_u32_e32 v0, vcc, s48, v4
	v_lshl_or_b32 v3, v4, 6, v2
	v_addc_co_u32_e32 v1, vcc, 0, v1, vcc
	v_add_u32_e32 v79, 0x800, v3
	v_mov_b32_e32 v3, 0x800
	v_cmp_gt_i64_e64 s[6:7], s[14:15], v[0:1]
	v_lshl_add_u32 v81, v33, 6, v3
	s_waitcnt lgkmcnt(0)
	v_mul_lo_u32 v3, s45, v0
	v_mul_lo_u32 v4, s44, v1
	v_mad_u64_u32 v[0:1], s[44:45], s44, v0, 0
	v_add3_u32 v1, v1, v4, v3
	v_lshlrev_b64 v[0:1], 3, v[0:1]
	s_lshl_b64 s[44:45], s[46:47], 3
	v_mov_b32_e32 v3, s45
	v_add_co_u32_e32 v0, vcc, s44, v0
	v_addc_co_u32_e32 v1, vcc, v1, v3, vcc
	v_add_co_u32_e32 v0, vcc, v0, v2
	v_addc_co_u32_e32 v1, vcc, 0, v1, vcc
	v_mov_b32_e32 v2, s27
	v_add_co_u32_e32 v34, vcc, s26, v0
	v_addc_co_u32_e32 v35, vcc, v2, v1, vcc
	v_mad_u64_u32 v[0:1], s[26:27], s22, v30, 0
	v_mov_b32_e32 v2, v1
	v_mad_u64_u32 v[2:3], s[26:27], s23, v30, v[2:3]
	s_lshl_b64 s[8:9], s[8:9], 8
	s_lshl_b64 s[24:25], s[24:25], 3
	v_mov_b32_e32 v1, v2
	s_add_u32 s8, s24, s8
	v_lshlrev_b64 v[0:1], 3, v[0:1]
	s_addc_u32 s9, s25, s9
	v_mov_b32_e32 v2, s9
	v_add_co_u32_e32 v0, vcc, s8, v0
	v_lshlrev_b32_e32 v5, 3, v5
	v_addc_co_u32_e32 v1, vcc, v2, v1, vcc
	v_add_co_u32_e32 v0, vcc, v0, v5
	v_addc_co_u32_e32 v1, vcc, 0, v1, vcc
	v_mov_b32_e32 v28, 0
	v_mov_b32_e32 v2, s21
	v_add_co_u32_e32 v36, vcc, s20, v0
	v_lshl_or_b32 v78, v30, 8, v5
	v_lshlrev_b32_e32 v80, 3, v31
	v_addc_co_u32_e32 v37, vcc, v2, v1, vcc
	s_lshl_b64 s[8:9], s[22:23], 6
	s_mov_b64 s[20:21], 0
	v_mov_b32_e32 v29, v28
	s_branch .LBB252_3
.LBB252_2:                              ;   in Loop: Header=BB252_3 Depth=1
	s_or_b64 exec, exec, s[22:23]
	s_waitcnt vmcnt(0)
	ds_write_b64 v79, v[0:1]
	s_waitcnt lgkmcnt(0)
	s_barrier
	ds_read2_b64 v[12:15], v80 offset0:32 offset1:48
	ds_read2_b64 v[16:19], v80 offset0:64 offset1:80
	;; [unrolled: 1-line block ×3, first 2 shown]
	ds_read_b128 v[4:7], v81
	ds_read_b128 v[0:3], v81 offset:16
	ds_read_b128 v[82:85], v81 offset:1024
	;; [unrolled: 1-line block ×3, first 2 shown]
	s_waitcnt lgkmcnt(6)
	v_mov_b32_e32 v49, v12
	s_waitcnt lgkmcnt(3)
	v_pk_mul_f32 v[20:21], v[6:7], v[12:13] op_sel:[0,1]
	v_pk_fma_f32 v[40:41], v[6:7], v[12:13], v[20:21] op_sel:[0,0,1] op_sel_hi:[1,0,0] neg_lo:[0,0,1] neg_hi:[0,0,1]
	v_pk_fma_f32 v[42:43], v[6:7], v[12:13], v[20:21] op_sel:[0,0,1] op_sel_hi:[1,0,0]
	v_mul_f32_e32 v12, v6, v14
	v_mov_b32_e32 v53, v13
	v_mov_b32_e32 v54, v13
	v_fma_f32 v120, -v7, v15, v12
	s_waitcnt lgkmcnt(2)
	v_pk_mul_f32 v[12:13], v[0:1], v[16:17] op_sel:[0,1]
	v_pk_fma_f32 v[56:57], v[0:1], v[16:17], v[12:13] op_sel:[0,0,1] op_sel_hi:[1,0,0] neg_lo:[0,0,1] neg_hi:[0,0,1]
	v_pk_fma_f32 v[58:59], v[0:1], v[16:17], v[12:13] op_sel:[0,0,1] op_sel_hi:[1,0,0]
	v_mul_f32_e32 v12, v0, v18
	v_fma_f32 v58, -v1, v19, v12
	v_pk_mul_f32 v[12:13], v[2:3], v[8:9] op_sel:[0,1]
	v_mov_b32_e32 v39, v8
	v_pk_fma_f32 v[64:65], v[2:3], v[8:9], v[12:13] op_sel:[0,0,1] op_sel_hi:[1,0,0] neg_lo:[0,0,1] neg_hi:[0,0,1]
	v_pk_fma_f32 v[66:67], v[2:3], v[8:9], v[12:13] op_sel:[0,0,1] op_sel_hi:[1,0,0]
	v_mul_f32_e32 v8, v2, v10
	s_waitcnt lgkmcnt(0)
	v_mul_f32_e32 v123, v27, v10
	v_mov_b32_e32 v38, v10
	v_mov_b32_e32 v94, v11
	;; [unrolled: 1-line block ×5, first 2 shown]
	ds_read2_b64 v[70:73], v80 offset0:128 offset1:144
	v_fma_f32 v66, -v3, v11, v8
	v_fmac_f32_e32 v123, v26, v11
	ds_read_b128 v[8:11], v81 offset:32
	ds_read_b128 v[20:23], v81 offset:1056
	v_mul_f32_e32 v122, v25, v18
	ds_read2_b64 v[86:89], v80 offset0:160 offset1:176
	v_mov_b32_e32 v44, v18
	v_mov_b32_e32 v45, v16
	;; [unrolled: 1-line block ×6, first 2 shown]
	v_fmac_f32_e32 v122, v24, v19
	ds_read_b128 v[16:19], v81 offset:48
	ds_read2_b64 v[90:93], v80 offset0:192 offset1:208
	s_waitcnt lgkmcnt(4)
	v_pk_mul_f32 v[12:13], v[8:9], v[70:71] op_sel:[0,1]
	v_mul_f32_e32 v121, v85, v14
	v_pk_fma_f32 v[98:99], v[8:9], v[70:71], v[12:13] op_sel:[0,0,1] op_sel_hi:[1,0,0] neg_lo:[0,0,1] neg_hi:[0,0,1]
	v_pk_fma_f32 v[100:101], v[8:9], v[70:71], v[12:13] op_sel:[0,0,1] op_sel_hi:[1,0,0]
	v_mul_f32_e32 v12, v8, v72
	v_mov_b32_e32 v48, v14
	v_mov_b32_e32 v52, v15
	;; [unrolled: 1-line block ×3, first 2 shown]
	v_fmac_f32_e32 v121, v84, v15
	v_fma_f32 v100, -v9, v73, v12
	ds_read_b128 v[12:15], v81 offset:1072
	s_waitcnt lgkmcnt(4)
	v_mul_f32_e32 v124, v21, v72
	v_mov_b32_e32 v60, v72
	v_mov_b32_e32 v68, v73
	v_mov_b32_e32 v63, v73
	v_fmac_f32_e32 v124, v20, v73
	s_waitcnt lgkmcnt(3)
	v_pk_mul_f32 v[72:73], v[10:11], v[86:87] op_sel:[0,1]
	v_mov_b32_e32 v69, v71
	v_mov_b32_e32 v62, v71
	;; [unrolled: 1-line block ×5, first 2 shown]
	v_pk_fma_f32 v[104:105], v[10:11], v[86:87], v[72:73] op_sel:[0,0,1] op_sel_hi:[1,0,0] neg_lo:[0,0,1] neg_hi:[0,0,1]
	v_pk_fma_f32 v[106:107], v[10:11], v[86:87], v[72:73] op_sel:[0,0,1] op_sel_hi:[1,0,0]
	v_mul_f32_e32 v41, v10, v88
	v_mul_f32_e32 v125, v23, v88
	s_waitcnt lgkmcnt(1)
	v_pk_mul_f32 v[86:87], v[16:17], v[90:91] op_sel:[0,1]
	v_mov_b32_e32 v61, v70
	v_mov_b32_e32 v70, v88
	v_mov_b32_e32 v74, v89
	v_mov_b32_e32 v103, v89
	v_fma_f32 v106, -v11, v89, v41
	v_fmac_f32_e32 v125, v22, v89
	v_mov_b32_e32 v73, v90
	v_mov_b32_e32 v77, v91
	;; [unrolled: 1-line block ×3, first 2 shown]
	v_pk_fma_f32 v[110:111], v[16:17], v[90:91], v[86:87] op_sel:[0,0,1] op_sel_hi:[1,0,0] neg_lo:[0,0,1] neg_hi:[0,0,1]
	v_pk_fma_f32 v[90:91], v[16:17], v[90:91], v[86:87] op_sel:[0,0,1] op_sel_hi:[1,0,0]
	ds_read2_b64 v[86:89], v80 offset1:16
	v_mul_f32_e32 v41, v16, v92
	s_waitcnt lgkmcnt(1)
	v_mul_f32_e32 v126, v13, v92
	v_mov_b32_e32 v72, v92
	v_mov_b32_e32 v76, v93
	v_mov_b32_e32 v109, v93
	v_fma_f32 v90, -v17, v93, v41
	v_fmac_f32_e32 v126, v12, v93
	s_waitcnt lgkmcnt(0)
	v_mov_b32_e32 v92, v89
	v_mov_b32_e32 v93, v87
	v_mov_b32_e32 v112, v4
	v_mov_b32_e32 v113, v83
	v_pk_mul_f32 v[116:117], v[4:5], v[86:87] op_sel:[0,1]
	v_pk_mul_f32 v[92:93], v[112:113], v[92:93]
	v_mov_b32_e32 v113, v86
	v_mov_b32_e32 v114, v87
	v_pk_fma_f32 v[118:119], v[4:5], v[86:87], v[116:117] op_sel:[0,0,1] op_sel_hi:[1,0,0] neg_lo:[0,0,1] neg_hi:[0,0,1]
	v_pk_fma_f32 v[86:87], v[4:5], v[86:87], v[116:117] op_sel:[0,0,1] op_sel_hi:[1,0,0]
	v_mul_f32_e32 v4, v4, v88
	v_fma_f32 v86, -v5, v89, v4
	v_mul_f32_e32 v116, v83, v88
	v_mov_b32_e32 v4, v5
	v_mov_b32_e32 v112, v88
	;; [unrolled: 1-line block ×3, first 2 shown]
	v_fmac_f32_e32 v116, v82, v89
	v_pk_fma_f32 v[88:89], v[4:5], v[88:89], v[92:93]
	v_mov_b32_e32 v5, v82
	v_pk_fma_f32 v[4:5], v[4:5], v[112:113], v[92:93] neg_lo:[0,0,1] neg_hi:[0,0,1]
	v_pk_mul_f32 v[92:93], v[82:83], v[112:113]
	v_pk_fma_f32 v[112:113], v[82:83], v[114:115], v[92:93] op_sel:[0,0,1] op_sel_hi:[1,1,0]
	v_pk_fma_f32 v[82:83], v[82:83], v[114:115], v[92:93] op_sel:[0,0,1] op_sel_hi:[1,1,0] neg_lo:[1,0,0] neg_hi:[1,0,0]
	v_pk_mul_f32 v[92:93], v[84:85], v[48:49]
	v_pk_fma_f32 v[114:115], v[84:85], v[54:55], v[92:93] op_sel:[0,0,1] op_sel_hi:[1,1,0]
	v_pk_fma_f32 v[54:55], v[84:85], v[54:55], v[92:93] op_sel:[0,0,1] op_sel_hi:[1,1,0] neg_lo:[1,0,0] neg_hi:[1,0,0]
	v_mov_b32_e32 v93, v84
	v_mov_b32_e32 v84, v6
	;; [unrolled: 1-line block ×4, first 2 shown]
	v_pk_mul_f32 v[6:7], v[84:85], v[52:53]
	v_pk_fma_f32 v[52:53], v[4:5], v[48:49], v[6:7]
	v_pk_fma_f32 v[6:7], v[92:93], v[48:49], v[6:7] neg_lo:[0,0,1] neg_hi:[0,0,1]
	buffer_load_dword v92, off, s[0:3], 0 offset:12
	buffer_load_dword v93, off, s[0:3], 0 offset:16
	buffer_load_dword v6, off, s[0:3], 0
	v_mov_b32_e32 v48, v0
	v_mov_b32_e32 v49, v25
	v_pk_mul_f32 v[48:49], v[48:49], v[50:51]
	v_mov_b32_e32 v0, v1
	v_mov_b32_e32 v50, v1
	;; [unrolled: 1-line block ×3, first 2 shown]
	v_pk_fma_f32 v[84:85], v[0:1], v[44:45], v[48:49]
	v_pk_mul_f32 v[0:1], v[24:25], v[44:45]
	v_pk_fma_f32 v[48:49], v[50:51], v[44:45], v[48:49] neg_lo:[0,0,1] neg_hi:[0,0,1]
	v_pk_fma_f32 v[44:45], v[24:25], v[46:47], v[0:1] op_sel:[0,0,1] op_sel_hi:[1,1,0]
	v_pk_fma_f32 v[24:25], v[24:25], v[46:47], v[0:1] op_sel:[0,0,1] op_sel_hi:[1,1,0] neg_lo:[1,0,0] neg_hi:[1,0,0]
	v_pk_mul_f32 v[0:1], v[26:27], v[38:39]
	v_pk_fma_f32 v[46:47], v[26:27], v[96:97], v[0:1] op_sel:[0,0,1] op_sel_hi:[1,1,0]
	v_pk_fma_f32 v[50:51], v[26:27], v[96:97], v[0:1] op_sel:[0,0,1] op_sel_hi:[1,1,0] neg_lo:[1,0,0] neg_hi:[1,0,0]
	v_mov_b32_e32 v1, v27
	v_mov_b32_e32 v0, v2
	;; [unrolled: 1-line block ×4, first 2 shown]
	v_pk_mul_f32 v[0:1], v[0:1], v[94:95]
	v_mov_b32_e32 v2, v3
	v_pk_fma_f32 v[26:27], v[26:27], v[38:39], v[0:1] neg_lo:[0,0,1] neg_hi:[0,0,1]
	v_pk_fma_f32 v[94:95], v[2:3], v[38:39], v[0:1]
	buffer_load_dword v26, off, s[0:3], 0 offset:20
	buffer_load_dword v38, off, s[0:3], 0 offset:4
	;; [unrolled: 1-line block ×3, first 2 shown]
	v_mov_b32_e32 v119, v87
	v_pk_add_f32 v[0:1], v[28:29], v[118:119]
	v_mov_b32_e32 v41, v43
	v_pk_add_f32 v[0:1], v[0:1], v[40:41]
	v_mov_b32_e32 v57, v59
	v_pk_add_f32 v[0:1], v[0:1], v[56:57]
	v_mov_b32_e32 v65, v67
	v_pk_add_f32 v[0:1], v[0:1], v[64:65]
	v_mov_b32_e32 v99, v101
	v_pk_add_f32 v[28:29], v[0:1], v[98:99]
	ds_read2_b64 v[0:3], v80 offset0:224 offset1:240
	v_mov_b32_e32 v113, v83
	v_mov_b32_e32 v115, v55
	;; [unrolled: 1-line block ×4, first 2 shown]
	s_waitcnt lgkmcnt(0)
	v_pk_mul_f32 v[40:41], v[18:19], v[0:1] op_sel:[0,1]
	v_pk_fma_f32 v[42:43], v[18:19], v[0:1], v[40:41] op_sel:[0,0,1] op_sel_hi:[1,0,0] neg_lo:[0,0,1] neg_hi:[0,0,1]
	v_pk_fma_f32 v[40:41], v[18:19], v[0:1], v[40:41] op_sel:[0,0,1] op_sel_hi:[1,0,0]
	v_mov_b32_e32 v43, v41
	v_pk_add_f32 v[28:29], v[28:29], v[104:105]
	v_mov_b32_e32 v111, v91
	v_pk_add_f32 v[28:29], v[28:29], v[110:111]
	;; [unrolled: 2-line block ×3, first 2 shown]
	v_mov_b32_e32 v42, v9
	v_mov_b32_e32 v89, v5
	;; [unrolled: 1-line block ×7, first 2 shown]
	v_add_co_u32_e32 v34, vcc, 64, v34
	v_addc_co_u32_e32 v35, vcc, 0, v35, vcc
	s_add_u32 s20, s20, 8
	v_add_co_u32_e32 v36, vcc, s8, v36
	s_addc_u32 s21, s21, 0
	s_waitcnt vmcnt(4)
	v_pk_add_f32 v[40:41], v[92:93], v[112:113]
	v_pk_add_f32 v[40:41], v[40:41], v[114:115]
	;; [unrolled: 1-line block ×3, first 2 shown]
	v_mov_b32_e32 v40, v8
	v_mov_b32_e32 v41, v21
	v_pk_mul_f32 v[40:41], v[40:41], v[68:69]
	v_pk_fma_f32 v[8:9], v[4:5], v[60:61], v[40:41]
	s_waitcnt vmcnt(3)
	v_add_f32_e32 v4, v6, v86
	v_add_f32_e32 v4, v4, v120
	;; [unrolled: 1-line block ×6, first 2 shown]
	v_mul_f32_e32 v5, v18, v2
	v_add_f32_e32 v4, v4, v90
	v_fma_f32 v5, -v19, v3, v5
	v_pk_fma_f32 v[40:41], v[42:43], v[60:61], v[40:41] neg_lo:[0,0,1] neg_hi:[0,0,1]
	v_pk_mul_f32 v[42:43], v[20:21], v[60:61]
	v_add_f32_e32 v4, v4, v5
	v_pk_fma_f32 v[44:45], v[20:21], v[62:63], v[42:43] op_sel:[0,0,1] op_sel_hi:[1,1,0]
	v_pk_fma_f32 v[20:21], v[20:21], v[62:63], v[42:43] op_sel:[0,0,1] op_sel_hi:[1,1,0] neg_lo:[1,0,0] neg_hi:[1,0,0]
	buffer_store_dword v4, off, s[0:3], 0
	s_waitcnt vmcnt(3)
	v_add_f32_e32 v4, v26, v116
	v_pk_add_f32 v[24:25], v[24:25], v[46:47]
	v_mov_b32_e32 v45, v21
	v_add_f32_e32 v4, v4, v121
	v_pk_add_f32 v[20:21], v[24:25], v[44:45]
	v_pk_mul_f32 v[24:25], v[22:23], v[70:71]
	v_add_f32_e32 v4, v4, v122
	v_pk_fma_f32 v[42:43], v[22:23], v[102:103], v[24:25] op_sel:[0,0,1] op_sel_hi:[1,1,0]
	v_pk_fma_f32 v[24:25], v[22:23], v[102:103], v[24:25] op_sel:[0,0,1] op_sel_hi:[1,1,0] neg_lo:[1,0,0] neg_hi:[1,0,0]
	v_add_f32_e32 v4, v4, v123
	v_mov_b32_e32 v43, v25
	v_pk_mul_f32 v[24:25], v[12:13], v[72:73]
	v_add_f32_e32 v4, v4, v124
	v_pk_add_f32 v[20:21], v[20:21], v[42:43]
	v_pk_fma_f32 v[42:43], v[12:13], v[108:109], v[24:25] op_sel:[0,0,1] op_sel_hi:[1,1,0]
	v_pk_fma_f32 v[24:25], v[12:13], v[108:109], v[24:25] op_sel:[0,0,1] op_sel_hi:[1,1,0] neg_lo:[1,0,0] neg_hi:[1,0,0]
	v_add_f32_e32 v4, v4, v125
	v_mov_b32_e32 v43, v25
	v_add_f32_e32 v25, v4, v126
	s_waitcnt vmcnt(1)
	v_pk_add_f32 v[4:5], v[38:39], v[88:89]
	v_pk_add_f32 v[4:5], v[4:5], v[52:53]
	v_pk_add_f32 v[4:5], v[4:5], v[84:85]
	v_pk_add_f32 v[4:5], v[4:5], v[94:95]
	v_mov_b32_e32 v9, v41
	v_pk_add_f32 v[4:5], v[4:5], v[8:9]
	v_mov_b32_e32 v8, v10
	v_mov_b32_e32 v9, v23
	;; [unrolled: 1-line block ×3, first 2 shown]
	v_pk_mul_f32 v[8:9], v[8:9], v[74:75]
	v_mov_b32_e32 v10, v11
	v_mov_b32_e32 v11, v22
	v_pk_fma_f32 v[6:7], v[6:7], v[70:71], v[8:9]
	v_pk_fma_f32 v[8:9], v[10:11], v[70:71], v[8:9] neg_lo:[0,0,1] neg_hi:[0,0,1]
	v_mov_b32_e32 v7, v9
	v_pk_add_f32 v[4:5], v[4:5], v[6:7]
	v_mov_b32_e32 v6, v16
	v_mov_b32_e32 v7, v13
	;; [unrolled: 1-line block ×3, first 2 shown]
	v_pk_mul_f32 v[6:7], v[6:7], v[76:77]
	v_mov_b32_e32 v8, v17
	v_mov_b32_e32 v9, v12
	v_pk_fma_f32 v[10:11], v[24:25], v[72:73], v[6:7]
	v_pk_fma_f32 v[6:7], v[8:9], v[72:73], v[6:7] neg_lo:[0,0,1] neg_hi:[0,0,1]
	v_mov_b32_e32 v38, v3
	v_mov_b32_e32 v39, v1
	;; [unrolled: 1-line block ×9, first 2 shown]
	v_pk_mul_f32 v[8:9], v[18:19], v[38:39]
	v_pk_add_f32 v[20:21], v[20:21], v[42:43]
	v_mov_b32_e32 v42, v1
	v_pk_fma_f32 v[0:1], v[0:1], v[44:45], v[8:9]
	v_pk_fma_f32 v[6:7], v[6:7], v[44:45], v[8:9] neg_lo:[0,0,1] neg_hi:[0,0,1]
	v_pk_add_f32 v[4:5], v[4:5], v[10:11]
	v_mov_b32_e32 v1, v7
	v_pk_add_f32 v[0:1], v[4:5], v[0:1]
	v_mov_b32_e32 v43, v3
	buffer_store_dword v1, off, s[0:3], 0 offset:8
	buffer_store_dword v0, off, s[0:3], 0 offset:4
	v_pk_mul_f32 v[0:1], v[14:15], v[44:45]
	v_pk_fma_f32 v[4:5], v[14:15], v[42:43], v[0:1] op_sel:[0,0,1] op_sel_hi:[1,1,0]
	v_pk_fma_f32 v[0:1], v[14:15], v[42:43], v[0:1] op_sel:[0,0,1] op_sel_hi:[1,1,0] neg_lo:[1,0,0] neg_hi:[1,0,0]
	v_mov_b32_e32 v5, v1
	v_mul_f32_e32 v2, v15, v2
	v_fmac_f32_e32 v2, v14, v3
	v_pk_add_f32 v[0:1], v[20:21], v[4:5]
	v_add_f32_e32 v2, v25, v2
	buffer_store_dword v0, off, s[0:3], 0 offset:12
	buffer_store_dword v1, off, s[0:3], 0 offset:16
	;; [unrolled: 1-line block ×3, first 2 shown]
	v_mov_b32_e32 v0, s9
	v_addc_co_u32_e32 v37, vcc, v37, v0, vcc
	v_pk_mov_b32 v[0:1], s[16:17], s[16:17] op_sel:[0,1]
	v_cmp_lt_i64_e32 vcc, s[20:21], v[0:1]
	s_barrier
	s_cbranch_vccz .LBB252_7
.LBB252_3:                              ; =>This Inner Loop Header: Depth=1
	v_mov_b32_e32 v1, s21
	v_add_co_u32_e32 v0, vcc, s20, v30
	v_addc_co_u32_e32 v1, vcc, 0, v1, vcc
	v_cmp_gt_i64_e32 vcc, s[16:17], v[0:1]
	s_and_b64 s[24:25], s[4:5], vcc
	v_mov_b32_e32 v0, 0
	v_mov_b32_e32 v1, 0
	s_and_saveexec_b64 s[22:23], s[24:25]
	s_cbranch_execz .LBB252_5
; %bb.4:                                ;   in Loop: Header=BB252_3 Depth=1
	global_load_dwordx2 v[0:1], v[36:37], off
.LBB252_5:                              ;   in Loop: Header=BB252_3 Depth=1
	s_or_b64 exec, exec, s[22:23]
	s_waitcnt vmcnt(0)
	ds_write_b64 v78, v[0:1]
	v_mov_b32_e32 v1, s21
	v_add_co_u32_e32 v0, vcc, s20, v32
	v_addc_co_u32_e32 v1, vcc, 0, v1, vcc
	v_cmp_gt_i64_e32 vcc, s[16:17], v[0:1]
	s_and_b64 s[24:25], vcc, s[6:7]
	v_mov_b32_e32 v0, 0
	v_mov_b32_e32 v1, 0
	s_and_saveexec_b64 s[22:23], s[24:25]
	s_cbranch_execz .LBB252_2
; %bb.6:                                ;   in Loop: Header=BB252_3 Depth=1
	global_load_dwordx2 v[0:1], v[34:35], off
	s_branch .LBB252_2
.LBB252_7:
	s_lshl_b64 s[4:5], s[30:31], 3
	s_waitcnt lgkmcnt(0)
	s_add_u32 s22, s42, s4
	s_addc_u32 s23, s43, s5
	v_mov_b32_e32 v1, s49
	v_add_co_u32_e32 v0, vcc, s48, v33
	s_or_b32 s4, s34, s35
	v_addc_co_u32_e32 v1, vcc, 0, v1, vcc
	s_bitset0_b32 s4, 31
	s_cmp_lg_u32 s4, 0
	v_cmp_gt_i64_e64 s[4:5], s[14:15], v[0:1]
	s_mov_b64 s[6:7], -1
	s_cbranch_scc1 .LBB252_19
; %bb.8:
	s_and_saveexec_b64 s[16:17], s[4:5]
	s_cbranch_execz .LBB252_18
; %bb.9:
	v_mov_b32_e32 v2, s37
	v_add_co_u32_e32 v4, vcc, s36, v31
	v_addc_co_u32_e32 v5, vcc, 0, v2, vcc
	v_mul_lo_u32 v6, v1, s28
	v_mul_lo_u32 v7, v0, s29
	v_mad_u64_u32 v[2:3], s[6:7], v0, s28, 0
	v_add3_u32 v3, v3, v7, v6
	v_lshlrev_b64 v[2:3], 3, v[2:3]
	v_mov_b32_e32 v7, s23
	v_add_co_u32_e64 v6, s[6:7], s22, v2
	v_cmp_gt_i64_e32 vcc, s[12:13], v[4:5]
	v_addc_co_u32_e64 v7, s[6:7], v7, v3, s[6:7]
	v_lshlrev_b64 v[2:3], 3, v[4:5]
	s_and_saveexec_b64 s[8:9], vcc
	s_cbranch_execz .LBB252_11
; %bb.10:
	v_mul_f32_e32 v8, s19, v29
	v_mul_f32_e32 v9, s18, v29
	v_add_co_u32_e64 v10, s[6:7], v6, v2
	v_fma_f32 v8, v28, s18, -v8
	v_fmac_f32_e32 v9, s19, v28
	v_addc_co_u32_e64 v11, s[6:7], v7, v3, s[6:7]
	global_store_dwordx2 v[10:11], v[8:9], off
.LBB252_11:
	s_or_b64 exec, exec, s[8:9]
	v_add_co_u32_e64 v4, s[6:7], 16, v4
	v_addc_co_u32_e64 v5, s[6:7], 0, v5, s[6:7]
	v_cmp_gt_i64_e64 s[6:7], s[12:13], v[4:5]
	s_and_saveexec_b64 s[20:21], s[6:7]
	s_cbranch_execz .LBB252_13
; %bb.12:
	buffer_load_dword v4, off, s[0:3], 0 offset:4
	buffer_load_dword v8, off, s[0:3], 0
	s_waitcnt vmcnt(1)
	v_mul_f32_e32 v9, s19, v4
	v_mul_f32_e32 v5, s18, v4
	s_waitcnt vmcnt(0)
	v_fma_f32 v4, v8, s18, -v9
	v_fmac_f32_e32 v5, s19, v8
	v_add_co_u32_e64 v8, s[8:9], v6, v2
	v_addc_co_u32_e64 v9, s[8:9], v7, v3, s[8:9]
	global_store_dwordx2 v[8:9], v[4:5], off offset:128
.LBB252_13:
	s_or_b64 exec, exec, s[20:21]
	v_add_co_u32_e64 v4, s[8:9], 16, v0
	v_addc_co_u32_e64 v5, s[8:9], 0, v1, s[8:9]
	v_cmp_gt_i64_e64 s[8:9], s[14:15], v[4:5]
	s_and_b64 exec, exec, s[8:9]
	s_cbranch_execz .LBB252_18
; %bb.14:
	buffer_load_dword v4, off, s[0:3], 0 offset:16
	buffer_load_dword v5, off, s[0:3], 0 offset:20
	s_lshl_b64 s[8:9], s[28:29], 7
	v_mov_b32_e32 v8, s9
	v_add_co_u32_e64 v6, s[8:9], s8, v6
	v_addc_co_u32_e64 v7, s[8:9], v7, v8, s[8:9]
	v_add_co_u32_e64 v2, s[8:9], v6, v2
	v_addc_co_u32_e64 v3, s[8:9], v7, v3, s[8:9]
	s_and_saveexec_b64 s[8:9], vcc
	s_cbranch_execz .LBB252_16
; %bb.15:
	buffer_load_dword v6, off, s[0:3], 0 offset:12
	buffer_load_dword v8, off, s[0:3], 0 offset:8
	s_waitcnt vmcnt(1)
	v_mul_f32_e32 v9, s19, v6
	v_mul_f32_e32 v7, s18, v6
	s_waitcnt vmcnt(0)
	v_fma_f32 v6, v8, s18, -v9
	v_fmac_f32_e32 v7, s19, v8
	global_store_dwordx2 v[2:3], v[6:7], off
.LBB252_16:
	s_or_b64 exec, exec, s[8:9]
	s_and_b64 exec, exec, s[6:7]
	s_cbranch_execz .LBB252_18
; %bb.17:
	s_waitcnt vmcnt(0)
	v_mul_f32_e32 v6, s19, v5
	v_mul_f32_e32 v7, s18, v5
	v_fma_f32 v6, v4, s18, -v6
	v_fmac_f32_e32 v7, s19, v4
	global_store_dwordx2 v[2:3], v[6:7], off offset:128
.LBB252_18:
	s_or_b64 exec, exec, s[16:17]
	s_mov_b64 s[6:7], 0
.LBB252_19:
	s_andn2_b64 vcc, exec, s[6:7]
	s_cbranch_vccnz .LBB252_30
; %bb.20:
	s_and_saveexec_b64 s[6:7], s[4:5]
	s_cbranch_execz .LBB252_30
; %bb.21:
	s_lshl_b64 s[4:5], s[40:41], 3
	s_add_u32 s6, s10, s4
	v_mov_b32_e32 v2, s37
	s_waitcnt vmcnt(1)
	v_add_co_u32_e32 v4, vcc, s36, v31
	s_addc_u32 s7, s11, s5
	s_waitcnt vmcnt(0)
	v_addc_co_u32_e32 v5, vcc, 0, v2, vcc
	v_mul_lo_u32 v6, v1, s38
	v_mul_lo_u32 v7, v0, s39
	v_mad_u64_u32 v[2:3], s[4:5], v0, s38, 0
	v_add3_u32 v3, v3, v7, v6
	v_mul_lo_u32 v6, v1, s28
	v_mul_lo_u32 v7, v0, s29
	v_mad_u64_u32 v[8:9], s[4:5], v0, s28, 0
	v_lshlrev_b64 v[2:3], 3, v[2:3]
	v_add3_u32 v9, v9, v7, v6
	v_mov_b32_e32 v7, s7
	v_add_co_u32_e64 v6, s[4:5], s6, v2
	v_addc_co_u32_e64 v7, s[4:5], v7, v3, s[4:5]
	v_lshlrev_b64 v[2:3], 3, v[8:9]
	v_mov_b32_e32 v9, s23
	v_add_co_u32_e64 v8, s[4:5], s22, v2
	v_cmp_gt_i64_e32 vcc, s[12:13], v[4:5]
	v_addc_co_u32_e64 v9, s[4:5], v9, v3, s[4:5]
	v_lshlrev_b64 v[2:3], 3, v[4:5]
	s_and_saveexec_b64 s[6:7], vcc
	s_cbranch_execz .LBB252_23
; %bb.22:
	v_add_co_u32_e64 v10, s[4:5], v6, v2
	v_addc_co_u32_e64 v11, s[4:5], v7, v3, s[4:5]
	global_load_dwordx2 v[10:11], v[10:11], off
	v_mul_f32_e32 v12, s19, v29
	v_mul_f32_e32 v13, s18, v29
	v_fma_f32 v12, v28, s18, -v12
	v_fmac_f32_e32 v13, s19, v28
	s_waitcnt vmcnt(0)
	v_mul_f32_e32 v14, s35, v11
	v_mul_f32_e32 v11, s34, v11
	v_fma_f32 v14, v10, s34, -v14
	v_fmac_f32_e32 v11, s35, v10
	v_add_f32_e32 v10, v12, v14
	v_add_co_u32_e64 v12, s[4:5], v8, v2
	v_add_f32_e32 v11, v13, v11
	v_addc_co_u32_e64 v13, s[4:5], v9, v3, s[4:5]
	global_store_dwordx2 v[12:13], v[10:11], off
.LBB252_23:
	s_or_b64 exec, exec, s[6:7]
	v_add_co_u32_e64 v4, s[4:5], 16, v4
	v_addc_co_u32_e64 v5, s[4:5], 0, v5, s[4:5]
	v_cmp_gt_i64_e64 s[4:5], s[12:13], v[4:5]
	s_and_saveexec_b64 s[8:9], s[4:5]
	s_cbranch_execz .LBB252_25
; %bb.24:
	v_add_co_u32_e64 v4, s[6:7], v6, v2
	buffer_load_dword v10, off, s[0:3], 0
	buffer_load_dword v11, off, s[0:3], 0 offset:4
	v_addc_co_u32_e64 v5, s[6:7], v7, v3, s[6:7]
	global_load_dwordx2 v[4:5], v[4:5], off offset:128
	s_waitcnt vmcnt(1)
	v_mul_f32_e32 v12, s19, v11
	v_mul_f32_e32 v11, s18, v11
	v_fma_f32 v12, v10, s18, -v12
	v_fmac_f32_e32 v11, s19, v10
	s_waitcnt vmcnt(0)
	v_mul_f32_e32 v10, s35, v5
	v_mul_f32_e32 v5, s34, v5
	v_fma_f32 v10, v4, s34, -v10
	v_fmac_f32_e32 v5, s35, v4
	v_add_f32_e32 v4, v12, v10
	v_add_co_u32_e64 v10, s[6:7], v8, v2
	v_add_f32_e32 v5, v11, v5
	v_addc_co_u32_e64 v11, s[6:7], v9, v3, s[6:7]
	global_store_dwordx2 v[10:11], v[4:5], off offset:128
.LBB252_25:
	s_or_b64 exec, exec, s[8:9]
	v_add_co_u32_e64 v0, s[6:7], 16, v0
	v_addc_co_u32_e64 v1, s[6:7], 0, v1, s[6:7]
	v_cmp_gt_i64_e64 s[6:7], s[14:15], v[0:1]
	s_and_b64 exec, exec, s[6:7]
	s_cbranch_execz .LBB252_30
; %bb.26:
	buffer_load_dword v10, off, s[0:3], 0 offset:16
	buffer_load_dword v11, off, s[0:3], 0 offset:20
	s_lshl_b64 s[6:7], s[38:39], 7
	v_mov_b32_e32 v0, s7
	v_add_co_u32_e64 v1, s[6:7], s6, v6
	v_addc_co_u32_e64 v0, s[6:7], v7, v0, s[6:7]
	s_lshl_b64 s[6:7], s[28:29], 7
	v_mov_b32_e32 v4, s7
	v_add_co_u32_e64 v6, s[6:7], s6, v8
	v_addc_co_u32_e64 v7, s[6:7], v9, v4, s[6:7]
	v_add_co_u32_e64 v4, s[6:7], v1, v2
	v_addc_co_u32_e64 v5, s[6:7], v0, v3, s[6:7]
	;; [unrolled: 2-line block ×3, first 2 shown]
	s_and_saveexec_b64 s[6:7], vcc
	s_cbranch_execz .LBB252_28
; %bb.27:
	buffer_load_dword v6, off, s[0:3], 0 offset:12
	buffer_load_dword v7, off, s[0:3], 0 offset:8
	global_load_dwordx2 v[2:3], v[4:5], off
	s_waitcnt vmcnt(2)
	v_mul_f32_e32 v8, s19, v6
	v_mul_f32_e32 v6, s18, v6
	s_waitcnt vmcnt(0)
	v_mul_f32_e32 v9, s35, v3
	v_mul_f32_e32 v3, s34, v3
	v_fma_f32 v8, v7, s18, -v8
	v_fmac_f32_e32 v6, s19, v7
	v_fma_f32 v7, v2, s34, -v9
	v_fmac_f32_e32 v3, s35, v2
	v_add_f32_e32 v2, v8, v7
	v_add_f32_e32 v3, v6, v3
	global_store_dwordx2 v[0:1], v[2:3], off
.LBB252_28:
	s_or_b64 exec, exec, s[6:7]
	s_and_b64 exec, exec, s[4:5]
	s_cbranch_execz .LBB252_30
; %bb.29:
	global_load_dwordx2 v[2:3], v[4:5], off offset:128
	s_waitcnt vmcnt(1)
	v_mul_f32_e32 v4, s19, v11
	v_mul_f32_e32 v5, s18, v11
	v_fma_f32 v4, v10, s18, -v4
	v_fmac_f32_e32 v5, s19, v10
	s_waitcnt vmcnt(0)
	v_mul_f32_e32 v6, s35, v3
	v_mul_f32_e32 v3, s34, v3
	v_fma_f32 v6, v2, s34, -v6
	v_fmac_f32_e32 v3, s35, v2
	v_add_f32_e32 v2, v4, v6
	v_add_f32_e32 v3, v5, v3
	global_store_dwordx2 v[0:1], v[2:3], off offset:128
.LBB252_30:
	s_endpgm
	.section	.rodata,"a",@progbits
	.p2align	6, 0x0
	.amdhsa_kernel _ZN12_GLOBAL__N_135rocblas_gemm_batched_general_kernelI19rocblas_complex_numIfELi16ELi16ELi32ELi32ELi8ELi32ELi8ELi8ELi32ELc78ELc78EKPKS2_S5_KPS2_EEvlllT_PT11_llSA_llS8_PT12_llPT13_lli
		.amdhsa_group_segment_fixed_size 4096
		.amdhsa_private_segment_fixed_size 32
		.amdhsa_kernarg_size 140
		.amdhsa_user_sgpr_count 8
		.amdhsa_user_sgpr_private_segment_buffer 1
		.amdhsa_user_sgpr_dispatch_ptr 0
		.amdhsa_user_sgpr_queue_ptr 0
		.amdhsa_user_sgpr_kernarg_segment_ptr 1
		.amdhsa_user_sgpr_dispatch_id 0
		.amdhsa_user_sgpr_flat_scratch_init 1
		.amdhsa_user_sgpr_kernarg_preload_length 0
		.amdhsa_user_sgpr_kernarg_preload_offset 0
		.amdhsa_user_sgpr_private_segment_size 0
		.amdhsa_uses_dynamic_stack 0
		.amdhsa_system_sgpr_private_segment_wavefront_offset 1
		.amdhsa_system_sgpr_workgroup_id_x 1
		.amdhsa_system_sgpr_workgroup_id_y 1
		.amdhsa_system_sgpr_workgroup_id_z 1
		.amdhsa_system_sgpr_workgroup_info 0
		.amdhsa_system_vgpr_workitem_id 1
		.amdhsa_next_free_vgpr 127
		.amdhsa_next_free_sgpr 50
		.amdhsa_accum_offset 128
		.amdhsa_reserve_vcc 1
		.amdhsa_reserve_flat_scratch 0
		.amdhsa_float_round_mode_32 0
		.amdhsa_float_round_mode_16_64 0
		.amdhsa_float_denorm_mode_32 3
		.amdhsa_float_denorm_mode_16_64 3
		.amdhsa_dx10_clamp 1
		.amdhsa_ieee_mode 1
		.amdhsa_fp16_overflow 0
		.amdhsa_tg_split 0
		.amdhsa_exception_fp_ieee_invalid_op 0
		.amdhsa_exception_fp_denorm_src 0
		.amdhsa_exception_fp_ieee_div_zero 0
		.amdhsa_exception_fp_ieee_overflow 0
		.amdhsa_exception_fp_ieee_underflow 0
		.amdhsa_exception_fp_ieee_inexact 0
		.amdhsa_exception_int_div_zero 0
	.end_amdhsa_kernel
	.section	.text._ZN12_GLOBAL__N_135rocblas_gemm_batched_general_kernelI19rocblas_complex_numIfELi16ELi16ELi32ELi32ELi8ELi32ELi8ELi8ELi32ELc78ELc78EKPKS2_S5_KPS2_EEvlllT_PT11_llSA_llS8_PT12_llPT13_lli,"axG",@progbits,_ZN12_GLOBAL__N_135rocblas_gemm_batched_general_kernelI19rocblas_complex_numIfELi16ELi16ELi32ELi32ELi8ELi32ELi8ELi8ELi32ELc78ELc78EKPKS2_S5_KPS2_EEvlllT_PT11_llSA_llS8_PT12_llPT13_lli,comdat
.Lfunc_end252:
	.size	_ZN12_GLOBAL__N_135rocblas_gemm_batched_general_kernelI19rocblas_complex_numIfELi16ELi16ELi32ELi32ELi8ELi32ELi8ELi8ELi32ELc78ELc78EKPKS2_S5_KPS2_EEvlllT_PT11_llSA_llS8_PT12_llPT13_lli, .Lfunc_end252-_ZN12_GLOBAL__N_135rocblas_gemm_batched_general_kernelI19rocblas_complex_numIfELi16ELi16ELi32ELi32ELi8ELi32ELi8ELi8ELi32ELc78ELc78EKPKS2_S5_KPS2_EEvlllT_PT11_llSA_llS8_PT12_llPT13_lli
                                        ; -- End function
	.section	.AMDGPU.csdata,"",@progbits
; Kernel info:
; codeLenInByte = 3684
; NumSgprs: 54
; NumVgprs: 127
; NumAgprs: 0
; TotalNumVgprs: 127
; ScratchSize: 32
; MemoryBound: 0
; FloatMode: 240
; IeeeMode: 1
; LDSByteSize: 4096 bytes/workgroup (compile time only)
; SGPRBlocks: 6
; VGPRBlocks: 15
; NumSGPRsForWavesPerEU: 54
; NumVGPRsForWavesPerEU: 127
; AccumOffset: 128
; Occupancy: 4
; WaveLimiterHint : 1
; COMPUTE_PGM_RSRC2:SCRATCH_EN: 1
; COMPUTE_PGM_RSRC2:USER_SGPR: 8
; COMPUTE_PGM_RSRC2:TRAP_HANDLER: 0
; COMPUTE_PGM_RSRC2:TGID_X_EN: 1
; COMPUTE_PGM_RSRC2:TGID_Y_EN: 1
; COMPUTE_PGM_RSRC2:TGID_Z_EN: 1
; COMPUTE_PGM_RSRC2:TIDIG_COMP_CNT: 1
; COMPUTE_PGM_RSRC3_GFX90A:ACCUM_OFFSET: 31
; COMPUTE_PGM_RSRC3_GFX90A:TG_SPLIT: 0
	.section	.text._ZN12_GLOBAL__N_135rocblas_gemm_batched_general_kernelI19rocblas_complex_numIfELi16ELi16ELi32ELi32ELi8ELi32ELi8ELi8ELi32ELc84ELc78EKPKS2_S5_KPS2_EEvlllT_PT11_llSA_llS8_PT12_llPT13_lli,"axG",@progbits,_ZN12_GLOBAL__N_135rocblas_gemm_batched_general_kernelI19rocblas_complex_numIfELi16ELi16ELi32ELi32ELi8ELi32ELi8ELi8ELi32ELc84ELc78EKPKS2_S5_KPS2_EEvlllT_PT11_llSA_llS8_PT12_llPT13_lli,comdat
	.globl	_ZN12_GLOBAL__N_135rocblas_gemm_batched_general_kernelI19rocblas_complex_numIfELi16ELi16ELi32ELi32ELi8ELi32ELi8ELi8ELi32ELc84ELc78EKPKS2_S5_KPS2_EEvlllT_PT11_llSA_llS8_PT12_llPT13_lli ; -- Begin function _ZN12_GLOBAL__N_135rocblas_gemm_batched_general_kernelI19rocblas_complex_numIfELi16ELi16ELi32ELi32ELi8ELi32ELi8ELi8ELi32ELc84ELc78EKPKS2_S5_KPS2_EEvlllT_PT11_llSA_llS8_PT12_llPT13_lli
	.p2align	8
	.type	_ZN12_GLOBAL__N_135rocblas_gemm_batched_general_kernelI19rocblas_complex_numIfELi16ELi16ELi32ELi32ELi8ELi32ELi8ELi8ELi32ELc84ELc78EKPKS2_S5_KPS2_EEvlllT_PT11_llSA_llS8_PT12_llPT13_lli,@function
_ZN12_GLOBAL__N_135rocblas_gemm_batched_general_kernelI19rocblas_complex_numIfELi16ELi16ELi32ELi32ELi8ELi32ELi8ELi8ELi32ELc84ELc78EKPKS2_S5_KPS2_EEvlllT_PT11_llSA_llS8_PT12_llPT13_lli: ; @_ZN12_GLOBAL__N_135rocblas_gemm_batched_general_kernelI19rocblas_complex_numIfELi16ELi16ELi32ELi32ELi8ELi32ELi8ELi8ELi32ELc84ELc78EKPKS2_S5_KPS2_EEvlllT_PT11_llSA_llS8_PT12_llPT13_lli
; %bb.0:
	s_load_dwordx16 s[12:27], s[4:5], 0x0
	s_load_dwordx4 s[28:31], s[4:5], 0x78
	s_load_dwordx8 s[36:43], s[4:5], 0x58
	s_load_dwordx2 s[34:35], s[4:5], 0x50
	s_add_u32 s0, s0, s11
	s_mov_b32 s11, 0
	s_addc_u32 s1, s1, 0
	s_lshl_b64 s[6:7], s[10:11], 3
	s_waitcnt lgkmcnt(0)
	s_add_u32 s10, s36, s6
	s_addc_u32 s11, s37, s7
	s_load_dwordx2 s[36:37], s[10:11], 0x0
	s_add_u32 s10, s42, s6
	s_addc_u32 s11, s43, s7
	s_load_dwordx2 s[44:45], s[10:11], 0x0
	s_mov_b32 s46, s9
	s_ashr_i32 s9, s8, 31
	v_mov_b32_e32 v29, 0
	s_lshl_b64 s[42:43], s[8:9], 5
	s_ashr_i32 s47, s46, 31
	v_cmp_lt_i64_e64 s[8:9], s[16:17], 1
	v_and_b32_e32 v31, 0x3ff, v0
	v_bfe_u32 v33, v0, 10, 10
	s_lshl_b64 s[46:47], s[46:47], 5
	s_and_b64 vcc, exec, s[8:9]
	v_mov_b32_e32 v28, v29
	buffer_store_dword v29, off, s[0:3], 0 offset:4
	buffer_store_dword v29, off, s[0:3], 0
	buffer_store_dword v29, off, s[0:3], 0 offset:12
	buffer_store_dword v29, off, s[0:3], 0 offset:8
	;; [unrolled: 1-line block ×4, first 2 shown]
	s_cbranch_vccnz .LBB253_7
; %bb.1:
	s_load_dwordx4 s[8:11], s[4:5], 0x40
	s_add_u32 s4, s20, s6
	s_addc_u32 s5, s21, s7
	v_lshl_add_u32 v2, v33, 4, v31
	s_load_dwordx2 s[20:21], s[4:5], 0x0
	s_add_u32 s4, s26, s6
	v_and_b32_e32 v5, 31, v2
	s_addc_u32 s5, s27, s7
	v_lshrrev_b32_e32 v30, 5, v2
	v_lshrrev_b32_e32 v4, 3, v2
	v_mov_b32_e32 v3, s43
	v_or_b32_e32 v2, s42, v5
	s_load_dwordx2 s[26:27], s[4:5], 0x0
	v_and_b32_e32 v32, 7, v31
	v_cmp_gt_i64_e64 s[4:5], s[12:13], v[2:3]
	v_lshlrev_b32_e32 v2, 3, v5
	v_lshl_or_b32 v78, v30, 8, v2
	v_lshlrev_b32_e32 v2, 3, v32
	v_mov_b32_e32 v1, s47
	v_add_co_u32_e32 v0, vcc, s46, v4
	v_lshl_or_b32 v3, v4, 6, v2
	v_addc_co_u32_e32 v1, vcc, 0, v1, vcc
	v_add_u32_e32 v79, 0x800, v3
	v_mov_b32_e32 v3, 0x800
	v_cmp_gt_i64_e64 s[6:7], s[14:15], v[0:1]
	v_lshl_add_u32 v81, v33, 6, v3
	s_waitcnt lgkmcnt(0)
	v_mul_lo_u32 v3, s9, v0
	v_mul_lo_u32 v4, s8, v1
	v_mad_u64_u32 v[0:1], s[8:9], s8, v0, 0
	v_add3_u32 v1, v1, v4, v3
	v_lshlrev_b64 v[0:1], 3, v[0:1]
	s_lshl_b64 s[8:9], s[10:11], 3
	v_mov_b32_e32 v3, s9
	v_add_co_u32_e32 v0, vcc, s8, v0
	v_addc_co_u32_e32 v1, vcc, v1, v3, vcc
	v_add_co_u32_e32 v0, vcc, v0, v2
	v_addc_co_u32_e32 v1, vcc, 0, v1, vcc
	v_mov_b32_e32 v2, s27
	v_add_co_u32_e32 v34, vcc, s26, v0
	v_addc_co_u32_e32 v35, vcc, v2, v1, vcc
	v_mov_b32_e32 v0, s43
	v_add_co_u32_e32 v1, vcc, s42, v5
	v_addc_co_u32_e32 v0, vcc, 0, v0, vcc
	v_mul_lo_u32 v2, s23, v1
	v_mul_lo_u32 v3, s22, v0
	v_mad_u64_u32 v[0:1], s[8:9], s22, v1, 0
	v_add3_u32 v1, v1, v3, v2
	v_lshlrev_b64 v[0:1], 3, v[0:1]
	s_lshl_b64 s[8:9], s[24:25], 3
	v_mov_b32_e32 v2, s9
	v_add_co_u32_e32 v0, vcc, s8, v0
	v_addc_co_u32_e32 v1, vcc, v1, v2, vcc
	v_lshlrev_b32_e32 v2, 3, v30
	v_add_co_u32_e32 v0, vcc, v0, v2
	v_addc_co_u32_e32 v1, vcc, 0, v1, vcc
	v_mov_b32_e32 v28, 0
	v_mov_b32_e32 v2, s21
	v_add_co_u32_e32 v36, vcc, s20, v0
	v_lshlrev_b32_e32 v80, 3, v31
	v_addc_co_u32_e32 v37, vcc, v2, v1, vcc
	s_mov_b64 s[8:9], 0
	v_mov_b32_e32 v29, v28
	s_branch .LBB253_3
.LBB253_2:                              ;   in Loop: Header=BB253_3 Depth=1
	s_or_b64 exec, exec, s[10:11]
	s_waitcnt vmcnt(0)
	ds_write_b64 v79, v[0:1]
	s_waitcnt lgkmcnt(0)
	s_barrier
	ds_read2_b64 v[12:15], v80 offset0:32 offset1:48
	ds_read2_b64 v[16:19], v80 offset0:64 offset1:80
	;; [unrolled: 1-line block ×3, first 2 shown]
	ds_read_b128 v[4:7], v81
	ds_read_b128 v[0:3], v81 offset:16
	ds_read_b128 v[82:85], v81 offset:1024
	;; [unrolled: 1-line block ×3, first 2 shown]
	s_waitcnt lgkmcnt(6)
	v_mov_b32_e32 v49, v12
	s_waitcnt lgkmcnt(3)
	v_pk_mul_f32 v[20:21], v[6:7], v[12:13] op_sel:[0,1]
	v_pk_fma_f32 v[40:41], v[6:7], v[12:13], v[20:21] op_sel:[0,0,1] op_sel_hi:[1,0,0] neg_lo:[0,0,1] neg_hi:[0,0,1]
	v_pk_fma_f32 v[42:43], v[6:7], v[12:13], v[20:21] op_sel:[0,0,1] op_sel_hi:[1,0,0]
	v_mul_f32_e32 v12, v6, v14
	v_mov_b32_e32 v53, v13
	v_mov_b32_e32 v54, v13
	v_fma_f32 v120, -v7, v15, v12
	s_waitcnt lgkmcnt(2)
	v_pk_mul_f32 v[12:13], v[0:1], v[16:17] op_sel:[0,1]
	v_pk_fma_f32 v[56:57], v[0:1], v[16:17], v[12:13] op_sel:[0,0,1] op_sel_hi:[1,0,0] neg_lo:[0,0,1] neg_hi:[0,0,1]
	v_pk_fma_f32 v[58:59], v[0:1], v[16:17], v[12:13] op_sel:[0,0,1] op_sel_hi:[1,0,0]
	v_mul_f32_e32 v12, v0, v18
	v_fma_f32 v58, -v1, v19, v12
	v_pk_mul_f32 v[12:13], v[2:3], v[8:9] op_sel:[0,1]
	v_mov_b32_e32 v39, v8
	v_pk_fma_f32 v[64:65], v[2:3], v[8:9], v[12:13] op_sel:[0,0,1] op_sel_hi:[1,0,0] neg_lo:[0,0,1] neg_hi:[0,0,1]
	v_pk_fma_f32 v[66:67], v[2:3], v[8:9], v[12:13] op_sel:[0,0,1] op_sel_hi:[1,0,0]
	v_mul_f32_e32 v8, v2, v10
	s_waitcnt lgkmcnt(0)
	v_mul_f32_e32 v123, v27, v10
	v_mov_b32_e32 v38, v10
	v_mov_b32_e32 v94, v11
	;; [unrolled: 1-line block ×5, first 2 shown]
	ds_read2_b64 v[70:73], v80 offset0:128 offset1:144
	v_fma_f32 v66, -v3, v11, v8
	v_fmac_f32_e32 v123, v26, v11
	ds_read_b128 v[8:11], v81 offset:32
	ds_read_b128 v[20:23], v81 offset:1056
	v_mul_f32_e32 v122, v25, v18
	ds_read2_b64 v[86:89], v80 offset0:160 offset1:176
	v_mov_b32_e32 v44, v18
	v_mov_b32_e32 v45, v16
	v_mov_b32_e32 v50, v19
	v_mov_b32_e32 v51, v17
	v_mov_b32_e32 v46, v17
	v_mov_b32_e32 v47, v19
	v_fmac_f32_e32 v122, v24, v19
	ds_read_b128 v[16:19], v81 offset:48
	ds_read2_b64 v[90:93], v80 offset0:192 offset1:208
	s_waitcnt lgkmcnt(4)
	v_pk_mul_f32 v[12:13], v[8:9], v[70:71] op_sel:[0,1]
	v_mul_f32_e32 v121, v85, v14
	v_pk_fma_f32 v[98:99], v[8:9], v[70:71], v[12:13] op_sel:[0,0,1] op_sel_hi:[1,0,0] neg_lo:[0,0,1] neg_hi:[0,0,1]
	v_pk_fma_f32 v[100:101], v[8:9], v[70:71], v[12:13] op_sel:[0,0,1] op_sel_hi:[1,0,0]
	v_mul_f32_e32 v12, v8, v72
	v_mov_b32_e32 v48, v14
	v_mov_b32_e32 v52, v15
	;; [unrolled: 1-line block ×3, first 2 shown]
	v_fmac_f32_e32 v121, v84, v15
	v_fma_f32 v100, -v9, v73, v12
	ds_read_b128 v[12:15], v81 offset:1072
	s_waitcnt lgkmcnt(4)
	v_mul_f32_e32 v124, v21, v72
	v_mov_b32_e32 v60, v72
	v_mov_b32_e32 v68, v73
	;; [unrolled: 1-line block ×3, first 2 shown]
	v_fmac_f32_e32 v124, v20, v73
	s_waitcnt lgkmcnt(3)
	v_pk_mul_f32 v[72:73], v[10:11], v[86:87] op_sel:[0,1]
	v_mov_b32_e32 v69, v71
	v_mov_b32_e32 v62, v71
	;; [unrolled: 1-line block ×5, first 2 shown]
	v_pk_fma_f32 v[104:105], v[10:11], v[86:87], v[72:73] op_sel:[0,0,1] op_sel_hi:[1,0,0] neg_lo:[0,0,1] neg_hi:[0,0,1]
	v_pk_fma_f32 v[106:107], v[10:11], v[86:87], v[72:73] op_sel:[0,0,1] op_sel_hi:[1,0,0]
	v_mul_f32_e32 v41, v10, v88
	v_mul_f32_e32 v125, v23, v88
	s_waitcnt lgkmcnt(1)
	v_pk_mul_f32 v[86:87], v[16:17], v[90:91] op_sel:[0,1]
	v_mov_b32_e32 v61, v70
	v_mov_b32_e32 v70, v88
	;; [unrolled: 1-line block ×4, first 2 shown]
	v_fma_f32 v106, -v11, v89, v41
	v_fmac_f32_e32 v125, v22, v89
	v_mov_b32_e32 v73, v90
	v_mov_b32_e32 v77, v91
	;; [unrolled: 1-line block ×3, first 2 shown]
	v_pk_fma_f32 v[110:111], v[16:17], v[90:91], v[86:87] op_sel:[0,0,1] op_sel_hi:[1,0,0] neg_lo:[0,0,1] neg_hi:[0,0,1]
	v_pk_fma_f32 v[90:91], v[16:17], v[90:91], v[86:87] op_sel:[0,0,1] op_sel_hi:[1,0,0]
	ds_read2_b64 v[86:89], v80 offset1:16
	v_mul_f32_e32 v41, v16, v92
	s_waitcnt lgkmcnt(1)
	v_mul_f32_e32 v126, v13, v92
	v_mov_b32_e32 v72, v92
	v_mov_b32_e32 v76, v93
	;; [unrolled: 1-line block ×3, first 2 shown]
	v_fma_f32 v90, -v17, v93, v41
	v_fmac_f32_e32 v126, v12, v93
	s_waitcnt lgkmcnt(0)
	v_mov_b32_e32 v92, v89
	v_mov_b32_e32 v93, v87
	;; [unrolled: 1-line block ×4, first 2 shown]
	v_pk_mul_f32 v[116:117], v[4:5], v[86:87] op_sel:[0,1]
	v_pk_mul_f32 v[92:93], v[112:113], v[92:93]
	v_mov_b32_e32 v113, v86
	v_mov_b32_e32 v114, v87
	v_pk_fma_f32 v[118:119], v[4:5], v[86:87], v[116:117] op_sel:[0,0,1] op_sel_hi:[1,0,0] neg_lo:[0,0,1] neg_hi:[0,0,1]
	v_pk_fma_f32 v[86:87], v[4:5], v[86:87], v[116:117] op_sel:[0,0,1] op_sel_hi:[1,0,0]
	v_mul_f32_e32 v4, v4, v88
	v_fma_f32 v86, -v5, v89, v4
	v_mul_f32_e32 v116, v83, v88
	v_mov_b32_e32 v4, v5
	v_mov_b32_e32 v112, v88
	v_mov_b32_e32 v115, v89
	v_fmac_f32_e32 v116, v82, v89
	v_pk_fma_f32 v[88:89], v[4:5], v[88:89], v[92:93]
	v_mov_b32_e32 v5, v82
	v_pk_fma_f32 v[4:5], v[4:5], v[112:113], v[92:93] neg_lo:[0,0,1] neg_hi:[0,0,1]
	v_pk_mul_f32 v[92:93], v[82:83], v[112:113]
	v_pk_fma_f32 v[112:113], v[82:83], v[114:115], v[92:93] op_sel:[0,0,1] op_sel_hi:[1,1,0]
	v_pk_fma_f32 v[82:83], v[82:83], v[114:115], v[92:93] op_sel:[0,0,1] op_sel_hi:[1,1,0] neg_lo:[1,0,0] neg_hi:[1,0,0]
	v_pk_mul_f32 v[92:93], v[84:85], v[48:49]
	v_pk_fma_f32 v[114:115], v[84:85], v[54:55], v[92:93] op_sel:[0,0,1] op_sel_hi:[1,1,0]
	v_pk_fma_f32 v[54:55], v[84:85], v[54:55], v[92:93] op_sel:[0,0,1] op_sel_hi:[1,1,0] neg_lo:[1,0,0] neg_hi:[1,0,0]
	v_mov_b32_e32 v93, v84
	v_mov_b32_e32 v84, v6
	;; [unrolled: 1-line block ×4, first 2 shown]
	v_pk_mul_f32 v[6:7], v[84:85], v[52:53]
	v_pk_fma_f32 v[52:53], v[4:5], v[48:49], v[6:7]
	v_pk_fma_f32 v[6:7], v[92:93], v[48:49], v[6:7] neg_lo:[0,0,1] neg_hi:[0,0,1]
	buffer_load_dword v92, off, s[0:3], 0 offset:12
	buffer_load_dword v93, off, s[0:3], 0 offset:16
	buffer_load_dword v6, off, s[0:3], 0
	v_mov_b32_e32 v48, v0
	v_mov_b32_e32 v49, v25
	v_pk_mul_f32 v[48:49], v[48:49], v[50:51]
	v_mov_b32_e32 v0, v1
	v_mov_b32_e32 v50, v1
	;; [unrolled: 1-line block ×3, first 2 shown]
	v_pk_fma_f32 v[84:85], v[0:1], v[44:45], v[48:49]
	v_pk_mul_f32 v[0:1], v[24:25], v[44:45]
	v_pk_fma_f32 v[48:49], v[50:51], v[44:45], v[48:49] neg_lo:[0,0,1] neg_hi:[0,0,1]
	v_pk_fma_f32 v[44:45], v[24:25], v[46:47], v[0:1] op_sel:[0,0,1] op_sel_hi:[1,1,0]
	v_pk_fma_f32 v[24:25], v[24:25], v[46:47], v[0:1] op_sel:[0,0,1] op_sel_hi:[1,1,0] neg_lo:[1,0,0] neg_hi:[1,0,0]
	v_pk_mul_f32 v[0:1], v[26:27], v[38:39]
	v_pk_fma_f32 v[46:47], v[26:27], v[96:97], v[0:1] op_sel:[0,0,1] op_sel_hi:[1,1,0]
	v_pk_fma_f32 v[50:51], v[26:27], v[96:97], v[0:1] op_sel:[0,0,1] op_sel_hi:[1,1,0] neg_lo:[1,0,0] neg_hi:[1,0,0]
	v_mov_b32_e32 v1, v27
	v_mov_b32_e32 v0, v2
	;; [unrolled: 1-line block ×4, first 2 shown]
	v_pk_mul_f32 v[0:1], v[0:1], v[94:95]
	v_mov_b32_e32 v2, v3
	v_pk_fma_f32 v[26:27], v[26:27], v[38:39], v[0:1] neg_lo:[0,0,1] neg_hi:[0,0,1]
	v_pk_fma_f32 v[94:95], v[2:3], v[38:39], v[0:1]
	buffer_load_dword v26, off, s[0:3], 0 offset:20
	buffer_load_dword v38, off, s[0:3], 0 offset:4
	buffer_load_dword v39, off, s[0:3], 0 offset:8
	v_mov_b32_e32 v119, v87
	v_pk_add_f32 v[0:1], v[28:29], v[118:119]
	v_mov_b32_e32 v41, v43
	v_pk_add_f32 v[0:1], v[0:1], v[40:41]
	;; [unrolled: 2-line block ×5, first 2 shown]
	ds_read2_b64 v[0:3], v80 offset0:224 offset1:240
	v_mov_b32_e32 v113, v83
	v_mov_b32_e32 v115, v55
	;; [unrolled: 1-line block ×4, first 2 shown]
	s_waitcnt lgkmcnt(0)
	v_pk_mul_f32 v[40:41], v[18:19], v[0:1] op_sel:[0,1]
	v_pk_fma_f32 v[42:43], v[18:19], v[0:1], v[40:41] op_sel:[0,0,1] op_sel_hi:[1,0,0] neg_lo:[0,0,1] neg_hi:[0,0,1]
	v_pk_fma_f32 v[40:41], v[18:19], v[0:1], v[40:41] op_sel:[0,0,1] op_sel_hi:[1,0,0]
	v_mov_b32_e32 v43, v41
	v_pk_add_f32 v[28:29], v[28:29], v[104:105]
	v_mov_b32_e32 v111, v91
	v_pk_add_f32 v[28:29], v[28:29], v[110:111]
	;; [unrolled: 2-line block ×3, first 2 shown]
	v_mov_b32_e32 v42, v9
	v_mov_b32_e32 v89, v5
	;; [unrolled: 1-line block ×7, first 2 shown]
	v_add_co_u32_e32 v34, vcc, 64, v34
	v_addc_co_u32_e32 v35, vcc, 0, v35, vcc
	s_add_u32 s8, s8, 8
	v_add_co_u32_e32 v36, vcc, 64, v36
	s_addc_u32 s9, s9, 0
	v_addc_co_u32_e32 v37, vcc, 0, v37, vcc
	s_waitcnt vmcnt(4)
	v_pk_add_f32 v[40:41], v[92:93], v[112:113]
	v_pk_add_f32 v[40:41], v[40:41], v[114:115]
	;; [unrolled: 1-line block ×3, first 2 shown]
	v_mov_b32_e32 v40, v8
	v_mov_b32_e32 v41, v21
	v_pk_mul_f32 v[40:41], v[40:41], v[68:69]
	v_pk_fma_f32 v[8:9], v[4:5], v[60:61], v[40:41]
	s_waitcnt vmcnt(3)
	v_add_f32_e32 v4, v6, v86
	v_add_f32_e32 v4, v4, v120
	;; [unrolled: 1-line block ×6, first 2 shown]
	v_mul_f32_e32 v5, v18, v2
	v_add_f32_e32 v4, v4, v90
	v_fma_f32 v5, -v19, v3, v5
	v_pk_fma_f32 v[40:41], v[42:43], v[60:61], v[40:41] neg_lo:[0,0,1] neg_hi:[0,0,1]
	v_pk_mul_f32 v[42:43], v[20:21], v[60:61]
	v_add_f32_e32 v4, v4, v5
	v_pk_fma_f32 v[44:45], v[20:21], v[62:63], v[42:43] op_sel:[0,0,1] op_sel_hi:[1,1,0]
	v_pk_fma_f32 v[20:21], v[20:21], v[62:63], v[42:43] op_sel:[0,0,1] op_sel_hi:[1,1,0] neg_lo:[1,0,0] neg_hi:[1,0,0]
	buffer_store_dword v4, off, s[0:3], 0
	s_waitcnt vmcnt(3)
	v_add_f32_e32 v4, v26, v116
	v_pk_add_f32 v[24:25], v[24:25], v[46:47]
	v_mov_b32_e32 v45, v21
	v_add_f32_e32 v4, v4, v121
	v_pk_add_f32 v[20:21], v[24:25], v[44:45]
	v_pk_mul_f32 v[24:25], v[22:23], v[70:71]
	v_add_f32_e32 v4, v4, v122
	v_pk_fma_f32 v[42:43], v[22:23], v[102:103], v[24:25] op_sel:[0,0,1] op_sel_hi:[1,1,0]
	v_pk_fma_f32 v[24:25], v[22:23], v[102:103], v[24:25] op_sel:[0,0,1] op_sel_hi:[1,1,0] neg_lo:[1,0,0] neg_hi:[1,0,0]
	v_add_f32_e32 v4, v4, v123
	v_mov_b32_e32 v43, v25
	v_pk_mul_f32 v[24:25], v[12:13], v[72:73]
	v_add_f32_e32 v4, v4, v124
	v_pk_add_f32 v[20:21], v[20:21], v[42:43]
	v_pk_fma_f32 v[42:43], v[12:13], v[108:109], v[24:25] op_sel:[0,0,1] op_sel_hi:[1,1,0]
	v_pk_fma_f32 v[24:25], v[12:13], v[108:109], v[24:25] op_sel:[0,0,1] op_sel_hi:[1,1,0] neg_lo:[1,0,0] neg_hi:[1,0,0]
	v_add_f32_e32 v4, v4, v125
	v_mov_b32_e32 v43, v25
	v_add_f32_e32 v25, v4, v126
	s_waitcnt vmcnt(1)
	v_pk_add_f32 v[4:5], v[38:39], v[88:89]
	v_pk_add_f32 v[4:5], v[4:5], v[52:53]
	;; [unrolled: 1-line block ×4, first 2 shown]
	v_mov_b32_e32 v9, v41
	v_pk_add_f32 v[4:5], v[4:5], v[8:9]
	v_mov_b32_e32 v8, v10
	v_mov_b32_e32 v9, v23
	;; [unrolled: 1-line block ×3, first 2 shown]
	v_pk_mul_f32 v[8:9], v[8:9], v[74:75]
	v_mov_b32_e32 v10, v11
	v_mov_b32_e32 v11, v22
	v_pk_fma_f32 v[6:7], v[6:7], v[70:71], v[8:9]
	v_pk_fma_f32 v[8:9], v[10:11], v[70:71], v[8:9] neg_lo:[0,0,1] neg_hi:[0,0,1]
	v_mov_b32_e32 v7, v9
	v_pk_add_f32 v[4:5], v[4:5], v[6:7]
	v_mov_b32_e32 v6, v16
	v_mov_b32_e32 v7, v13
	;; [unrolled: 1-line block ×3, first 2 shown]
	v_pk_mul_f32 v[6:7], v[6:7], v[76:77]
	v_mov_b32_e32 v8, v17
	v_mov_b32_e32 v9, v12
	v_pk_fma_f32 v[10:11], v[24:25], v[72:73], v[6:7]
	v_pk_fma_f32 v[6:7], v[8:9], v[72:73], v[6:7] neg_lo:[0,0,1] neg_hi:[0,0,1]
	v_mov_b32_e32 v38, v3
	v_mov_b32_e32 v39, v1
	;; [unrolled: 1-line block ×9, first 2 shown]
	v_pk_mul_f32 v[8:9], v[18:19], v[38:39]
	v_pk_add_f32 v[20:21], v[20:21], v[42:43]
	v_mov_b32_e32 v42, v1
	v_pk_fma_f32 v[0:1], v[0:1], v[44:45], v[8:9]
	v_pk_fma_f32 v[6:7], v[6:7], v[44:45], v[8:9] neg_lo:[0,0,1] neg_hi:[0,0,1]
	v_pk_add_f32 v[4:5], v[4:5], v[10:11]
	v_mov_b32_e32 v1, v7
	v_pk_add_f32 v[0:1], v[4:5], v[0:1]
	v_mov_b32_e32 v43, v3
	buffer_store_dword v1, off, s[0:3], 0 offset:8
	buffer_store_dword v0, off, s[0:3], 0 offset:4
	v_pk_mul_f32 v[0:1], v[14:15], v[44:45]
	v_pk_fma_f32 v[4:5], v[14:15], v[42:43], v[0:1] op_sel:[0,0,1] op_sel_hi:[1,1,0]
	v_pk_fma_f32 v[0:1], v[14:15], v[42:43], v[0:1] op_sel:[0,0,1] op_sel_hi:[1,1,0] neg_lo:[1,0,0] neg_hi:[1,0,0]
	v_mov_b32_e32 v5, v1
	v_mul_f32_e32 v2, v15, v2
	v_fmac_f32_e32 v2, v14, v3
	v_pk_add_f32 v[0:1], v[20:21], v[4:5]
	v_add_f32_e32 v2, v25, v2
	buffer_store_dword v0, off, s[0:3], 0 offset:12
	buffer_store_dword v1, off, s[0:3], 0 offset:16
	buffer_store_dword v2, off, s[0:3], 0 offset:20
	v_pk_mov_b32 v[0:1], s[16:17], s[16:17] op_sel:[0,1]
	v_cmp_lt_i64_e32 vcc, s[8:9], v[0:1]
	s_barrier
	s_cbranch_vccz .LBB253_7
.LBB253_3:                              ; =>This Inner Loop Header: Depth=1
	v_mov_b32_e32 v1, s9
	v_add_co_u32_e32 v0, vcc, s8, v30
	v_addc_co_u32_e32 v1, vcc, 0, v1, vcc
	v_cmp_gt_i64_e32 vcc, s[16:17], v[0:1]
	s_and_b64 s[20:21], s[4:5], vcc
	v_mov_b32_e32 v0, 0
	v_mov_b32_e32 v1, 0
	s_and_saveexec_b64 s[10:11], s[20:21]
	s_cbranch_execz .LBB253_5
; %bb.4:                                ;   in Loop: Header=BB253_3 Depth=1
	global_load_dwordx2 v[0:1], v[36:37], off
.LBB253_5:                              ;   in Loop: Header=BB253_3 Depth=1
	s_or_b64 exec, exec, s[10:11]
	s_waitcnt vmcnt(0)
	ds_write_b64 v78, v[0:1]
	v_mov_b32_e32 v1, s9
	v_add_co_u32_e32 v0, vcc, s8, v32
	v_addc_co_u32_e32 v1, vcc, 0, v1, vcc
	v_cmp_gt_i64_e32 vcc, s[16:17], v[0:1]
	s_and_b64 s[20:21], vcc, s[6:7]
	v_mov_b32_e32 v0, 0
	v_mov_b32_e32 v1, 0
	s_and_saveexec_b64 s[10:11], s[20:21]
	s_cbranch_execz .LBB253_2
; %bb.6:                                ;   in Loop: Header=BB253_3 Depth=1
	global_load_dwordx2 v[0:1], v[34:35], off
	s_branch .LBB253_2
.LBB253_7:
	s_lshl_b64 s[4:5], s[30:31], 3
	s_waitcnt lgkmcnt(0)
	s_add_u32 s20, s44, s4
	s_addc_u32 s21, s45, s5
	v_mov_b32_e32 v1, s47
	v_add_co_u32_e32 v0, vcc, s46, v33
	s_or_b32 s4, s34, s35
	v_addc_co_u32_e32 v1, vcc, 0, v1, vcc
	s_bitset0_b32 s4, 31
	s_cmp_lg_u32 s4, 0
	v_cmp_gt_i64_e64 s[4:5], s[14:15], v[0:1]
	s_mov_b64 s[6:7], -1
	s_cbranch_scc1 .LBB253_19
; %bb.8:
	s_and_saveexec_b64 s[10:11], s[4:5]
	s_cbranch_execz .LBB253_18
; %bb.9:
	v_mov_b32_e32 v2, s43
	v_add_co_u32_e32 v4, vcc, s42, v31
	v_addc_co_u32_e32 v5, vcc, 0, v2, vcc
	v_mul_lo_u32 v6, v1, s28
	v_mul_lo_u32 v7, v0, s29
	v_mad_u64_u32 v[2:3], s[6:7], v0, s28, 0
	v_add3_u32 v3, v3, v7, v6
	v_lshlrev_b64 v[2:3], 3, v[2:3]
	v_mov_b32_e32 v7, s21
	v_add_co_u32_e64 v6, s[6:7], s20, v2
	v_cmp_gt_i64_e32 vcc, s[12:13], v[4:5]
	v_addc_co_u32_e64 v7, s[6:7], v7, v3, s[6:7]
	v_lshlrev_b64 v[2:3], 3, v[4:5]
	s_and_saveexec_b64 s[8:9], vcc
	s_cbranch_execz .LBB253_11
; %bb.10:
	v_mul_f32_e32 v8, s19, v29
	v_mul_f32_e32 v9, s18, v29
	v_add_co_u32_e64 v10, s[6:7], v6, v2
	v_fma_f32 v8, v28, s18, -v8
	v_fmac_f32_e32 v9, s19, v28
	v_addc_co_u32_e64 v11, s[6:7], v7, v3, s[6:7]
	global_store_dwordx2 v[10:11], v[8:9], off
.LBB253_11:
	s_or_b64 exec, exec, s[8:9]
	v_add_co_u32_e64 v4, s[6:7], 16, v4
	v_addc_co_u32_e64 v5, s[6:7], 0, v5, s[6:7]
	v_cmp_gt_i64_e64 s[6:7], s[12:13], v[4:5]
	s_and_saveexec_b64 s[16:17], s[6:7]
	s_cbranch_execz .LBB253_13
; %bb.12:
	buffer_load_dword v4, off, s[0:3], 0 offset:4
	buffer_load_dword v8, off, s[0:3], 0
	s_waitcnt vmcnt(1)
	v_mul_f32_e32 v9, s19, v4
	v_mul_f32_e32 v5, s18, v4
	s_waitcnt vmcnt(0)
	v_fma_f32 v4, v8, s18, -v9
	v_fmac_f32_e32 v5, s19, v8
	v_add_co_u32_e64 v8, s[8:9], v6, v2
	v_addc_co_u32_e64 v9, s[8:9], v7, v3, s[8:9]
	global_store_dwordx2 v[8:9], v[4:5], off offset:128
.LBB253_13:
	s_or_b64 exec, exec, s[16:17]
	v_add_co_u32_e64 v4, s[8:9], 16, v0
	v_addc_co_u32_e64 v5, s[8:9], 0, v1, s[8:9]
	v_cmp_gt_i64_e64 s[8:9], s[14:15], v[4:5]
	s_and_b64 exec, exec, s[8:9]
	s_cbranch_execz .LBB253_18
; %bb.14:
	buffer_load_dword v4, off, s[0:3], 0 offset:16
	buffer_load_dword v5, off, s[0:3], 0 offset:20
	s_lshl_b64 s[8:9], s[28:29], 7
	v_mov_b32_e32 v8, s9
	v_add_co_u32_e64 v6, s[8:9], s8, v6
	v_addc_co_u32_e64 v7, s[8:9], v7, v8, s[8:9]
	v_add_co_u32_e64 v2, s[8:9], v6, v2
	v_addc_co_u32_e64 v3, s[8:9], v7, v3, s[8:9]
	s_and_saveexec_b64 s[8:9], vcc
	s_cbranch_execz .LBB253_16
; %bb.15:
	buffer_load_dword v6, off, s[0:3], 0 offset:12
	buffer_load_dword v8, off, s[0:3], 0 offset:8
	s_waitcnt vmcnt(1)
	v_mul_f32_e32 v9, s19, v6
	v_mul_f32_e32 v7, s18, v6
	s_waitcnt vmcnt(0)
	v_fma_f32 v6, v8, s18, -v9
	v_fmac_f32_e32 v7, s19, v8
	global_store_dwordx2 v[2:3], v[6:7], off
.LBB253_16:
	s_or_b64 exec, exec, s[8:9]
	s_and_b64 exec, exec, s[6:7]
	s_cbranch_execz .LBB253_18
; %bb.17:
	s_waitcnt vmcnt(0)
	v_mul_f32_e32 v6, s19, v5
	v_mul_f32_e32 v7, s18, v5
	v_fma_f32 v6, v4, s18, -v6
	v_fmac_f32_e32 v7, s19, v4
	global_store_dwordx2 v[2:3], v[6:7], off offset:128
.LBB253_18:
	s_or_b64 exec, exec, s[10:11]
	s_mov_b64 s[6:7], 0
.LBB253_19:
	s_andn2_b64 vcc, exec, s[6:7]
	s_cbranch_vccnz .LBB253_30
; %bb.20:
	s_and_saveexec_b64 s[6:7], s[4:5]
	s_cbranch_execz .LBB253_30
; %bb.21:
	s_lshl_b64 s[4:5], s[40:41], 3
	s_add_u32 s6, s36, s4
	v_mov_b32_e32 v2, s43
	s_waitcnt vmcnt(1)
	v_add_co_u32_e32 v4, vcc, s42, v31
	s_addc_u32 s7, s37, s5
	s_waitcnt vmcnt(0)
	v_addc_co_u32_e32 v5, vcc, 0, v2, vcc
	v_mul_lo_u32 v6, v1, s38
	v_mul_lo_u32 v7, v0, s39
	v_mad_u64_u32 v[2:3], s[4:5], v0, s38, 0
	v_add3_u32 v3, v3, v7, v6
	v_mul_lo_u32 v6, v1, s28
	v_mul_lo_u32 v7, v0, s29
	v_mad_u64_u32 v[8:9], s[4:5], v0, s28, 0
	v_lshlrev_b64 v[2:3], 3, v[2:3]
	v_add3_u32 v9, v9, v7, v6
	v_mov_b32_e32 v7, s7
	v_add_co_u32_e64 v6, s[4:5], s6, v2
	v_addc_co_u32_e64 v7, s[4:5], v7, v3, s[4:5]
	v_lshlrev_b64 v[2:3], 3, v[8:9]
	v_mov_b32_e32 v9, s21
	v_add_co_u32_e64 v8, s[4:5], s20, v2
	v_cmp_gt_i64_e32 vcc, s[12:13], v[4:5]
	v_addc_co_u32_e64 v9, s[4:5], v9, v3, s[4:5]
	v_lshlrev_b64 v[2:3], 3, v[4:5]
	s_and_saveexec_b64 s[6:7], vcc
	s_cbranch_execz .LBB253_23
; %bb.22:
	v_add_co_u32_e64 v10, s[4:5], v6, v2
	v_addc_co_u32_e64 v11, s[4:5], v7, v3, s[4:5]
	global_load_dwordx2 v[10:11], v[10:11], off
	v_mul_f32_e32 v12, s19, v29
	v_mul_f32_e32 v13, s18, v29
	v_fma_f32 v12, v28, s18, -v12
	v_fmac_f32_e32 v13, s19, v28
	s_waitcnt vmcnt(0)
	v_mul_f32_e32 v14, s35, v11
	v_mul_f32_e32 v11, s34, v11
	v_fma_f32 v14, v10, s34, -v14
	v_fmac_f32_e32 v11, s35, v10
	v_add_f32_e32 v10, v12, v14
	v_add_co_u32_e64 v12, s[4:5], v8, v2
	v_add_f32_e32 v11, v13, v11
	v_addc_co_u32_e64 v13, s[4:5], v9, v3, s[4:5]
	global_store_dwordx2 v[12:13], v[10:11], off
.LBB253_23:
	s_or_b64 exec, exec, s[6:7]
	v_add_co_u32_e64 v4, s[4:5], 16, v4
	v_addc_co_u32_e64 v5, s[4:5], 0, v5, s[4:5]
	v_cmp_gt_i64_e64 s[4:5], s[12:13], v[4:5]
	s_and_saveexec_b64 s[8:9], s[4:5]
	s_cbranch_execz .LBB253_25
; %bb.24:
	v_add_co_u32_e64 v4, s[6:7], v6, v2
	buffer_load_dword v10, off, s[0:3], 0
	buffer_load_dword v11, off, s[0:3], 0 offset:4
	v_addc_co_u32_e64 v5, s[6:7], v7, v3, s[6:7]
	global_load_dwordx2 v[4:5], v[4:5], off offset:128
	s_waitcnt vmcnt(1)
	v_mul_f32_e32 v12, s19, v11
	v_mul_f32_e32 v11, s18, v11
	v_fma_f32 v12, v10, s18, -v12
	v_fmac_f32_e32 v11, s19, v10
	s_waitcnt vmcnt(0)
	v_mul_f32_e32 v10, s35, v5
	v_mul_f32_e32 v5, s34, v5
	v_fma_f32 v10, v4, s34, -v10
	v_fmac_f32_e32 v5, s35, v4
	v_add_f32_e32 v4, v12, v10
	v_add_co_u32_e64 v10, s[6:7], v8, v2
	v_add_f32_e32 v5, v11, v5
	v_addc_co_u32_e64 v11, s[6:7], v9, v3, s[6:7]
	global_store_dwordx2 v[10:11], v[4:5], off offset:128
.LBB253_25:
	s_or_b64 exec, exec, s[8:9]
	v_add_co_u32_e64 v0, s[6:7], 16, v0
	v_addc_co_u32_e64 v1, s[6:7], 0, v1, s[6:7]
	v_cmp_gt_i64_e64 s[6:7], s[14:15], v[0:1]
	s_and_b64 exec, exec, s[6:7]
	s_cbranch_execz .LBB253_30
; %bb.26:
	buffer_load_dword v10, off, s[0:3], 0 offset:16
	buffer_load_dword v11, off, s[0:3], 0 offset:20
	s_lshl_b64 s[6:7], s[38:39], 7
	v_mov_b32_e32 v0, s7
	v_add_co_u32_e64 v1, s[6:7], s6, v6
	v_addc_co_u32_e64 v0, s[6:7], v7, v0, s[6:7]
	s_lshl_b64 s[6:7], s[28:29], 7
	v_mov_b32_e32 v4, s7
	v_add_co_u32_e64 v6, s[6:7], s6, v8
	v_addc_co_u32_e64 v7, s[6:7], v9, v4, s[6:7]
	v_add_co_u32_e64 v4, s[6:7], v1, v2
	v_addc_co_u32_e64 v5, s[6:7], v0, v3, s[6:7]
	;; [unrolled: 2-line block ×3, first 2 shown]
	s_and_saveexec_b64 s[6:7], vcc
	s_cbranch_execz .LBB253_28
; %bb.27:
	buffer_load_dword v6, off, s[0:3], 0 offset:12
	buffer_load_dword v7, off, s[0:3], 0 offset:8
	global_load_dwordx2 v[2:3], v[4:5], off
	s_waitcnt vmcnt(2)
	v_mul_f32_e32 v8, s19, v6
	v_mul_f32_e32 v6, s18, v6
	s_waitcnt vmcnt(0)
	v_mul_f32_e32 v9, s35, v3
	v_mul_f32_e32 v3, s34, v3
	v_fma_f32 v8, v7, s18, -v8
	v_fmac_f32_e32 v6, s19, v7
	v_fma_f32 v7, v2, s34, -v9
	v_fmac_f32_e32 v3, s35, v2
	v_add_f32_e32 v2, v8, v7
	v_add_f32_e32 v3, v6, v3
	global_store_dwordx2 v[0:1], v[2:3], off
.LBB253_28:
	s_or_b64 exec, exec, s[6:7]
	s_and_b64 exec, exec, s[4:5]
	s_cbranch_execz .LBB253_30
; %bb.29:
	global_load_dwordx2 v[2:3], v[4:5], off offset:128
	s_waitcnt vmcnt(1)
	v_mul_f32_e32 v4, s19, v11
	v_mul_f32_e32 v5, s18, v11
	v_fma_f32 v4, v10, s18, -v4
	v_fmac_f32_e32 v5, s19, v10
	s_waitcnt vmcnt(0)
	v_mul_f32_e32 v6, s35, v3
	v_mul_f32_e32 v3, s34, v3
	v_fma_f32 v6, v2, s34, -v6
	v_fmac_f32_e32 v3, s35, v2
	v_add_f32_e32 v2, v4, v6
	v_add_f32_e32 v3, v5, v3
	global_store_dwordx2 v[0:1], v[2:3], off offset:128
.LBB253_30:
	s_endpgm
	.section	.rodata,"a",@progbits
	.p2align	6, 0x0
	.amdhsa_kernel _ZN12_GLOBAL__N_135rocblas_gemm_batched_general_kernelI19rocblas_complex_numIfELi16ELi16ELi32ELi32ELi8ELi32ELi8ELi8ELi32ELc84ELc78EKPKS2_S5_KPS2_EEvlllT_PT11_llSA_llS8_PT12_llPT13_lli
		.amdhsa_group_segment_fixed_size 4096
		.amdhsa_private_segment_fixed_size 32
		.amdhsa_kernarg_size 140
		.amdhsa_user_sgpr_count 8
		.amdhsa_user_sgpr_private_segment_buffer 1
		.amdhsa_user_sgpr_dispatch_ptr 0
		.amdhsa_user_sgpr_queue_ptr 0
		.amdhsa_user_sgpr_kernarg_segment_ptr 1
		.amdhsa_user_sgpr_dispatch_id 0
		.amdhsa_user_sgpr_flat_scratch_init 1
		.amdhsa_user_sgpr_kernarg_preload_length 0
		.amdhsa_user_sgpr_kernarg_preload_offset 0
		.amdhsa_user_sgpr_private_segment_size 0
		.amdhsa_uses_dynamic_stack 0
		.amdhsa_system_sgpr_private_segment_wavefront_offset 1
		.amdhsa_system_sgpr_workgroup_id_x 1
		.amdhsa_system_sgpr_workgroup_id_y 1
		.amdhsa_system_sgpr_workgroup_id_z 1
		.amdhsa_system_sgpr_workgroup_info 0
		.amdhsa_system_vgpr_workitem_id 1
		.amdhsa_next_free_vgpr 127
		.amdhsa_next_free_sgpr 48
		.amdhsa_accum_offset 128
		.amdhsa_reserve_vcc 1
		.amdhsa_reserve_flat_scratch 0
		.amdhsa_float_round_mode_32 0
		.amdhsa_float_round_mode_16_64 0
		.amdhsa_float_denorm_mode_32 3
		.amdhsa_float_denorm_mode_16_64 3
		.amdhsa_dx10_clamp 1
		.amdhsa_ieee_mode 1
		.amdhsa_fp16_overflow 0
		.amdhsa_tg_split 0
		.amdhsa_exception_fp_ieee_invalid_op 0
		.amdhsa_exception_fp_denorm_src 0
		.amdhsa_exception_fp_ieee_div_zero 0
		.amdhsa_exception_fp_ieee_overflow 0
		.amdhsa_exception_fp_ieee_underflow 0
		.amdhsa_exception_fp_ieee_inexact 0
		.amdhsa_exception_int_div_zero 0
	.end_amdhsa_kernel
	.section	.text._ZN12_GLOBAL__N_135rocblas_gemm_batched_general_kernelI19rocblas_complex_numIfELi16ELi16ELi32ELi32ELi8ELi32ELi8ELi8ELi32ELc84ELc78EKPKS2_S5_KPS2_EEvlllT_PT11_llSA_llS8_PT12_llPT13_lli,"axG",@progbits,_ZN12_GLOBAL__N_135rocblas_gemm_batched_general_kernelI19rocblas_complex_numIfELi16ELi16ELi32ELi32ELi8ELi32ELi8ELi8ELi32ELc84ELc78EKPKS2_S5_KPS2_EEvlllT_PT11_llSA_llS8_PT12_llPT13_lli,comdat
.Lfunc_end253:
	.size	_ZN12_GLOBAL__N_135rocblas_gemm_batched_general_kernelI19rocblas_complex_numIfELi16ELi16ELi32ELi32ELi8ELi32ELi8ELi8ELi32ELc84ELc78EKPKS2_S5_KPS2_EEvlllT_PT11_llSA_llS8_PT12_llPT13_lli, .Lfunc_end253-_ZN12_GLOBAL__N_135rocblas_gemm_batched_general_kernelI19rocblas_complex_numIfELi16ELi16ELi32ELi32ELi8ELi32ELi8ELi8ELi32ELc84ELc78EKPKS2_S5_KPS2_EEvlllT_PT11_llSA_llS8_PT12_llPT13_lli
                                        ; -- End function
	.section	.AMDGPU.csdata,"",@progbits
; Kernel info:
; codeLenInByte = 3688
; NumSgprs: 52
; NumVgprs: 127
; NumAgprs: 0
; TotalNumVgprs: 127
; ScratchSize: 32
; MemoryBound: 0
; FloatMode: 240
; IeeeMode: 1
; LDSByteSize: 4096 bytes/workgroup (compile time only)
; SGPRBlocks: 6
; VGPRBlocks: 15
; NumSGPRsForWavesPerEU: 52
; NumVGPRsForWavesPerEU: 127
; AccumOffset: 128
; Occupancy: 4
; WaveLimiterHint : 1
; COMPUTE_PGM_RSRC2:SCRATCH_EN: 1
; COMPUTE_PGM_RSRC2:USER_SGPR: 8
; COMPUTE_PGM_RSRC2:TRAP_HANDLER: 0
; COMPUTE_PGM_RSRC2:TGID_X_EN: 1
; COMPUTE_PGM_RSRC2:TGID_Y_EN: 1
; COMPUTE_PGM_RSRC2:TGID_Z_EN: 1
; COMPUTE_PGM_RSRC2:TIDIG_COMP_CNT: 1
; COMPUTE_PGM_RSRC3_GFX90A:ACCUM_OFFSET: 31
; COMPUTE_PGM_RSRC3_GFX90A:TG_SPLIT: 0
	.section	.text._ZN12_GLOBAL__N_135rocblas_gemm_batched_general_kernelI19rocblas_complex_numIfELi16ELi16ELi32ELi32ELi8ELi32ELi8ELi8ELi32ELc78ELc84EKPKS2_S5_KPS2_EEvlllT_PT11_llSA_llS8_PT12_llPT13_lli,"axG",@progbits,_ZN12_GLOBAL__N_135rocblas_gemm_batched_general_kernelI19rocblas_complex_numIfELi16ELi16ELi32ELi32ELi8ELi32ELi8ELi8ELi32ELc78ELc84EKPKS2_S5_KPS2_EEvlllT_PT11_llSA_llS8_PT12_llPT13_lli,comdat
	.globl	_ZN12_GLOBAL__N_135rocblas_gemm_batched_general_kernelI19rocblas_complex_numIfELi16ELi16ELi32ELi32ELi8ELi32ELi8ELi8ELi32ELc78ELc84EKPKS2_S5_KPS2_EEvlllT_PT11_llSA_llS8_PT12_llPT13_lli ; -- Begin function _ZN12_GLOBAL__N_135rocblas_gemm_batched_general_kernelI19rocblas_complex_numIfELi16ELi16ELi32ELi32ELi8ELi32ELi8ELi8ELi32ELc78ELc84EKPKS2_S5_KPS2_EEvlllT_PT11_llSA_llS8_PT12_llPT13_lli
	.p2align	8
	.type	_ZN12_GLOBAL__N_135rocblas_gemm_batched_general_kernelI19rocblas_complex_numIfELi16ELi16ELi32ELi32ELi8ELi32ELi8ELi8ELi32ELc78ELc84EKPKS2_S5_KPS2_EEvlllT_PT11_llSA_llS8_PT12_llPT13_lli,@function
_ZN12_GLOBAL__N_135rocblas_gemm_batched_general_kernelI19rocblas_complex_numIfELi16ELi16ELi32ELi32ELi8ELi32ELi8ELi8ELi32ELc78ELc84EKPKS2_S5_KPS2_EEvlllT_PT11_llSA_llS8_PT12_llPT13_lli: ; @_ZN12_GLOBAL__N_135rocblas_gemm_batched_general_kernelI19rocblas_complex_numIfELi16ELi16ELi32ELi32ELi8ELi32ELi8ELi8ELi32ELc78ELc84EKPKS2_S5_KPS2_EEvlllT_PT11_llSA_llS8_PT12_llPT13_lli
; %bb.0:
	s_load_dwordx16 s[12:27], s[4:5], 0x0
	s_load_dwordx4 s[28:31], s[4:5], 0x78
	s_load_dwordx8 s[36:43], s[4:5], 0x58
	s_load_dwordx2 s[34:35], s[4:5], 0x50
	s_add_u32 s0, s0, s11
	s_mov_b32 s11, 0
	s_addc_u32 s1, s1, 0
	s_lshl_b64 s[6:7], s[10:11], 3
	s_waitcnt lgkmcnt(0)
	s_add_u32 s10, s36, s6
	s_addc_u32 s11, s37, s7
	s_add_u32 s36, s42, s6
	s_addc_u32 s37, s43, s7
	s_load_dwordx2 s[10:11], s[10:11], 0x0
	s_mov_b32 s50, s9
	s_load_dwordx2 s[42:43], s[36:37], 0x0
	v_mov_b32_e32 v29, 0
	s_ashr_i32 s9, s8, 31
	s_ashr_i32 s51, s50, 31
	v_cmp_lt_i64_e64 s[44:45], s[16:17], 1
	v_and_b32_e32 v31, 0x3ff, v0
	v_bfe_u32 v33, v0, 10, 10
	s_lshl_b64 s[36:37], s[8:9], 5
	s_lshl_b64 s[48:49], s[50:51], 5
	s_and_b64 vcc, exec, s[44:45]
	v_mov_b32_e32 v28, v29
	buffer_store_dword v29, off, s[0:3], 0 offset:4
	buffer_store_dword v29, off, s[0:3], 0
	buffer_store_dword v29, off, s[0:3], 0 offset:12
	buffer_store_dword v29, off, s[0:3], 0 offset:8
	;; [unrolled: 1-line block ×4, first 2 shown]
	s_cbranch_vccnz .LBB254_7
; %bb.1:
	v_lshl_add_u32 v4, v33, 4, v31
	s_load_dwordx4 s[44:47], s[4:5], 0x40
	s_add_u32 s4, s20, s6
	v_lshrrev_b32_e32 v5, 3, v4
	s_addc_u32 s5, s21, s7
	v_mov_b32_e32 v1, s49
	v_add_co_u32_e32 v0, vcc, s48, v5
	s_load_dwordx2 s[52:53], s[4:5], 0x0
	s_add_u32 s4, s26, s6
	v_and_b32_e32 v32, 7, v31
	v_addc_co_u32_e32 v1, vcc, 0, v1, vcc
	s_addc_u32 s5, s27, s7
	v_cmp_gt_i64_e64 s[6:7], s[14:15], v[0:1]
	v_lshlrev_b32_e32 v0, 3, v32
	v_lshl_or_b32 v0, v5, 6, v0
	v_and_b32_e32 v6, 31, v4
	v_add_u32_e32 v79, 0x800, v0
	v_mov_b32_e32 v0, 0x800
	v_mov_b32_e32 v3, s37
	v_or_b32_e32 v2, s36, v6
	v_lshl_add_u32 v81, v33, 6, v0
	s_waitcnt lgkmcnt(0)
	v_mad_u64_u32 v[0:1], s[26:27], s44, v32, 0
	s_load_dwordx2 s[20:21], s[4:5], 0x0
	v_cmp_gt_i64_e64 s[4:5], s[12:13], v[2:3]
	v_mov_b32_e32 v2, v1
	v_mad_u64_u32 v[2:3], s[26:27], s45, v32, v[2:3]
	s_lshl_b64 s[26:27], s[50:51], 8
	s_lshl_b64 s[46:47], s[46:47], 3
	v_mov_b32_e32 v1, v2
	s_add_u32 s26, s46, s26
	v_lshlrev_b64 v[0:1], 3, v[0:1]
	s_addc_u32 s27, s47, s27
	v_mov_b32_e32 v2, s27
	v_add_co_u32_e32 v0, vcc, s26, v0
	v_addc_co_u32_e32 v1, vcc, v2, v1, vcc
	v_and_b32_e32 v2, 0x7ff8, v4
	v_add_co_u32_e32 v0, vcc, v0, v2
	v_addc_co_u32_e32 v1, vcc, 0, v1, vcc
	v_lshrrev_b32_e32 v30, 5, v4
	s_waitcnt lgkmcnt(0)
	v_mov_b32_e32 v2, s21
	v_add_co_u32_e32 v34, vcc, s20, v0
	v_addc_co_u32_e32 v35, vcc, v2, v1, vcc
	v_mad_u64_u32 v[0:1], s[26:27], s22, v30, 0
	v_mov_b32_e32 v2, v1
	s_lshl_b64 s[20:21], s[44:45], 6
	v_mad_u64_u32 v[2:3], s[26:27], s23, v30, v[2:3]
	s_lshl_b64 s[8:9], s[8:9], 8
	s_lshl_b64 s[24:25], s[24:25], 3
	v_mov_b32_e32 v1, v2
	s_add_u32 s8, s24, s8
	v_lshlrev_b64 v[0:1], 3, v[0:1]
	s_addc_u32 s9, s25, s9
	v_mov_b32_e32 v2, s9
	v_add_co_u32_e32 v0, vcc, s8, v0
	v_lshlrev_b32_e32 v6, 3, v6
	v_addc_co_u32_e32 v1, vcc, v2, v1, vcc
	v_add_co_u32_e32 v0, vcc, v0, v6
	v_addc_co_u32_e32 v1, vcc, 0, v1, vcc
	v_mov_b32_e32 v28, 0
	v_mov_b32_e32 v2, s53
	v_add_co_u32_e32 v36, vcc, s52, v0
	v_lshl_or_b32 v78, v30, 8, v6
	v_lshlrev_b32_e32 v80, 3, v31
	v_addc_co_u32_e32 v37, vcc, v2, v1, vcc
	s_lshl_b64 s[8:9], s[22:23], 6
	s_mov_b64 s[22:23], 0
	v_mov_b32_e32 v29, v28
	s_branch .LBB254_3
.LBB254_2:                              ;   in Loop: Header=BB254_3 Depth=1
	s_or_b64 exec, exec, s[24:25]
	s_waitcnt vmcnt(0)
	ds_write_b64 v79, v[0:1]
	s_waitcnt lgkmcnt(0)
	s_barrier
	ds_read2_b64 v[12:15], v80 offset0:32 offset1:48
	ds_read2_b64 v[16:19], v80 offset0:64 offset1:80
	;; [unrolled: 1-line block ×3, first 2 shown]
	ds_read_b128 v[4:7], v81
	ds_read_b128 v[0:3], v81 offset:16
	ds_read_b128 v[82:85], v81 offset:1024
	;; [unrolled: 1-line block ×3, first 2 shown]
	s_waitcnt lgkmcnt(6)
	v_mov_b32_e32 v49, v12
	s_waitcnt lgkmcnt(3)
	v_pk_mul_f32 v[20:21], v[6:7], v[12:13] op_sel:[0,1]
	v_pk_fma_f32 v[40:41], v[6:7], v[12:13], v[20:21] op_sel:[0,0,1] op_sel_hi:[1,0,0] neg_lo:[0,0,1] neg_hi:[0,0,1]
	v_pk_fma_f32 v[42:43], v[6:7], v[12:13], v[20:21] op_sel:[0,0,1] op_sel_hi:[1,0,0]
	v_mul_f32_e32 v12, v6, v14
	v_mov_b32_e32 v53, v13
	v_mov_b32_e32 v54, v13
	v_fma_f32 v120, -v7, v15, v12
	s_waitcnt lgkmcnt(2)
	v_pk_mul_f32 v[12:13], v[0:1], v[16:17] op_sel:[0,1]
	v_pk_fma_f32 v[56:57], v[0:1], v[16:17], v[12:13] op_sel:[0,0,1] op_sel_hi:[1,0,0] neg_lo:[0,0,1] neg_hi:[0,0,1]
	v_pk_fma_f32 v[58:59], v[0:1], v[16:17], v[12:13] op_sel:[0,0,1] op_sel_hi:[1,0,0]
	v_mul_f32_e32 v12, v0, v18
	v_fma_f32 v58, -v1, v19, v12
	v_pk_mul_f32 v[12:13], v[2:3], v[8:9] op_sel:[0,1]
	v_mov_b32_e32 v39, v8
	v_pk_fma_f32 v[64:65], v[2:3], v[8:9], v[12:13] op_sel:[0,0,1] op_sel_hi:[1,0,0] neg_lo:[0,0,1] neg_hi:[0,0,1]
	v_pk_fma_f32 v[66:67], v[2:3], v[8:9], v[12:13] op_sel:[0,0,1] op_sel_hi:[1,0,0]
	v_mul_f32_e32 v8, v2, v10
	s_waitcnt lgkmcnt(0)
	v_mul_f32_e32 v123, v27, v10
	v_mov_b32_e32 v38, v10
	v_mov_b32_e32 v94, v11
	v_mov_b32_e32 v95, v9
	v_mov_b32_e32 v96, v9
	v_mov_b32_e32 v97, v11
	ds_read2_b64 v[70:73], v80 offset0:128 offset1:144
	v_fma_f32 v66, -v3, v11, v8
	v_fmac_f32_e32 v123, v26, v11
	ds_read_b128 v[8:11], v81 offset:32
	ds_read_b128 v[20:23], v81 offset:1056
	v_mul_f32_e32 v122, v25, v18
	ds_read2_b64 v[86:89], v80 offset0:160 offset1:176
	v_mov_b32_e32 v44, v18
	v_mov_b32_e32 v45, v16
	;; [unrolled: 1-line block ×6, first 2 shown]
	v_fmac_f32_e32 v122, v24, v19
	ds_read_b128 v[16:19], v81 offset:48
	ds_read2_b64 v[90:93], v80 offset0:192 offset1:208
	s_waitcnt lgkmcnt(4)
	v_pk_mul_f32 v[12:13], v[8:9], v[70:71] op_sel:[0,1]
	v_mul_f32_e32 v121, v85, v14
	v_pk_fma_f32 v[98:99], v[8:9], v[70:71], v[12:13] op_sel:[0,0,1] op_sel_hi:[1,0,0] neg_lo:[0,0,1] neg_hi:[0,0,1]
	v_pk_fma_f32 v[100:101], v[8:9], v[70:71], v[12:13] op_sel:[0,0,1] op_sel_hi:[1,0,0]
	v_mul_f32_e32 v12, v8, v72
	v_mov_b32_e32 v48, v14
	v_mov_b32_e32 v52, v15
	;; [unrolled: 1-line block ×3, first 2 shown]
	v_fmac_f32_e32 v121, v84, v15
	v_fma_f32 v100, -v9, v73, v12
	ds_read_b128 v[12:15], v81 offset:1072
	s_waitcnt lgkmcnt(4)
	v_mul_f32_e32 v124, v21, v72
	v_mov_b32_e32 v60, v72
	v_mov_b32_e32 v68, v73
	v_mov_b32_e32 v63, v73
	v_fmac_f32_e32 v124, v20, v73
	s_waitcnt lgkmcnt(3)
	v_pk_mul_f32 v[72:73], v[10:11], v[86:87] op_sel:[0,1]
	v_mov_b32_e32 v69, v71
	v_mov_b32_e32 v62, v71
	;; [unrolled: 1-line block ×5, first 2 shown]
	v_pk_fma_f32 v[104:105], v[10:11], v[86:87], v[72:73] op_sel:[0,0,1] op_sel_hi:[1,0,0] neg_lo:[0,0,1] neg_hi:[0,0,1]
	v_pk_fma_f32 v[106:107], v[10:11], v[86:87], v[72:73] op_sel:[0,0,1] op_sel_hi:[1,0,0]
	v_mul_f32_e32 v41, v10, v88
	v_mul_f32_e32 v125, v23, v88
	s_waitcnt lgkmcnt(1)
	v_pk_mul_f32 v[86:87], v[16:17], v[90:91] op_sel:[0,1]
	v_mov_b32_e32 v61, v70
	v_mov_b32_e32 v70, v88
	;; [unrolled: 1-line block ×4, first 2 shown]
	v_fma_f32 v106, -v11, v89, v41
	v_fmac_f32_e32 v125, v22, v89
	v_mov_b32_e32 v73, v90
	v_mov_b32_e32 v77, v91
	;; [unrolled: 1-line block ×3, first 2 shown]
	v_pk_fma_f32 v[110:111], v[16:17], v[90:91], v[86:87] op_sel:[0,0,1] op_sel_hi:[1,0,0] neg_lo:[0,0,1] neg_hi:[0,0,1]
	v_pk_fma_f32 v[90:91], v[16:17], v[90:91], v[86:87] op_sel:[0,0,1] op_sel_hi:[1,0,0]
	ds_read2_b64 v[86:89], v80 offset1:16
	v_mul_f32_e32 v41, v16, v92
	s_waitcnt lgkmcnt(1)
	v_mul_f32_e32 v126, v13, v92
	v_mov_b32_e32 v72, v92
	v_mov_b32_e32 v76, v93
	;; [unrolled: 1-line block ×3, first 2 shown]
	v_fma_f32 v90, -v17, v93, v41
	v_fmac_f32_e32 v126, v12, v93
	s_waitcnt lgkmcnt(0)
	v_mov_b32_e32 v92, v89
	v_mov_b32_e32 v93, v87
	v_mov_b32_e32 v112, v4
	v_mov_b32_e32 v113, v83
	v_pk_mul_f32 v[116:117], v[4:5], v[86:87] op_sel:[0,1]
	v_pk_mul_f32 v[92:93], v[112:113], v[92:93]
	v_mov_b32_e32 v113, v86
	v_mov_b32_e32 v114, v87
	v_pk_fma_f32 v[118:119], v[4:5], v[86:87], v[116:117] op_sel:[0,0,1] op_sel_hi:[1,0,0] neg_lo:[0,0,1] neg_hi:[0,0,1]
	v_pk_fma_f32 v[86:87], v[4:5], v[86:87], v[116:117] op_sel:[0,0,1] op_sel_hi:[1,0,0]
	v_mul_f32_e32 v4, v4, v88
	v_fma_f32 v86, -v5, v89, v4
	v_mul_f32_e32 v116, v83, v88
	v_mov_b32_e32 v4, v5
	v_mov_b32_e32 v112, v88
	;; [unrolled: 1-line block ×3, first 2 shown]
	v_fmac_f32_e32 v116, v82, v89
	v_pk_fma_f32 v[88:89], v[4:5], v[88:89], v[92:93]
	v_mov_b32_e32 v5, v82
	v_pk_fma_f32 v[4:5], v[4:5], v[112:113], v[92:93] neg_lo:[0,0,1] neg_hi:[0,0,1]
	v_pk_mul_f32 v[92:93], v[82:83], v[112:113]
	v_pk_fma_f32 v[112:113], v[82:83], v[114:115], v[92:93] op_sel:[0,0,1] op_sel_hi:[1,1,0]
	v_pk_fma_f32 v[82:83], v[82:83], v[114:115], v[92:93] op_sel:[0,0,1] op_sel_hi:[1,1,0] neg_lo:[1,0,0] neg_hi:[1,0,0]
	v_pk_mul_f32 v[92:93], v[84:85], v[48:49]
	v_pk_fma_f32 v[114:115], v[84:85], v[54:55], v[92:93] op_sel:[0,0,1] op_sel_hi:[1,1,0]
	v_pk_fma_f32 v[54:55], v[84:85], v[54:55], v[92:93] op_sel:[0,0,1] op_sel_hi:[1,1,0] neg_lo:[1,0,0] neg_hi:[1,0,0]
	v_mov_b32_e32 v93, v84
	v_mov_b32_e32 v84, v6
	;; [unrolled: 1-line block ×4, first 2 shown]
	v_pk_mul_f32 v[6:7], v[84:85], v[52:53]
	v_pk_fma_f32 v[52:53], v[4:5], v[48:49], v[6:7]
	v_pk_fma_f32 v[6:7], v[92:93], v[48:49], v[6:7] neg_lo:[0,0,1] neg_hi:[0,0,1]
	buffer_load_dword v92, off, s[0:3], 0 offset:12
	buffer_load_dword v93, off, s[0:3], 0 offset:16
	buffer_load_dword v6, off, s[0:3], 0
	v_mov_b32_e32 v48, v0
	v_mov_b32_e32 v49, v25
	v_pk_mul_f32 v[48:49], v[48:49], v[50:51]
	v_mov_b32_e32 v0, v1
	v_mov_b32_e32 v50, v1
	;; [unrolled: 1-line block ×3, first 2 shown]
	v_pk_fma_f32 v[84:85], v[0:1], v[44:45], v[48:49]
	v_pk_mul_f32 v[0:1], v[24:25], v[44:45]
	v_pk_fma_f32 v[48:49], v[50:51], v[44:45], v[48:49] neg_lo:[0,0,1] neg_hi:[0,0,1]
	v_pk_fma_f32 v[44:45], v[24:25], v[46:47], v[0:1] op_sel:[0,0,1] op_sel_hi:[1,1,0]
	v_pk_fma_f32 v[24:25], v[24:25], v[46:47], v[0:1] op_sel:[0,0,1] op_sel_hi:[1,1,0] neg_lo:[1,0,0] neg_hi:[1,0,0]
	v_pk_mul_f32 v[0:1], v[26:27], v[38:39]
	v_pk_fma_f32 v[46:47], v[26:27], v[96:97], v[0:1] op_sel:[0,0,1] op_sel_hi:[1,1,0]
	v_pk_fma_f32 v[50:51], v[26:27], v[96:97], v[0:1] op_sel:[0,0,1] op_sel_hi:[1,1,0] neg_lo:[1,0,0] neg_hi:[1,0,0]
	v_mov_b32_e32 v1, v27
	v_mov_b32_e32 v0, v2
	;; [unrolled: 1-line block ×4, first 2 shown]
	v_pk_mul_f32 v[0:1], v[0:1], v[94:95]
	v_mov_b32_e32 v2, v3
	v_pk_fma_f32 v[26:27], v[26:27], v[38:39], v[0:1] neg_lo:[0,0,1] neg_hi:[0,0,1]
	v_pk_fma_f32 v[94:95], v[2:3], v[38:39], v[0:1]
	buffer_load_dword v26, off, s[0:3], 0 offset:20
	buffer_load_dword v38, off, s[0:3], 0 offset:4
	;; [unrolled: 1-line block ×3, first 2 shown]
	v_mov_b32_e32 v119, v87
	v_pk_add_f32 v[0:1], v[28:29], v[118:119]
	v_mov_b32_e32 v41, v43
	v_pk_add_f32 v[0:1], v[0:1], v[40:41]
	;; [unrolled: 2-line block ×5, first 2 shown]
	ds_read2_b64 v[0:3], v80 offset0:224 offset1:240
	v_mov_b32_e32 v113, v83
	v_mov_b32_e32 v115, v55
	;; [unrolled: 1-line block ×4, first 2 shown]
	s_waitcnt lgkmcnt(0)
	v_pk_mul_f32 v[40:41], v[18:19], v[0:1] op_sel:[0,1]
	v_pk_fma_f32 v[42:43], v[18:19], v[0:1], v[40:41] op_sel:[0,0,1] op_sel_hi:[1,0,0] neg_lo:[0,0,1] neg_hi:[0,0,1]
	v_pk_fma_f32 v[40:41], v[18:19], v[0:1], v[40:41] op_sel:[0,0,1] op_sel_hi:[1,0,0]
	v_mov_b32_e32 v43, v41
	v_pk_add_f32 v[28:29], v[28:29], v[104:105]
	v_mov_b32_e32 v111, v91
	v_pk_add_f32 v[28:29], v[28:29], v[110:111]
	;; [unrolled: 2-line block ×3, first 2 shown]
	v_mov_b32_e32 v42, v9
	v_mov_b32_e32 v89, v5
	v_mov_b32_e32 v43, v20
	v_mov_b32_e32 v47, v51
	v_mov_b32_e32 v53, v7
	v_mov_b32_e32 v85, v49
	v_mov_b32_e32 v95, v27
	v_add_co_u32_e32 v34, vcc, s20, v34
	s_add_u32 s22, s22, 8
	s_addc_u32 s23, s23, 0
	s_waitcnt vmcnt(4)
	v_pk_add_f32 v[40:41], v[92:93], v[112:113]
	v_pk_add_f32 v[40:41], v[40:41], v[114:115]
	v_pk_add_f32 v[24:25], v[40:41], v[44:45]
	v_mov_b32_e32 v40, v8
	v_mov_b32_e32 v41, v21
	v_pk_mul_f32 v[40:41], v[40:41], v[68:69]
	v_pk_fma_f32 v[8:9], v[4:5], v[60:61], v[40:41]
	s_waitcnt vmcnt(3)
	v_add_f32_e32 v4, v6, v86
	v_add_f32_e32 v4, v4, v120
	;; [unrolled: 1-line block ×6, first 2 shown]
	v_mul_f32_e32 v5, v18, v2
	v_add_f32_e32 v4, v4, v90
	v_fma_f32 v5, -v19, v3, v5
	v_pk_fma_f32 v[40:41], v[42:43], v[60:61], v[40:41] neg_lo:[0,0,1] neg_hi:[0,0,1]
	v_pk_mul_f32 v[42:43], v[20:21], v[60:61]
	v_add_f32_e32 v4, v4, v5
	v_pk_fma_f32 v[44:45], v[20:21], v[62:63], v[42:43] op_sel:[0,0,1] op_sel_hi:[1,1,0]
	v_pk_fma_f32 v[20:21], v[20:21], v[62:63], v[42:43] op_sel:[0,0,1] op_sel_hi:[1,1,0] neg_lo:[1,0,0] neg_hi:[1,0,0]
	buffer_store_dword v4, off, s[0:3], 0
	s_waitcnt vmcnt(3)
	v_add_f32_e32 v4, v26, v116
	v_pk_add_f32 v[24:25], v[24:25], v[46:47]
	v_mov_b32_e32 v45, v21
	v_add_f32_e32 v4, v4, v121
	v_pk_add_f32 v[20:21], v[24:25], v[44:45]
	v_pk_mul_f32 v[24:25], v[22:23], v[70:71]
	v_add_f32_e32 v4, v4, v122
	v_pk_fma_f32 v[42:43], v[22:23], v[102:103], v[24:25] op_sel:[0,0,1] op_sel_hi:[1,1,0]
	v_pk_fma_f32 v[24:25], v[22:23], v[102:103], v[24:25] op_sel:[0,0,1] op_sel_hi:[1,1,0] neg_lo:[1,0,0] neg_hi:[1,0,0]
	v_add_f32_e32 v4, v4, v123
	v_mov_b32_e32 v43, v25
	v_pk_mul_f32 v[24:25], v[12:13], v[72:73]
	v_add_f32_e32 v4, v4, v124
	v_pk_add_f32 v[20:21], v[20:21], v[42:43]
	v_pk_fma_f32 v[42:43], v[12:13], v[108:109], v[24:25] op_sel:[0,0,1] op_sel_hi:[1,1,0]
	v_pk_fma_f32 v[24:25], v[12:13], v[108:109], v[24:25] op_sel:[0,0,1] op_sel_hi:[1,1,0] neg_lo:[1,0,0] neg_hi:[1,0,0]
	v_add_f32_e32 v4, v4, v125
	v_mov_b32_e32 v43, v25
	v_add_f32_e32 v25, v4, v126
	s_waitcnt vmcnt(1)
	v_pk_add_f32 v[4:5], v[38:39], v[88:89]
	v_pk_add_f32 v[4:5], v[4:5], v[52:53]
	;; [unrolled: 1-line block ×4, first 2 shown]
	v_mov_b32_e32 v9, v41
	v_pk_add_f32 v[4:5], v[4:5], v[8:9]
	v_mov_b32_e32 v8, v10
	v_mov_b32_e32 v9, v23
	;; [unrolled: 1-line block ×3, first 2 shown]
	v_pk_mul_f32 v[8:9], v[8:9], v[74:75]
	v_mov_b32_e32 v10, v11
	v_mov_b32_e32 v11, v22
	v_pk_fma_f32 v[6:7], v[6:7], v[70:71], v[8:9]
	v_pk_fma_f32 v[8:9], v[10:11], v[70:71], v[8:9] neg_lo:[0,0,1] neg_hi:[0,0,1]
	v_mov_b32_e32 v7, v9
	v_pk_add_f32 v[4:5], v[4:5], v[6:7]
	v_mov_b32_e32 v6, v16
	v_mov_b32_e32 v7, v13
	;; [unrolled: 1-line block ×3, first 2 shown]
	v_pk_mul_f32 v[6:7], v[6:7], v[76:77]
	v_mov_b32_e32 v8, v17
	v_mov_b32_e32 v9, v12
	v_pk_fma_f32 v[10:11], v[24:25], v[72:73], v[6:7]
	v_pk_fma_f32 v[6:7], v[8:9], v[72:73], v[6:7] neg_lo:[0,0,1] neg_hi:[0,0,1]
	v_mov_b32_e32 v38, v3
	v_mov_b32_e32 v39, v1
	;; [unrolled: 1-line block ×9, first 2 shown]
	v_pk_mul_f32 v[8:9], v[18:19], v[38:39]
	v_pk_add_f32 v[20:21], v[20:21], v[42:43]
	v_mov_b32_e32 v42, v1
	v_pk_fma_f32 v[0:1], v[0:1], v[44:45], v[8:9]
	v_pk_fma_f32 v[6:7], v[6:7], v[44:45], v[8:9] neg_lo:[0,0,1] neg_hi:[0,0,1]
	v_pk_add_f32 v[4:5], v[4:5], v[10:11]
	v_mov_b32_e32 v1, v7
	v_pk_add_f32 v[0:1], v[4:5], v[0:1]
	v_mov_b32_e32 v43, v3
	buffer_store_dword v1, off, s[0:3], 0 offset:8
	buffer_store_dword v0, off, s[0:3], 0 offset:4
	v_pk_mul_f32 v[0:1], v[14:15], v[44:45]
	v_pk_fma_f32 v[4:5], v[14:15], v[42:43], v[0:1] op_sel:[0,0,1] op_sel_hi:[1,1,0]
	v_pk_fma_f32 v[0:1], v[14:15], v[42:43], v[0:1] op_sel:[0,0,1] op_sel_hi:[1,1,0] neg_lo:[1,0,0] neg_hi:[1,0,0]
	v_mov_b32_e32 v5, v1
	v_mul_f32_e32 v2, v15, v2
	v_fmac_f32_e32 v2, v14, v3
	v_pk_add_f32 v[0:1], v[20:21], v[4:5]
	v_add_f32_e32 v2, v25, v2
	buffer_store_dword v0, off, s[0:3], 0 offset:12
	buffer_store_dword v1, off, s[0:3], 0 offset:16
	;; [unrolled: 1-line block ×3, first 2 shown]
	v_mov_b32_e32 v0, s21
	v_addc_co_u32_e32 v35, vcc, v35, v0, vcc
	v_mov_b32_e32 v0, s9
	v_add_co_u32_e32 v36, vcc, s8, v36
	v_addc_co_u32_e32 v37, vcc, v37, v0, vcc
	v_pk_mov_b32 v[0:1], s[16:17], s[16:17] op_sel:[0,1]
	v_cmp_lt_i64_e32 vcc, s[22:23], v[0:1]
	s_barrier
	s_cbranch_vccz .LBB254_7
.LBB254_3:                              ; =>This Inner Loop Header: Depth=1
	v_mov_b32_e32 v1, s23
	v_add_co_u32_e32 v0, vcc, s22, v30
	v_addc_co_u32_e32 v1, vcc, 0, v1, vcc
	v_cmp_gt_i64_e32 vcc, s[16:17], v[0:1]
	s_and_b64 s[26:27], s[4:5], vcc
	v_mov_b32_e32 v0, 0
	v_mov_b32_e32 v1, 0
	s_and_saveexec_b64 s[24:25], s[26:27]
	s_cbranch_execz .LBB254_5
; %bb.4:                                ;   in Loop: Header=BB254_3 Depth=1
	global_load_dwordx2 v[0:1], v[36:37], off
.LBB254_5:                              ;   in Loop: Header=BB254_3 Depth=1
	s_or_b64 exec, exec, s[24:25]
	s_waitcnt vmcnt(0)
	ds_write_b64 v78, v[0:1]
	v_mov_b32_e32 v1, s23
	v_add_co_u32_e32 v0, vcc, s22, v32
	v_addc_co_u32_e32 v1, vcc, 0, v1, vcc
	v_cmp_gt_i64_e32 vcc, s[16:17], v[0:1]
	s_and_b64 s[26:27], vcc, s[6:7]
	v_mov_b32_e32 v0, 0
	v_mov_b32_e32 v1, 0
	s_and_saveexec_b64 s[24:25], s[26:27]
	s_cbranch_execz .LBB254_2
; %bb.6:                                ;   in Loop: Header=BB254_3 Depth=1
	global_load_dwordx2 v[0:1], v[34:35], off
	s_branch .LBB254_2
.LBB254_7:
	s_lshl_b64 s[4:5], s[30:31], 3
	s_waitcnt lgkmcnt(0)
	s_add_u32 s22, s42, s4
	s_addc_u32 s23, s43, s5
	v_mov_b32_e32 v1, s49
	v_add_co_u32_e32 v0, vcc, s48, v33
	s_or_b32 s4, s34, s35
	v_addc_co_u32_e32 v1, vcc, 0, v1, vcc
	s_bitset0_b32 s4, 31
	s_cmp_lg_u32 s4, 0
	v_cmp_gt_i64_e64 s[4:5], s[14:15], v[0:1]
	s_mov_b64 s[6:7], -1
	s_cbranch_scc1 .LBB254_19
; %bb.8:
	s_and_saveexec_b64 s[16:17], s[4:5]
	s_cbranch_execz .LBB254_18
; %bb.9:
	v_mov_b32_e32 v2, s37
	v_add_co_u32_e32 v4, vcc, s36, v31
	v_addc_co_u32_e32 v5, vcc, 0, v2, vcc
	v_mul_lo_u32 v6, v1, s28
	v_mul_lo_u32 v7, v0, s29
	v_mad_u64_u32 v[2:3], s[6:7], v0, s28, 0
	v_add3_u32 v3, v3, v7, v6
	v_lshlrev_b64 v[2:3], 3, v[2:3]
	v_mov_b32_e32 v7, s23
	v_add_co_u32_e64 v6, s[6:7], s22, v2
	v_cmp_gt_i64_e32 vcc, s[12:13], v[4:5]
	v_addc_co_u32_e64 v7, s[6:7], v7, v3, s[6:7]
	v_lshlrev_b64 v[2:3], 3, v[4:5]
	s_and_saveexec_b64 s[8:9], vcc
	s_cbranch_execz .LBB254_11
; %bb.10:
	v_mul_f32_e32 v8, s19, v29
	v_mul_f32_e32 v9, s18, v29
	v_add_co_u32_e64 v10, s[6:7], v6, v2
	v_fma_f32 v8, v28, s18, -v8
	v_fmac_f32_e32 v9, s19, v28
	v_addc_co_u32_e64 v11, s[6:7], v7, v3, s[6:7]
	global_store_dwordx2 v[10:11], v[8:9], off
.LBB254_11:
	s_or_b64 exec, exec, s[8:9]
	v_add_co_u32_e64 v4, s[6:7], 16, v4
	v_addc_co_u32_e64 v5, s[6:7], 0, v5, s[6:7]
	v_cmp_gt_i64_e64 s[6:7], s[12:13], v[4:5]
	s_and_saveexec_b64 s[20:21], s[6:7]
	s_cbranch_execz .LBB254_13
; %bb.12:
	buffer_load_dword v4, off, s[0:3], 0 offset:4
	buffer_load_dword v8, off, s[0:3], 0
	s_waitcnt vmcnt(1)
	v_mul_f32_e32 v9, s19, v4
	v_mul_f32_e32 v5, s18, v4
	s_waitcnt vmcnt(0)
	v_fma_f32 v4, v8, s18, -v9
	v_fmac_f32_e32 v5, s19, v8
	v_add_co_u32_e64 v8, s[8:9], v6, v2
	v_addc_co_u32_e64 v9, s[8:9], v7, v3, s[8:9]
	global_store_dwordx2 v[8:9], v[4:5], off offset:128
.LBB254_13:
	s_or_b64 exec, exec, s[20:21]
	v_add_co_u32_e64 v4, s[8:9], 16, v0
	v_addc_co_u32_e64 v5, s[8:9], 0, v1, s[8:9]
	v_cmp_gt_i64_e64 s[8:9], s[14:15], v[4:5]
	s_and_b64 exec, exec, s[8:9]
	s_cbranch_execz .LBB254_18
; %bb.14:
	buffer_load_dword v4, off, s[0:3], 0 offset:16
	buffer_load_dword v5, off, s[0:3], 0 offset:20
	s_lshl_b64 s[8:9], s[28:29], 7
	v_mov_b32_e32 v8, s9
	v_add_co_u32_e64 v6, s[8:9], s8, v6
	v_addc_co_u32_e64 v7, s[8:9], v7, v8, s[8:9]
	v_add_co_u32_e64 v2, s[8:9], v6, v2
	v_addc_co_u32_e64 v3, s[8:9], v7, v3, s[8:9]
	s_and_saveexec_b64 s[8:9], vcc
	s_cbranch_execz .LBB254_16
; %bb.15:
	buffer_load_dword v6, off, s[0:3], 0 offset:12
	buffer_load_dword v8, off, s[0:3], 0 offset:8
	s_waitcnt vmcnt(1)
	v_mul_f32_e32 v9, s19, v6
	v_mul_f32_e32 v7, s18, v6
	s_waitcnt vmcnt(0)
	v_fma_f32 v6, v8, s18, -v9
	v_fmac_f32_e32 v7, s19, v8
	global_store_dwordx2 v[2:3], v[6:7], off
.LBB254_16:
	s_or_b64 exec, exec, s[8:9]
	s_and_b64 exec, exec, s[6:7]
	s_cbranch_execz .LBB254_18
; %bb.17:
	s_waitcnt vmcnt(0)
	v_mul_f32_e32 v6, s19, v5
	v_mul_f32_e32 v7, s18, v5
	v_fma_f32 v6, v4, s18, -v6
	v_fmac_f32_e32 v7, s19, v4
	global_store_dwordx2 v[2:3], v[6:7], off offset:128
.LBB254_18:
	s_or_b64 exec, exec, s[16:17]
	s_mov_b64 s[6:7], 0
.LBB254_19:
	s_andn2_b64 vcc, exec, s[6:7]
	s_cbranch_vccnz .LBB254_30
; %bb.20:
	s_and_saveexec_b64 s[6:7], s[4:5]
	s_cbranch_execz .LBB254_30
; %bb.21:
	s_lshl_b64 s[4:5], s[40:41], 3
	s_add_u32 s6, s10, s4
	v_mov_b32_e32 v2, s37
	s_waitcnt vmcnt(1)
	v_add_co_u32_e32 v4, vcc, s36, v31
	s_addc_u32 s7, s11, s5
	s_waitcnt vmcnt(0)
	v_addc_co_u32_e32 v5, vcc, 0, v2, vcc
	v_mul_lo_u32 v6, v1, s38
	v_mul_lo_u32 v7, v0, s39
	v_mad_u64_u32 v[2:3], s[4:5], v0, s38, 0
	v_add3_u32 v3, v3, v7, v6
	v_mul_lo_u32 v6, v1, s28
	v_mul_lo_u32 v7, v0, s29
	v_mad_u64_u32 v[8:9], s[4:5], v0, s28, 0
	v_lshlrev_b64 v[2:3], 3, v[2:3]
	v_add3_u32 v9, v9, v7, v6
	v_mov_b32_e32 v7, s7
	v_add_co_u32_e64 v6, s[4:5], s6, v2
	v_addc_co_u32_e64 v7, s[4:5], v7, v3, s[4:5]
	v_lshlrev_b64 v[2:3], 3, v[8:9]
	v_mov_b32_e32 v9, s23
	v_add_co_u32_e64 v8, s[4:5], s22, v2
	v_cmp_gt_i64_e32 vcc, s[12:13], v[4:5]
	v_addc_co_u32_e64 v9, s[4:5], v9, v3, s[4:5]
	v_lshlrev_b64 v[2:3], 3, v[4:5]
	s_and_saveexec_b64 s[6:7], vcc
	s_cbranch_execz .LBB254_23
; %bb.22:
	v_add_co_u32_e64 v10, s[4:5], v6, v2
	v_addc_co_u32_e64 v11, s[4:5], v7, v3, s[4:5]
	global_load_dwordx2 v[10:11], v[10:11], off
	v_mul_f32_e32 v12, s19, v29
	v_mul_f32_e32 v13, s18, v29
	v_fma_f32 v12, v28, s18, -v12
	v_fmac_f32_e32 v13, s19, v28
	s_waitcnt vmcnt(0)
	v_mul_f32_e32 v14, s35, v11
	v_mul_f32_e32 v11, s34, v11
	v_fma_f32 v14, v10, s34, -v14
	v_fmac_f32_e32 v11, s35, v10
	v_add_f32_e32 v10, v12, v14
	v_add_co_u32_e64 v12, s[4:5], v8, v2
	v_add_f32_e32 v11, v13, v11
	v_addc_co_u32_e64 v13, s[4:5], v9, v3, s[4:5]
	global_store_dwordx2 v[12:13], v[10:11], off
.LBB254_23:
	s_or_b64 exec, exec, s[6:7]
	v_add_co_u32_e64 v4, s[4:5], 16, v4
	v_addc_co_u32_e64 v5, s[4:5], 0, v5, s[4:5]
	v_cmp_gt_i64_e64 s[4:5], s[12:13], v[4:5]
	s_and_saveexec_b64 s[8:9], s[4:5]
	s_cbranch_execz .LBB254_25
; %bb.24:
	v_add_co_u32_e64 v4, s[6:7], v6, v2
	buffer_load_dword v10, off, s[0:3], 0
	buffer_load_dword v11, off, s[0:3], 0 offset:4
	v_addc_co_u32_e64 v5, s[6:7], v7, v3, s[6:7]
	global_load_dwordx2 v[4:5], v[4:5], off offset:128
	s_waitcnt vmcnt(1)
	v_mul_f32_e32 v12, s19, v11
	v_mul_f32_e32 v11, s18, v11
	v_fma_f32 v12, v10, s18, -v12
	v_fmac_f32_e32 v11, s19, v10
	s_waitcnt vmcnt(0)
	v_mul_f32_e32 v10, s35, v5
	v_mul_f32_e32 v5, s34, v5
	v_fma_f32 v10, v4, s34, -v10
	v_fmac_f32_e32 v5, s35, v4
	v_add_f32_e32 v4, v12, v10
	v_add_co_u32_e64 v10, s[6:7], v8, v2
	v_add_f32_e32 v5, v11, v5
	v_addc_co_u32_e64 v11, s[6:7], v9, v3, s[6:7]
	global_store_dwordx2 v[10:11], v[4:5], off offset:128
.LBB254_25:
	s_or_b64 exec, exec, s[8:9]
	v_add_co_u32_e64 v0, s[6:7], 16, v0
	v_addc_co_u32_e64 v1, s[6:7], 0, v1, s[6:7]
	v_cmp_gt_i64_e64 s[6:7], s[14:15], v[0:1]
	s_and_b64 exec, exec, s[6:7]
	s_cbranch_execz .LBB254_30
; %bb.26:
	buffer_load_dword v10, off, s[0:3], 0 offset:16
	buffer_load_dword v11, off, s[0:3], 0 offset:20
	s_lshl_b64 s[6:7], s[38:39], 7
	v_mov_b32_e32 v0, s7
	v_add_co_u32_e64 v1, s[6:7], s6, v6
	v_addc_co_u32_e64 v0, s[6:7], v7, v0, s[6:7]
	s_lshl_b64 s[6:7], s[28:29], 7
	v_mov_b32_e32 v4, s7
	v_add_co_u32_e64 v6, s[6:7], s6, v8
	v_addc_co_u32_e64 v7, s[6:7], v9, v4, s[6:7]
	v_add_co_u32_e64 v4, s[6:7], v1, v2
	v_addc_co_u32_e64 v5, s[6:7], v0, v3, s[6:7]
	;; [unrolled: 2-line block ×3, first 2 shown]
	s_and_saveexec_b64 s[6:7], vcc
	s_cbranch_execz .LBB254_28
; %bb.27:
	buffer_load_dword v6, off, s[0:3], 0 offset:12
	buffer_load_dword v7, off, s[0:3], 0 offset:8
	global_load_dwordx2 v[2:3], v[4:5], off
	s_waitcnt vmcnt(2)
	v_mul_f32_e32 v8, s19, v6
	v_mul_f32_e32 v6, s18, v6
	s_waitcnt vmcnt(0)
	v_mul_f32_e32 v9, s35, v3
	v_mul_f32_e32 v3, s34, v3
	v_fma_f32 v8, v7, s18, -v8
	v_fmac_f32_e32 v6, s19, v7
	v_fma_f32 v7, v2, s34, -v9
	v_fmac_f32_e32 v3, s35, v2
	v_add_f32_e32 v2, v8, v7
	v_add_f32_e32 v3, v6, v3
	global_store_dwordx2 v[0:1], v[2:3], off
.LBB254_28:
	s_or_b64 exec, exec, s[6:7]
	s_and_b64 exec, exec, s[4:5]
	s_cbranch_execz .LBB254_30
; %bb.29:
	global_load_dwordx2 v[2:3], v[4:5], off offset:128
	s_waitcnt vmcnt(1)
	v_mul_f32_e32 v4, s19, v11
	v_mul_f32_e32 v5, s18, v11
	v_fma_f32 v4, v10, s18, -v4
	v_fmac_f32_e32 v5, s19, v10
	s_waitcnt vmcnt(0)
	v_mul_f32_e32 v6, s35, v3
	v_mul_f32_e32 v3, s34, v3
	v_fma_f32 v6, v2, s34, -v6
	v_fmac_f32_e32 v3, s35, v2
	v_add_f32_e32 v2, v4, v6
	v_add_f32_e32 v3, v5, v3
	global_store_dwordx2 v[0:1], v[2:3], off offset:128
.LBB254_30:
	s_endpgm
	.section	.rodata,"a",@progbits
	.p2align	6, 0x0
	.amdhsa_kernel _ZN12_GLOBAL__N_135rocblas_gemm_batched_general_kernelI19rocblas_complex_numIfELi16ELi16ELi32ELi32ELi8ELi32ELi8ELi8ELi32ELc78ELc84EKPKS2_S5_KPS2_EEvlllT_PT11_llSA_llS8_PT12_llPT13_lli
		.amdhsa_group_segment_fixed_size 4096
		.amdhsa_private_segment_fixed_size 32
		.amdhsa_kernarg_size 140
		.amdhsa_user_sgpr_count 8
		.amdhsa_user_sgpr_private_segment_buffer 1
		.amdhsa_user_sgpr_dispatch_ptr 0
		.amdhsa_user_sgpr_queue_ptr 0
		.amdhsa_user_sgpr_kernarg_segment_ptr 1
		.amdhsa_user_sgpr_dispatch_id 0
		.amdhsa_user_sgpr_flat_scratch_init 1
		.amdhsa_user_sgpr_kernarg_preload_length 0
		.amdhsa_user_sgpr_kernarg_preload_offset 0
		.amdhsa_user_sgpr_private_segment_size 0
		.amdhsa_uses_dynamic_stack 0
		.amdhsa_system_sgpr_private_segment_wavefront_offset 1
		.amdhsa_system_sgpr_workgroup_id_x 1
		.amdhsa_system_sgpr_workgroup_id_y 1
		.amdhsa_system_sgpr_workgroup_id_z 1
		.amdhsa_system_sgpr_workgroup_info 0
		.amdhsa_system_vgpr_workitem_id 1
		.amdhsa_next_free_vgpr 127
		.amdhsa_next_free_sgpr 54
		.amdhsa_accum_offset 128
		.amdhsa_reserve_vcc 1
		.amdhsa_reserve_flat_scratch 0
		.amdhsa_float_round_mode_32 0
		.amdhsa_float_round_mode_16_64 0
		.amdhsa_float_denorm_mode_32 3
		.amdhsa_float_denorm_mode_16_64 3
		.amdhsa_dx10_clamp 1
		.amdhsa_ieee_mode 1
		.amdhsa_fp16_overflow 0
		.amdhsa_tg_split 0
		.amdhsa_exception_fp_ieee_invalid_op 0
		.amdhsa_exception_fp_denorm_src 0
		.amdhsa_exception_fp_ieee_div_zero 0
		.amdhsa_exception_fp_ieee_overflow 0
		.amdhsa_exception_fp_ieee_underflow 0
		.amdhsa_exception_fp_ieee_inexact 0
		.amdhsa_exception_int_div_zero 0
	.end_amdhsa_kernel
	.section	.text._ZN12_GLOBAL__N_135rocblas_gemm_batched_general_kernelI19rocblas_complex_numIfELi16ELi16ELi32ELi32ELi8ELi32ELi8ELi8ELi32ELc78ELc84EKPKS2_S5_KPS2_EEvlllT_PT11_llSA_llS8_PT12_llPT13_lli,"axG",@progbits,_ZN12_GLOBAL__N_135rocblas_gemm_batched_general_kernelI19rocblas_complex_numIfELi16ELi16ELi32ELi32ELi8ELi32ELi8ELi8ELi32ELc78ELc84EKPKS2_S5_KPS2_EEvlllT_PT11_llSA_llS8_PT12_llPT13_lli,comdat
.Lfunc_end254:
	.size	_ZN12_GLOBAL__N_135rocblas_gemm_batched_general_kernelI19rocblas_complex_numIfELi16ELi16ELi32ELi32ELi8ELi32ELi8ELi8ELi32ELc78ELc84EKPKS2_S5_KPS2_EEvlllT_PT11_llSA_llS8_PT12_llPT13_lli, .Lfunc_end254-_ZN12_GLOBAL__N_135rocblas_gemm_batched_general_kernelI19rocblas_complex_numIfELi16ELi16ELi32ELi32ELi8ELi32ELi8ELi8ELi32ELc78ELc84EKPKS2_S5_KPS2_EEvlllT_PT11_llSA_llS8_PT12_llPT13_lli
                                        ; -- End function
	.section	.AMDGPU.csdata,"",@progbits
; Kernel info:
; codeLenInByte = 3708
; NumSgprs: 58
; NumVgprs: 127
; NumAgprs: 0
; TotalNumVgprs: 127
; ScratchSize: 32
; MemoryBound: 0
; FloatMode: 240
; IeeeMode: 1
; LDSByteSize: 4096 bytes/workgroup (compile time only)
; SGPRBlocks: 7
; VGPRBlocks: 15
; NumSGPRsForWavesPerEU: 58
; NumVGPRsForWavesPerEU: 127
; AccumOffset: 128
; Occupancy: 4
; WaveLimiterHint : 1
; COMPUTE_PGM_RSRC2:SCRATCH_EN: 1
; COMPUTE_PGM_RSRC2:USER_SGPR: 8
; COMPUTE_PGM_RSRC2:TRAP_HANDLER: 0
; COMPUTE_PGM_RSRC2:TGID_X_EN: 1
; COMPUTE_PGM_RSRC2:TGID_Y_EN: 1
; COMPUTE_PGM_RSRC2:TGID_Z_EN: 1
; COMPUTE_PGM_RSRC2:TIDIG_COMP_CNT: 1
; COMPUTE_PGM_RSRC3_GFX90A:ACCUM_OFFSET: 31
; COMPUTE_PGM_RSRC3_GFX90A:TG_SPLIT: 0
	.section	.text._ZN12_GLOBAL__N_135rocblas_gemm_batched_general_kernelI19rocblas_complex_numIfELi16ELi16ELi32ELi32ELi8ELi32ELi8ELi8ELi32ELc84ELc84EKPKS2_S5_KPS2_EEvlllT_PT11_llSA_llS8_PT12_llPT13_lli,"axG",@progbits,_ZN12_GLOBAL__N_135rocblas_gemm_batched_general_kernelI19rocblas_complex_numIfELi16ELi16ELi32ELi32ELi8ELi32ELi8ELi8ELi32ELc84ELc84EKPKS2_S5_KPS2_EEvlllT_PT11_llSA_llS8_PT12_llPT13_lli,comdat
	.globl	_ZN12_GLOBAL__N_135rocblas_gemm_batched_general_kernelI19rocblas_complex_numIfELi16ELi16ELi32ELi32ELi8ELi32ELi8ELi8ELi32ELc84ELc84EKPKS2_S5_KPS2_EEvlllT_PT11_llSA_llS8_PT12_llPT13_lli ; -- Begin function _ZN12_GLOBAL__N_135rocblas_gemm_batched_general_kernelI19rocblas_complex_numIfELi16ELi16ELi32ELi32ELi8ELi32ELi8ELi8ELi32ELc84ELc84EKPKS2_S5_KPS2_EEvlllT_PT11_llSA_llS8_PT12_llPT13_lli
	.p2align	8
	.type	_ZN12_GLOBAL__N_135rocblas_gemm_batched_general_kernelI19rocblas_complex_numIfELi16ELi16ELi32ELi32ELi8ELi32ELi8ELi8ELi32ELc84ELc84EKPKS2_S5_KPS2_EEvlllT_PT11_llSA_llS8_PT12_llPT13_lli,@function
_ZN12_GLOBAL__N_135rocblas_gemm_batched_general_kernelI19rocblas_complex_numIfELi16ELi16ELi32ELi32ELi8ELi32ELi8ELi8ELi32ELc84ELc84EKPKS2_S5_KPS2_EEvlllT_PT11_llSA_llS8_PT12_llPT13_lli: ; @_ZN12_GLOBAL__N_135rocblas_gemm_batched_general_kernelI19rocblas_complex_numIfELi16ELi16ELi32ELi32ELi8ELi32ELi8ELi8ELi32ELc84ELc84EKPKS2_S5_KPS2_EEvlllT_PT11_llSA_llS8_PT12_llPT13_lli
; %bb.0:
	s_load_dwordx16 s[12:27], s[4:5], 0x0
	s_load_dwordx4 s[28:31], s[4:5], 0x78
	s_load_dwordx8 s[36:43], s[4:5], 0x58
	s_load_dwordx2 s[34:35], s[4:5], 0x50
	s_add_u32 s0, s0, s11
	s_mov_b32 s11, 0
	s_addc_u32 s1, s1, 0
	s_lshl_b64 s[6:7], s[10:11], 3
	s_waitcnt lgkmcnt(0)
	s_add_u32 s10, s36, s6
	s_addc_u32 s11, s37, s7
	s_load_dwordx2 s[36:37], s[10:11], 0x0
	s_add_u32 s10, s42, s6
	s_addc_u32 s11, s43, s7
	s_load_dwordx2 s[44:45], s[10:11], 0x0
	s_mov_b32 s48, s9
	s_ashr_i32 s9, s8, 31
	v_mov_b32_e32 v29, 0
	s_lshl_b64 s[42:43], s[8:9], 5
	s_ashr_i32 s49, s48, 31
	v_cmp_lt_i64_e64 s[8:9], s[16:17], 1
	v_and_b32_e32 v31, 0x3ff, v0
	v_bfe_u32 v33, v0, 10, 10
	s_lshl_b64 s[46:47], s[48:49], 5
	s_and_b64 vcc, exec, s[8:9]
	v_mov_b32_e32 v28, v29
	buffer_store_dword v29, off, s[0:3], 0 offset:4
	buffer_store_dword v29, off, s[0:3], 0
	buffer_store_dword v29, off, s[0:3], 0 offset:12
	buffer_store_dword v29, off, s[0:3], 0 offset:8
	;; [unrolled: 1-line block ×4, first 2 shown]
	s_cbranch_vccnz .LBB255_7
; %bb.1:
	v_lshl_add_u32 v4, v33, 4, v31
	s_load_dwordx4 s[8:11], s[4:5], 0x40
	s_add_u32 s4, s20, s6
	v_lshrrev_b32_e32 v5, 3, v4
	s_addc_u32 s5, s21, s7
	v_mov_b32_e32 v1, s47
	v_add_co_u32_e32 v0, vcc, s46, v5
	s_load_dwordx2 s[20:21], s[4:5], 0x0
	s_add_u32 s4, s26, s6
	v_and_b32_e32 v32, 7, v31
	v_addc_co_u32_e32 v1, vcc, 0, v1, vcc
	s_addc_u32 s5, s27, s7
	v_cmp_gt_i64_e64 s[6:7], s[14:15], v[0:1]
	v_lshlrev_b32_e32 v0, 3, v32
	v_and_b32_e32 v6, 31, v4
	v_lshl_or_b32 v0, v5, 6, v0
	v_mov_b32_e32 v3, s43
	v_or_b32_e32 v2, s42, v6
	v_add_u32_e32 v79, 0x800, v0
	v_mov_b32_e32 v0, 0x800
	s_load_dwordx2 s[26:27], s[4:5], 0x0
	v_lshrrev_b32_e32 v30, 5, v4
	v_cmp_gt_i64_e64 s[4:5], s[12:13], v[2:3]
	v_lshlrev_b32_e32 v2, 3, v6
	v_lshl_add_u32 v81, v33, 6, v0
	s_waitcnt lgkmcnt(0)
	v_mad_u64_u32 v[0:1], s[50:51], s8, v32, 0
	v_lshl_or_b32 v78, v30, 8, v2
	v_mov_b32_e32 v2, v1
	v_mad_u64_u32 v[2:3], s[50:51], s9, v32, v[2:3]
	s_lshl_b64 s[48:49], s[48:49], 8
	s_lshl_b64 s[10:11], s[10:11], 3
	v_mov_b32_e32 v1, v2
	s_add_u32 s10, s10, s48
	v_lshlrev_b64 v[0:1], 3, v[0:1]
	s_addc_u32 s11, s11, s49
	v_mov_b32_e32 v2, s11
	v_add_co_u32_e32 v0, vcc, s10, v0
	v_addc_co_u32_e32 v1, vcc, v2, v1, vcc
	v_and_b32_e32 v2, 0x7ff8, v4
	v_add_co_u32_e32 v0, vcc, v0, v2
	v_addc_co_u32_e32 v1, vcc, 0, v1, vcc
	v_mov_b32_e32 v2, s27
	v_add_co_u32_e32 v34, vcc, s26, v0
	v_addc_co_u32_e32 v35, vcc, v2, v1, vcc
	v_mov_b32_e32 v0, s43
	v_add_co_u32_e32 v1, vcc, s42, v6
	v_addc_co_u32_e32 v0, vcc, 0, v0, vcc
	v_mul_lo_u32 v2, s23, v1
	v_mul_lo_u32 v3, s22, v0
	v_mad_u64_u32 v[0:1], s[10:11], s22, v1, 0
	v_add3_u32 v1, v1, v3, v2
	v_lshlrev_b64 v[0:1], 3, v[0:1]
	s_lshl_b64 s[10:11], s[24:25], 3
	v_mov_b32_e32 v2, s11
	v_add_co_u32_e32 v0, vcc, s10, v0
	v_addc_co_u32_e32 v1, vcc, v1, v2, vcc
	v_lshlrev_b32_e32 v2, 3, v30
	v_add_co_u32_e32 v0, vcc, v0, v2
	v_addc_co_u32_e32 v1, vcc, 0, v1, vcc
	v_mov_b32_e32 v28, 0
	v_mov_b32_e32 v2, s21
	v_add_co_u32_e32 v36, vcc, s20, v0
	v_lshlrev_b32_e32 v80, 3, v31
	s_lshl_b64 s[8:9], s[8:9], 6
	v_addc_co_u32_e32 v37, vcc, v2, v1, vcc
	s_mov_b64 s[10:11], 0
	v_mov_b32_e32 v29, v28
	s_branch .LBB255_3
.LBB255_2:                              ;   in Loop: Header=BB255_3 Depth=1
	s_or_b64 exec, exec, s[20:21]
	s_waitcnt vmcnt(0)
	ds_write_b64 v79, v[0:1]
	s_waitcnt lgkmcnt(0)
	s_barrier
	ds_read2_b64 v[12:15], v80 offset0:32 offset1:48
	ds_read2_b64 v[16:19], v80 offset0:64 offset1:80
	;; [unrolled: 1-line block ×3, first 2 shown]
	ds_read_b128 v[4:7], v81
	ds_read_b128 v[0:3], v81 offset:16
	ds_read_b128 v[82:85], v81 offset:1024
	;; [unrolled: 1-line block ×3, first 2 shown]
	s_waitcnt lgkmcnt(6)
	v_mov_b32_e32 v49, v12
	s_waitcnt lgkmcnt(3)
	v_pk_mul_f32 v[20:21], v[6:7], v[12:13] op_sel:[0,1]
	v_pk_fma_f32 v[40:41], v[6:7], v[12:13], v[20:21] op_sel:[0,0,1] op_sel_hi:[1,0,0] neg_lo:[0,0,1] neg_hi:[0,0,1]
	v_pk_fma_f32 v[42:43], v[6:7], v[12:13], v[20:21] op_sel:[0,0,1] op_sel_hi:[1,0,0]
	v_mul_f32_e32 v12, v6, v14
	v_mov_b32_e32 v53, v13
	v_mov_b32_e32 v54, v13
	v_fma_f32 v120, -v7, v15, v12
	s_waitcnt lgkmcnt(2)
	v_pk_mul_f32 v[12:13], v[0:1], v[16:17] op_sel:[0,1]
	v_pk_fma_f32 v[56:57], v[0:1], v[16:17], v[12:13] op_sel:[0,0,1] op_sel_hi:[1,0,0] neg_lo:[0,0,1] neg_hi:[0,0,1]
	v_pk_fma_f32 v[58:59], v[0:1], v[16:17], v[12:13] op_sel:[0,0,1] op_sel_hi:[1,0,0]
	v_mul_f32_e32 v12, v0, v18
	v_fma_f32 v58, -v1, v19, v12
	v_pk_mul_f32 v[12:13], v[2:3], v[8:9] op_sel:[0,1]
	v_mov_b32_e32 v39, v8
	v_pk_fma_f32 v[64:65], v[2:3], v[8:9], v[12:13] op_sel:[0,0,1] op_sel_hi:[1,0,0] neg_lo:[0,0,1] neg_hi:[0,0,1]
	v_pk_fma_f32 v[66:67], v[2:3], v[8:9], v[12:13] op_sel:[0,0,1] op_sel_hi:[1,0,0]
	v_mul_f32_e32 v8, v2, v10
	s_waitcnt lgkmcnt(0)
	v_mul_f32_e32 v123, v27, v10
	v_mov_b32_e32 v38, v10
	v_mov_b32_e32 v94, v11
	;; [unrolled: 1-line block ×5, first 2 shown]
	ds_read2_b64 v[70:73], v80 offset0:128 offset1:144
	v_fma_f32 v66, -v3, v11, v8
	v_fmac_f32_e32 v123, v26, v11
	ds_read_b128 v[8:11], v81 offset:32
	ds_read_b128 v[20:23], v81 offset:1056
	v_mul_f32_e32 v122, v25, v18
	ds_read2_b64 v[86:89], v80 offset0:160 offset1:176
	v_mov_b32_e32 v44, v18
	v_mov_b32_e32 v45, v16
	;; [unrolled: 1-line block ×6, first 2 shown]
	v_fmac_f32_e32 v122, v24, v19
	ds_read_b128 v[16:19], v81 offset:48
	ds_read2_b64 v[90:93], v80 offset0:192 offset1:208
	s_waitcnt lgkmcnt(4)
	v_pk_mul_f32 v[12:13], v[8:9], v[70:71] op_sel:[0,1]
	v_mul_f32_e32 v121, v85, v14
	v_pk_fma_f32 v[98:99], v[8:9], v[70:71], v[12:13] op_sel:[0,0,1] op_sel_hi:[1,0,0] neg_lo:[0,0,1] neg_hi:[0,0,1]
	v_pk_fma_f32 v[100:101], v[8:9], v[70:71], v[12:13] op_sel:[0,0,1] op_sel_hi:[1,0,0]
	v_mul_f32_e32 v12, v8, v72
	v_mov_b32_e32 v48, v14
	v_mov_b32_e32 v52, v15
	;; [unrolled: 1-line block ×3, first 2 shown]
	v_fmac_f32_e32 v121, v84, v15
	v_fma_f32 v100, -v9, v73, v12
	ds_read_b128 v[12:15], v81 offset:1072
	s_waitcnt lgkmcnt(4)
	v_mul_f32_e32 v124, v21, v72
	v_mov_b32_e32 v60, v72
	v_mov_b32_e32 v68, v73
	;; [unrolled: 1-line block ×3, first 2 shown]
	v_fmac_f32_e32 v124, v20, v73
	s_waitcnt lgkmcnt(3)
	v_pk_mul_f32 v[72:73], v[10:11], v[86:87] op_sel:[0,1]
	v_mov_b32_e32 v69, v71
	v_mov_b32_e32 v62, v71
	;; [unrolled: 1-line block ×5, first 2 shown]
	v_pk_fma_f32 v[104:105], v[10:11], v[86:87], v[72:73] op_sel:[0,0,1] op_sel_hi:[1,0,0] neg_lo:[0,0,1] neg_hi:[0,0,1]
	v_pk_fma_f32 v[106:107], v[10:11], v[86:87], v[72:73] op_sel:[0,0,1] op_sel_hi:[1,0,0]
	v_mul_f32_e32 v41, v10, v88
	v_mul_f32_e32 v125, v23, v88
	s_waitcnt lgkmcnt(1)
	v_pk_mul_f32 v[86:87], v[16:17], v[90:91] op_sel:[0,1]
	v_mov_b32_e32 v61, v70
	v_mov_b32_e32 v70, v88
	;; [unrolled: 1-line block ×4, first 2 shown]
	v_fma_f32 v106, -v11, v89, v41
	v_fmac_f32_e32 v125, v22, v89
	v_mov_b32_e32 v73, v90
	v_mov_b32_e32 v77, v91
	;; [unrolled: 1-line block ×3, first 2 shown]
	v_pk_fma_f32 v[110:111], v[16:17], v[90:91], v[86:87] op_sel:[0,0,1] op_sel_hi:[1,0,0] neg_lo:[0,0,1] neg_hi:[0,0,1]
	v_pk_fma_f32 v[90:91], v[16:17], v[90:91], v[86:87] op_sel:[0,0,1] op_sel_hi:[1,0,0]
	ds_read2_b64 v[86:89], v80 offset1:16
	v_mul_f32_e32 v41, v16, v92
	s_waitcnt lgkmcnt(1)
	v_mul_f32_e32 v126, v13, v92
	v_mov_b32_e32 v72, v92
	v_mov_b32_e32 v76, v93
	;; [unrolled: 1-line block ×3, first 2 shown]
	v_fma_f32 v90, -v17, v93, v41
	v_fmac_f32_e32 v126, v12, v93
	s_waitcnt lgkmcnt(0)
	v_mov_b32_e32 v92, v89
	v_mov_b32_e32 v93, v87
	;; [unrolled: 1-line block ×4, first 2 shown]
	v_pk_mul_f32 v[116:117], v[4:5], v[86:87] op_sel:[0,1]
	v_pk_mul_f32 v[92:93], v[112:113], v[92:93]
	v_mov_b32_e32 v113, v86
	v_mov_b32_e32 v114, v87
	v_pk_fma_f32 v[118:119], v[4:5], v[86:87], v[116:117] op_sel:[0,0,1] op_sel_hi:[1,0,0] neg_lo:[0,0,1] neg_hi:[0,0,1]
	v_pk_fma_f32 v[86:87], v[4:5], v[86:87], v[116:117] op_sel:[0,0,1] op_sel_hi:[1,0,0]
	v_mul_f32_e32 v4, v4, v88
	v_fma_f32 v86, -v5, v89, v4
	v_mul_f32_e32 v116, v83, v88
	v_mov_b32_e32 v4, v5
	v_mov_b32_e32 v112, v88
	;; [unrolled: 1-line block ×3, first 2 shown]
	v_fmac_f32_e32 v116, v82, v89
	v_pk_fma_f32 v[88:89], v[4:5], v[88:89], v[92:93]
	v_mov_b32_e32 v5, v82
	v_pk_fma_f32 v[4:5], v[4:5], v[112:113], v[92:93] neg_lo:[0,0,1] neg_hi:[0,0,1]
	v_pk_mul_f32 v[92:93], v[82:83], v[112:113]
	v_pk_fma_f32 v[112:113], v[82:83], v[114:115], v[92:93] op_sel:[0,0,1] op_sel_hi:[1,1,0]
	v_pk_fma_f32 v[82:83], v[82:83], v[114:115], v[92:93] op_sel:[0,0,1] op_sel_hi:[1,1,0] neg_lo:[1,0,0] neg_hi:[1,0,0]
	v_pk_mul_f32 v[92:93], v[84:85], v[48:49]
	v_pk_fma_f32 v[114:115], v[84:85], v[54:55], v[92:93] op_sel:[0,0,1] op_sel_hi:[1,1,0]
	v_pk_fma_f32 v[54:55], v[84:85], v[54:55], v[92:93] op_sel:[0,0,1] op_sel_hi:[1,1,0] neg_lo:[1,0,0] neg_hi:[1,0,0]
	v_mov_b32_e32 v93, v84
	v_mov_b32_e32 v84, v6
	;; [unrolled: 1-line block ×4, first 2 shown]
	v_pk_mul_f32 v[6:7], v[84:85], v[52:53]
	v_pk_fma_f32 v[52:53], v[4:5], v[48:49], v[6:7]
	v_pk_fma_f32 v[6:7], v[92:93], v[48:49], v[6:7] neg_lo:[0,0,1] neg_hi:[0,0,1]
	buffer_load_dword v92, off, s[0:3], 0 offset:12
	buffer_load_dword v93, off, s[0:3], 0 offset:16
	buffer_load_dword v6, off, s[0:3], 0
	v_mov_b32_e32 v48, v0
	v_mov_b32_e32 v49, v25
	v_pk_mul_f32 v[48:49], v[48:49], v[50:51]
	v_mov_b32_e32 v0, v1
	v_mov_b32_e32 v50, v1
	v_mov_b32_e32 v51, v24
	v_pk_fma_f32 v[84:85], v[0:1], v[44:45], v[48:49]
	v_pk_mul_f32 v[0:1], v[24:25], v[44:45]
	v_pk_fma_f32 v[48:49], v[50:51], v[44:45], v[48:49] neg_lo:[0,0,1] neg_hi:[0,0,1]
	v_pk_fma_f32 v[44:45], v[24:25], v[46:47], v[0:1] op_sel:[0,0,1] op_sel_hi:[1,1,0]
	v_pk_fma_f32 v[24:25], v[24:25], v[46:47], v[0:1] op_sel:[0,0,1] op_sel_hi:[1,1,0] neg_lo:[1,0,0] neg_hi:[1,0,0]
	v_pk_mul_f32 v[0:1], v[26:27], v[38:39]
	v_pk_fma_f32 v[46:47], v[26:27], v[96:97], v[0:1] op_sel:[0,0,1] op_sel_hi:[1,1,0]
	v_pk_fma_f32 v[50:51], v[26:27], v[96:97], v[0:1] op_sel:[0,0,1] op_sel_hi:[1,1,0] neg_lo:[1,0,0] neg_hi:[1,0,0]
	v_mov_b32_e32 v1, v27
	v_mov_b32_e32 v0, v2
	;; [unrolled: 1-line block ×4, first 2 shown]
	v_pk_mul_f32 v[0:1], v[0:1], v[94:95]
	v_mov_b32_e32 v2, v3
	v_pk_fma_f32 v[26:27], v[26:27], v[38:39], v[0:1] neg_lo:[0,0,1] neg_hi:[0,0,1]
	v_pk_fma_f32 v[94:95], v[2:3], v[38:39], v[0:1]
	buffer_load_dword v26, off, s[0:3], 0 offset:20
	buffer_load_dword v38, off, s[0:3], 0 offset:4
	;; [unrolled: 1-line block ×3, first 2 shown]
	v_mov_b32_e32 v119, v87
	v_pk_add_f32 v[0:1], v[28:29], v[118:119]
	v_mov_b32_e32 v41, v43
	v_pk_add_f32 v[0:1], v[0:1], v[40:41]
	;; [unrolled: 2-line block ×5, first 2 shown]
	ds_read2_b64 v[0:3], v80 offset0:224 offset1:240
	v_mov_b32_e32 v113, v83
	v_mov_b32_e32 v115, v55
	;; [unrolled: 1-line block ×4, first 2 shown]
	s_waitcnt lgkmcnt(0)
	v_pk_mul_f32 v[40:41], v[18:19], v[0:1] op_sel:[0,1]
	v_pk_fma_f32 v[42:43], v[18:19], v[0:1], v[40:41] op_sel:[0,0,1] op_sel_hi:[1,0,0] neg_lo:[0,0,1] neg_hi:[0,0,1]
	v_pk_fma_f32 v[40:41], v[18:19], v[0:1], v[40:41] op_sel:[0,0,1] op_sel_hi:[1,0,0]
	v_mov_b32_e32 v43, v41
	v_pk_add_f32 v[28:29], v[28:29], v[104:105]
	v_mov_b32_e32 v111, v91
	v_pk_add_f32 v[28:29], v[28:29], v[110:111]
	;; [unrolled: 2-line block ×3, first 2 shown]
	v_mov_b32_e32 v42, v9
	v_mov_b32_e32 v89, v5
	;; [unrolled: 1-line block ×7, first 2 shown]
	v_add_co_u32_e32 v34, vcc, s8, v34
	s_add_u32 s10, s10, 8
	s_addc_u32 s11, s11, 0
	s_waitcnt vmcnt(4)
	v_pk_add_f32 v[40:41], v[92:93], v[112:113]
	v_pk_add_f32 v[40:41], v[40:41], v[114:115]
	;; [unrolled: 1-line block ×3, first 2 shown]
	v_mov_b32_e32 v40, v8
	v_mov_b32_e32 v41, v21
	v_pk_mul_f32 v[40:41], v[40:41], v[68:69]
	v_pk_fma_f32 v[8:9], v[4:5], v[60:61], v[40:41]
	s_waitcnt vmcnt(3)
	v_add_f32_e32 v4, v6, v86
	v_add_f32_e32 v4, v4, v120
	;; [unrolled: 1-line block ×6, first 2 shown]
	v_mul_f32_e32 v5, v18, v2
	v_add_f32_e32 v4, v4, v90
	v_fma_f32 v5, -v19, v3, v5
	v_pk_fma_f32 v[40:41], v[42:43], v[60:61], v[40:41] neg_lo:[0,0,1] neg_hi:[0,0,1]
	v_pk_mul_f32 v[42:43], v[20:21], v[60:61]
	v_add_f32_e32 v4, v4, v5
	v_pk_fma_f32 v[44:45], v[20:21], v[62:63], v[42:43] op_sel:[0,0,1] op_sel_hi:[1,1,0]
	v_pk_fma_f32 v[20:21], v[20:21], v[62:63], v[42:43] op_sel:[0,0,1] op_sel_hi:[1,1,0] neg_lo:[1,0,0] neg_hi:[1,0,0]
	buffer_store_dword v4, off, s[0:3], 0
	s_waitcnt vmcnt(3)
	v_add_f32_e32 v4, v26, v116
	v_pk_add_f32 v[24:25], v[24:25], v[46:47]
	v_mov_b32_e32 v45, v21
	v_add_f32_e32 v4, v4, v121
	v_pk_add_f32 v[20:21], v[24:25], v[44:45]
	v_pk_mul_f32 v[24:25], v[22:23], v[70:71]
	v_add_f32_e32 v4, v4, v122
	v_pk_fma_f32 v[42:43], v[22:23], v[102:103], v[24:25] op_sel:[0,0,1] op_sel_hi:[1,1,0]
	v_pk_fma_f32 v[24:25], v[22:23], v[102:103], v[24:25] op_sel:[0,0,1] op_sel_hi:[1,1,0] neg_lo:[1,0,0] neg_hi:[1,0,0]
	v_add_f32_e32 v4, v4, v123
	v_mov_b32_e32 v43, v25
	v_pk_mul_f32 v[24:25], v[12:13], v[72:73]
	v_add_f32_e32 v4, v4, v124
	v_pk_add_f32 v[20:21], v[20:21], v[42:43]
	v_pk_fma_f32 v[42:43], v[12:13], v[108:109], v[24:25] op_sel:[0,0,1] op_sel_hi:[1,1,0]
	v_pk_fma_f32 v[24:25], v[12:13], v[108:109], v[24:25] op_sel:[0,0,1] op_sel_hi:[1,1,0] neg_lo:[1,0,0] neg_hi:[1,0,0]
	v_add_f32_e32 v4, v4, v125
	v_mov_b32_e32 v43, v25
	v_add_f32_e32 v25, v4, v126
	s_waitcnt vmcnt(1)
	v_pk_add_f32 v[4:5], v[38:39], v[88:89]
	v_pk_add_f32 v[4:5], v[4:5], v[52:53]
	;; [unrolled: 1-line block ×4, first 2 shown]
	v_mov_b32_e32 v9, v41
	v_pk_add_f32 v[4:5], v[4:5], v[8:9]
	v_mov_b32_e32 v8, v10
	v_mov_b32_e32 v9, v23
	;; [unrolled: 1-line block ×3, first 2 shown]
	v_pk_mul_f32 v[8:9], v[8:9], v[74:75]
	v_mov_b32_e32 v10, v11
	v_mov_b32_e32 v11, v22
	v_pk_fma_f32 v[6:7], v[6:7], v[70:71], v[8:9]
	v_pk_fma_f32 v[8:9], v[10:11], v[70:71], v[8:9] neg_lo:[0,0,1] neg_hi:[0,0,1]
	v_mov_b32_e32 v7, v9
	v_pk_add_f32 v[4:5], v[4:5], v[6:7]
	v_mov_b32_e32 v6, v16
	v_mov_b32_e32 v7, v13
	;; [unrolled: 1-line block ×3, first 2 shown]
	v_pk_mul_f32 v[6:7], v[6:7], v[76:77]
	v_mov_b32_e32 v8, v17
	v_mov_b32_e32 v9, v12
	v_pk_fma_f32 v[10:11], v[24:25], v[72:73], v[6:7]
	v_pk_fma_f32 v[6:7], v[8:9], v[72:73], v[6:7] neg_lo:[0,0,1] neg_hi:[0,0,1]
	v_mov_b32_e32 v38, v3
	v_mov_b32_e32 v39, v1
	;; [unrolled: 1-line block ×9, first 2 shown]
	v_pk_mul_f32 v[8:9], v[18:19], v[38:39]
	v_pk_add_f32 v[20:21], v[20:21], v[42:43]
	v_mov_b32_e32 v42, v1
	v_pk_fma_f32 v[0:1], v[0:1], v[44:45], v[8:9]
	v_pk_fma_f32 v[6:7], v[6:7], v[44:45], v[8:9] neg_lo:[0,0,1] neg_hi:[0,0,1]
	v_pk_add_f32 v[4:5], v[4:5], v[10:11]
	v_mov_b32_e32 v1, v7
	v_pk_add_f32 v[0:1], v[4:5], v[0:1]
	v_mov_b32_e32 v43, v3
	buffer_store_dword v1, off, s[0:3], 0 offset:8
	buffer_store_dword v0, off, s[0:3], 0 offset:4
	v_pk_mul_f32 v[0:1], v[14:15], v[44:45]
	v_pk_fma_f32 v[4:5], v[14:15], v[42:43], v[0:1] op_sel:[0,0,1] op_sel_hi:[1,1,0]
	v_pk_fma_f32 v[0:1], v[14:15], v[42:43], v[0:1] op_sel:[0,0,1] op_sel_hi:[1,1,0] neg_lo:[1,0,0] neg_hi:[1,0,0]
	v_mov_b32_e32 v5, v1
	v_mul_f32_e32 v2, v15, v2
	v_fmac_f32_e32 v2, v14, v3
	v_pk_add_f32 v[0:1], v[20:21], v[4:5]
	v_add_f32_e32 v2, v25, v2
	buffer_store_dword v0, off, s[0:3], 0 offset:12
	buffer_store_dword v1, off, s[0:3], 0 offset:16
	;; [unrolled: 1-line block ×3, first 2 shown]
	v_mov_b32_e32 v0, s9
	v_addc_co_u32_e32 v35, vcc, v35, v0, vcc
	v_add_co_u32_e32 v36, vcc, 64, v36
	v_addc_co_u32_e32 v37, vcc, 0, v37, vcc
	v_pk_mov_b32 v[0:1], s[16:17], s[16:17] op_sel:[0,1]
	v_cmp_lt_i64_e32 vcc, s[10:11], v[0:1]
	s_barrier
	s_cbranch_vccz .LBB255_7
.LBB255_3:                              ; =>This Inner Loop Header: Depth=1
	v_mov_b32_e32 v1, s11
	v_add_co_u32_e32 v0, vcc, s10, v30
	v_addc_co_u32_e32 v1, vcc, 0, v1, vcc
	v_cmp_gt_i64_e32 vcc, s[16:17], v[0:1]
	s_and_b64 s[22:23], s[4:5], vcc
	v_mov_b32_e32 v0, 0
	v_mov_b32_e32 v1, 0
	s_and_saveexec_b64 s[20:21], s[22:23]
	s_cbranch_execz .LBB255_5
; %bb.4:                                ;   in Loop: Header=BB255_3 Depth=1
	global_load_dwordx2 v[0:1], v[36:37], off
.LBB255_5:                              ;   in Loop: Header=BB255_3 Depth=1
	s_or_b64 exec, exec, s[20:21]
	s_waitcnt vmcnt(0)
	ds_write_b64 v78, v[0:1]
	v_mov_b32_e32 v1, s11
	v_add_co_u32_e32 v0, vcc, s10, v32
	v_addc_co_u32_e32 v1, vcc, 0, v1, vcc
	v_cmp_gt_i64_e32 vcc, s[16:17], v[0:1]
	s_and_b64 s[22:23], vcc, s[6:7]
	v_mov_b32_e32 v0, 0
	v_mov_b32_e32 v1, 0
	s_and_saveexec_b64 s[20:21], s[22:23]
	s_cbranch_execz .LBB255_2
; %bb.6:                                ;   in Loop: Header=BB255_3 Depth=1
	global_load_dwordx2 v[0:1], v[34:35], off
	s_branch .LBB255_2
.LBB255_7:
	s_lshl_b64 s[4:5], s[30:31], 3
	s_waitcnt lgkmcnt(0)
	s_add_u32 s20, s44, s4
	s_addc_u32 s21, s45, s5
	v_mov_b32_e32 v1, s47
	v_add_co_u32_e32 v0, vcc, s46, v33
	s_or_b32 s4, s34, s35
	v_addc_co_u32_e32 v1, vcc, 0, v1, vcc
	s_bitset0_b32 s4, 31
	s_cmp_lg_u32 s4, 0
	v_cmp_gt_i64_e64 s[4:5], s[14:15], v[0:1]
	s_mov_b64 s[6:7], -1
	s_cbranch_scc1 .LBB255_19
; %bb.8:
	s_and_saveexec_b64 s[10:11], s[4:5]
	s_cbranch_execz .LBB255_18
; %bb.9:
	v_mov_b32_e32 v2, s43
	v_add_co_u32_e32 v4, vcc, s42, v31
	v_addc_co_u32_e32 v5, vcc, 0, v2, vcc
	v_mul_lo_u32 v6, v1, s28
	v_mul_lo_u32 v7, v0, s29
	v_mad_u64_u32 v[2:3], s[6:7], v0, s28, 0
	v_add3_u32 v3, v3, v7, v6
	v_lshlrev_b64 v[2:3], 3, v[2:3]
	v_mov_b32_e32 v7, s21
	v_add_co_u32_e64 v6, s[6:7], s20, v2
	v_cmp_gt_i64_e32 vcc, s[12:13], v[4:5]
	v_addc_co_u32_e64 v7, s[6:7], v7, v3, s[6:7]
	v_lshlrev_b64 v[2:3], 3, v[4:5]
	s_and_saveexec_b64 s[8:9], vcc
	s_cbranch_execz .LBB255_11
; %bb.10:
	v_mul_f32_e32 v8, s19, v29
	v_mul_f32_e32 v9, s18, v29
	v_add_co_u32_e64 v10, s[6:7], v6, v2
	v_fma_f32 v8, v28, s18, -v8
	v_fmac_f32_e32 v9, s19, v28
	v_addc_co_u32_e64 v11, s[6:7], v7, v3, s[6:7]
	global_store_dwordx2 v[10:11], v[8:9], off
.LBB255_11:
	s_or_b64 exec, exec, s[8:9]
	v_add_co_u32_e64 v4, s[6:7], 16, v4
	v_addc_co_u32_e64 v5, s[6:7], 0, v5, s[6:7]
	v_cmp_gt_i64_e64 s[6:7], s[12:13], v[4:5]
	s_and_saveexec_b64 s[16:17], s[6:7]
	s_cbranch_execz .LBB255_13
; %bb.12:
	buffer_load_dword v4, off, s[0:3], 0 offset:4
	buffer_load_dword v8, off, s[0:3], 0
	s_waitcnt vmcnt(1)
	v_mul_f32_e32 v9, s19, v4
	v_mul_f32_e32 v5, s18, v4
	s_waitcnt vmcnt(0)
	v_fma_f32 v4, v8, s18, -v9
	v_fmac_f32_e32 v5, s19, v8
	v_add_co_u32_e64 v8, s[8:9], v6, v2
	v_addc_co_u32_e64 v9, s[8:9], v7, v3, s[8:9]
	global_store_dwordx2 v[8:9], v[4:5], off offset:128
.LBB255_13:
	s_or_b64 exec, exec, s[16:17]
	v_add_co_u32_e64 v4, s[8:9], 16, v0
	v_addc_co_u32_e64 v5, s[8:9], 0, v1, s[8:9]
	v_cmp_gt_i64_e64 s[8:9], s[14:15], v[4:5]
	s_and_b64 exec, exec, s[8:9]
	s_cbranch_execz .LBB255_18
; %bb.14:
	buffer_load_dword v4, off, s[0:3], 0 offset:16
	buffer_load_dword v5, off, s[0:3], 0 offset:20
	s_lshl_b64 s[8:9], s[28:29], 7
	v_mov_b32_e32 v8, s9
	v_add_co_u32_e64 v6, s[8:9], s8, v6
	v_addc_co_u32_e64 v7, s[8:9], v7, v8, s[8:9]
	v_add_co_u32_e64 v2, s[8:9], v6, v2
	v_addc_co_u32_e64 v3, s[8:9], v7, v3, s[8:9]
	s_and_saveexec_b64 s[8:9], vcc
	s_cbranch_execz .LBB255_16
; %bb.15:
	buffer_load_dword v6, off, s[0:3], 0 offset:12
	buffer_load_dword v8, off, s[0:3], 0 offset:8
	s_waitcnt vmcnt(1)
	v_mul_f32_e32 v9, s19, v6
	v_mul_f32_e32 v7, s18, v6
	s_waitcnt vmcnt(0)
	v_fma_f32 v6, v8, s18, -v9
	v_fmac_f32_e32 v7, s19, v8
	global_store_dwordx2 v[2:3], v[6:7], off
.LBB255_16:
	s_or_b64 exec, exec, s[8:9]
	s_and_b64 exec, exec, s[6:7]
	s_cbranch_execz .LBB255_18
; %bb.17:
	s_waitcnt vmcnt(0)
	v_mul_f32_e32 v6, s19, v5
	v_mul_f32_e32 v7, s18, v5
	v_fma_f32 v6, v4, s18, -v6
	v_fmac_f32_e32 v7, s19, v4
	global_store_dwordx2 v[2:3], v[6:7], off offset:128
.LBB255_18:
	s_or_b64 exec, exec, s[10:11]
	s_mov_b64 s[6:7], 0
.LBB255_19:
	s_andn2_b64 vcc, exec, s[6:7]
	s_cbranch_vccnz .LBB255_30
; %bb.20:
	s_and_saveexec_b64 s[6:7], s[4:5]
	s_cbranch_execz .LBB255_30
; %bb.21:
	s_lshl_b64 s[4:5], s[40:41], 3
	s_add_u32 s6, s36, s4
	v_mov_b32_e32 v2, s43
	s_waitcnt vmcnt(1)
	v_add_co_u32_e32 v4, vcc, s42, v31
	s_addc_u32 s7, s37, s5
	s_waitcnt vmcnt(0)
	v_addc_co_u32_e32 v5, vcc, 0, v2, vcc
	v_mul_lo_u32 v6, v1, s38
	v_mul_lo_u32 v7, v0, s39
	v_mad_u64_u32 v[2:3], s[4:5], v0, s38, 0
	v_add3_u32 v3, v3, v7, v6
	v_mul_lo_u32 v6, v1, s28
	v_mul_lo_u32 v7, v0, s29
	v_mad_u64_u32 v[8:9], s[4:5], v0, s28, 0
	v_lshlrev_b64 v[2:3], 3, v[2:3]
	v_add3_u32 v9, v9, v7, v6
	v_mov_b32_e32 v7, s7
	v_add_co_u32_e64 v6, s[4:5], s6, v2
	v_addc_co_u32_e64 v7, s[4:5], v7, v3, s[4:5]
	v_lshlrev_b64 v[2:3], 3, v[8:9]
	v_mov_b32_e32 v9, s21
	v_add_co_u32_e64 v8, s[4:5], s20, v2
	v_cmp_gt_i64_e32 vcc, s[12:13], v[4:5]
	v_addc_co_u32_e64 v9, s[4:5], v9, v3, s[4:5]
	v_lshlrev_b64 v[2:3], 3, v[4:5]
	s_and_saveexec_b64 s[6:7], vcc
	s_cbranch_execz .LBB255_23
; %bb.22:
	v_add_co_u32_e64 v10, s[4:5], v6, v2
	v_addc_co_u32_e64 v11, s[4:5], v7, v3, s[4:5]
	global_load_dwordx2 v[10:11], v[10:11], off
	v_mul_f32_e32 v12, s19, v29
	v_mul_f32_e32 v13, s18, v29
	v_fma_f32 v12, v28, s18, -v12
	v_fmac_f32_e32 v13, s19, v28
	s_waitcnt vmcnt(0)
	v_mul_f32_e32 v14, s35, v11
	v_mul_f32_e32 v11, s34, v11
	v_fma_f32 v14, v10, s34, -v14
	v_fmac_f32_e32 v11, s35, v10
	v_add_f32_e32 v10, v12, v14
	v_add_co_u32_e64 v12, s[4:5], v8, v2
	v_add_f32_e32 v11, v13, v11
	v_addc_co_u32_e64 v13, s[4:5], v9, v3, s[4:5]
	global_store_dwordx2 v[12:13], v[10:11], off
.LBB255_23:
	s_or_b64 exec, exec, s[6:7]
	v_add_co_u32_e64 v4, s[4:5], 16, v4
	v_addc_co_u32_e64 v5, s[4:5], 0, v5, s[4:5]
	v_cmp_gt_i64_e64 s[4:5], s[12:13], v[4:5]
	s_and_saveexec_b64 s[8:9], s[4:5]
	s_cbranch_execz .LBB255_25
; %bb.24:
	v_add_co_u32_e64 v4, s[6:7], v6, v2
	buffer_load_dword v10, off, s[0:3], 0
	buffer_load_dword v11, off, s[0:3], 0 offset:4
	v_addc_co_u32_e64 v5, s[6:7], v7, v3, s[6:7]
	global_load_dwordx2 v[4:5], v[4:5], off offset:128
	s_waitcnt vmcnt(1)
	v_mul_f32_e32 v12, s19, v11
	v_mul_f32_e32 v11, s18, v11
	v_fma_f32 v12, v10, s18, -v12
	v_fmac_f32_e32 v11, s19, v10
	s_waitcnt vmcnt(0)
	v_mul_f32_e32 v10, s35, v5
	v_mul_f32_e32 v5, s34, v5
	v_fma_f32 v10, v4, s34, -v10
	v_fmac_f32_e32 v5, s35, v4
	v_add_f32_e32 v4, v12, v10
	v_add_co_u32_e64 v10, s[6:7], v8, v2
	v_add_f32_e32 v5, v11, v5
	v_addc_co_u32_e64 v11, s[6:7], v9, v3, s[6:7]
	global_store_dwordx2 v[10:11], v[4:5], off offset:128
.LBB255_25:
	s_or_b64 exec, exec, s[8:9]
	v_add_co_u32_e64 v0, s[6:7], 16, v0
	v_addc_co_u32_e64 v1, s[6:7], 0, v1, s[6:7]
	v_cmp_gt_i64_e64 s[6:7], s[14:15], v[0:1]
	s_and_b64 exec, exec, s[6:7]
	s_cbranch_execz .LBB255_30
; %bb.26:
	buffer_load_dword v10, off, s[0:3], 0 offset:16
	buffer_load_dword v11, off, s[0:3], 0 offset:20
	s_lshl_b64 s[6:7], s[38:39], 7
	v_mov_b32_e32 v0, s7
	v_add_co_u32_e64 v1, s[6:7], s6, v6
	v_addc_co_u32_e64 v0, s[6:7], v7, v0, s[6:7]
	s_lshl_b64 s[6:7], s[28:29], 7
	v_mov_b32_e32 v4, s7
	v_add_co_u32_e64 v6, s[6:7], s6, v8
	v_addc_co_u32_e64 v7, s[6:7], v9, v4, s[6:7]
	v_add_co_u32_e64 v4, s[6:7], v1, v2
	v_addc_co_u32_e64 v5, s[6:7], v0, v3, s[6:7]
	;; [unrolled: 2-line block ×3, first 2 shown]
	s_and_saveexec_b64 s[6:7], vcc
	s_cbranch_execz .LBB255_28
; %bb.27:
	buffer_load_dword v6, off, s[0:3], 0 offset:12
	buffer_load_dword v7, off, s[0:3], 0 offset:8
	global_load_dwordx2 v[2:3], v[4:5], off
	s_waitcnt vmcnt(2)
	v_mul_f32_e32 v8, s19, v6
	v_mul_f32_e32 v6, s18, v6
	s_waitcnt vmcnt(0)
	v_mul_f32_e32 v9, s35, v3
	v_mul_f32_e32 v3, s34, v3
	v_fma_f32 v8, v7, s18, -v8
	v_fmac_f32_e32 v6, s19, v7
	v_fma_f32 v7, v2, s34, -v9
	v_fmac_f32_e32 v3, s35, v2
	v_add_f32_e32 v2, v8, v7
	v_add_f32_e32 v3, v6, v3
	global_store_dwordx2 v[0:1], v[2:3], off
.LBB255_28:
	s_or_b64 exec, exec, s[6:7]
	s_and_b64 exec, exec, s[4:5]
	s_cbranch_execz .LBB255_30
; %bb.29:
	global_load_dwordx2 v[2:3], v[4:5], off offset:128
	s_waitcnt vmcnt(1)
	v_mul_f32_e32 v4, s19, v11
	v_mul_f32_e32 v5, s18, v11
	v_fma_f32 v4, v10, s18, -v4
	v_fmac_f32_e32 v5, s19, v10
	s_waitcnt vmcnt(0)
	v_mul_f32_e32 v6, s35, v3
	v_mul_f32_e32 v3, s34, v3
	v_fma_f32 v6, v2, s34, -v6
	v_fmac_f32_e32 v3, s35, v2
	v_add_f32_e32 v2, v4, v6
	v_add_f32_e32 v3, v5, v3
	global_store_dwordx2 v[0:1], v[2:3], off offset:128
.LBB255_30:
	s_endpgm
	.section	.rodata,"a",@progbits
	.p2align	6, 0x0
	.amdhsa_kernel _ZN12_GLOBAL__N_135rocblas_gemm_batched_general_kernelI19rocblas_complex_numIfELi16ELi16ELi32ELi32ELi8ELi32ELi8ELi8ELi32ELc84ELc84EKPKS2_S5_KPS2_EEvlllT_PT11_llSA_llS8_PT12_llPT13_lli
		.amdhsa_group_segment_fixed_size 4096
		.amdhsa_private_segment_fixed_size 32
		.amdhsa_kernarg_size 140
		.amdhsa_user_sgpr_count 8
		.amdhsa_user_sgpr_private_segment_buffer 1
		.amdhsa_user_sgpr_dispatch_ptr 0
		.amdhsa_user_sgpr_queue_ptr 0
		.amdhsa_user_sgpr_kernarg_segment_ptr 1
		.amdhsa_user_sgpr_dispatch_id 0
		.amdhsa_user_sgpr_flat_scratch_init 1
		.amdhsa_user_sgpr_kernarg_preload_length 0
		.amdhsa_user_sgpr_kernarg_preload_offset 0
		.amdhsa_user_sgpr_private_segment_size 0
		.amdhsa_uses_dynamic_stack 0
		.amdhsa_system_sgpr_private_segment_wavefront_offset 1
		.amdhsa_system_sgpr_workgroup_id_x 1
		.amdhsa_system_sgpr_workgroup_id_y 1
		.amdhsa_system_sgpr_workgroup_id_z 1
		.amdhsa_system_sgpr_workgroup_info 0
		.amdhsa_system_vgpr_workitem_id 1
		.amdhsa_next_free_vgpr 127
		.amdhsa_next_free_sgpr 52
		.amdhsa_accum_offset 128
		.amdhsa_reserve_vcc 1
		.amdhsa_reserve_flat_scratch 0
		.amdhsa_float_round_mode_32 0
		.amdhsa_float_round_mode_16_64 0
		.amdhsa_float_denorm_mode_32 3
		.amdhsa_float_denorm_mode_16_64 3
		.amdhsa_dx10_clamp 1
		.amdhsa_ieee_mode 1
		.amdhsa_fp16_overflow 0
		.amdhsa_tg_split 0
		.amdhsa_exception_fp_ieee_invalid_op 0
		.amdhsa_exception_fp_denorm_src 0
		.amdhsa_exception_fp_ieee_div_zero 0
		.amdhsa_exception_fp_ieee_overflow 0
		.amdhsa_exception_fp_ieee_underflow 0
		.amdhsa_exception_fp_ieee_inexact 0
		.amdhsa_exception_int_div_zero 0
	.end_amdhsa_kernel
	.section	.text._ZN12_GLOBAL__N_135rocblas_gemm_batched_general_kernelI19rocblas_complex_numIfELi16ELi16ELi32ELi32ELi8ELi32ELi8ELi8ELi32ELc84ELc84EKPKS2_S5_KPS2_EEvlllT_PT11_llSA_llS8_PT12_llPT13_lli,"axG",@progbits,_ZN12_GLOBAL__N_135rocblas_gemm_batched_general_kernelI19rocblas_complex_numIfELi16ELi16ELi32ELi32ELi8ELi32ELi8ELi8ELi32ELc84ELc84EKPKS2_S5_KPS2_EEvlllT_PT11_llSA_llS8_PT12_llPT13_lli,comdat
.Lfunc_end255:
	.size	_ZN12_GLOBAL__N_135rocblas_gemm_batched_general_kernelI19rocblas_complex_numIfELi16ELi16ELi32ELi32ELi8ELi32ELi8ELi8ELi32ELc84ELc84EKPKS2_S5_KPS2_EEvlllT_PT11_llSA_llS8_PT12_llPT13_lli, .Lfunc_end255-_ZN12_GLOBAL__N_135rocblas_gemm_batched_general_kernelI19rocblas_complex_numIfELi16ELi16ELi32ELi32ELi8ELi32ELi8ELi8ELi32ELc84ELc84EKPKS2_S5_KPS2_EEvlllT_PT11_llSA_llS8_PT12_llPT13_lli
                                        ; -- End function
	.section	.AMDGPU.csdata,"",@progbits
; Kernel info:
; codeLenInByte = 3708
; NumSgprs: 56
; NumVgprs: 127
; NumAgprs: 0
; TotalNumVgprs: 127
; ScratchSize: 32
; MemoryBound: 0
; FloatMode: 240
; IeeeMode: 1
; LDSByteSize: 4096 bytes/workgroup (compile time only)
; SGPRBlocks: 6
; VGPRBlocks: 15
; NumSGPRsForWavesPerEU: 56
; NumVGPRsForWavesPerEU: 127
; AccumOffset: 128
; Occupancy: 4
; WaveLimiterHint : 1
; COMPUTE_PGM_RSRC2:SCRATCH_EN: 1
; COMPUTE_PGM_RSRC2:USER_SGPR: 8
; COMPUTE_PGM_RSRC2:TRAP_HANDLER: 0
; COMPUTE_PGM_RSRC2:TGID_X_EN: 1
; COMPUTE_PGM_RSRC2:TGID_Y_EN: 1
; COMPUTE_PGM_RSRC2:TGID_Z_EN: 1
; COMPUTE_PGM_RSRC2:TIDIG_COMP_CNT: 1
; COMPUTE_PGM_RSRC3_GFX90A:ACCUM_OFFSET: 31
; COMPUTE_PGM_RSRC3_GFX90A:TG_SPLIT: 0
	.section	.text._ZN12_GLOBAL__N_135rocblas_gemm_batched_general_kernelI19rocblas_complex_numIfELi16ELi16ELi32ELi32ELi8ELi32ELi8ELi8ELi32ELc67ELc67EKPKS2_S5_KPS2_EEvlllT_PT11_llSA_llS8_PT12_llPT13_lli,"axG",@progbits,_ZN12_GLOBAL__N_135rocblas_gemm_batched_general_kernelI19rocblas_complex_numIfELi16ELi16ELi32ELi32ELi8ELi32ELi8ELi8ELi32ELc67ELc67EKPKS2_S5_KPS2_EEvlllT_PT11_llSA_llS8_PT12_llPT13_lli,comdat
	.globl	_ZN12_GLOBAL__N_135rocblas_gemm_batched_general_kernelI19rocblas_complex_numIfELi16ELi16ELi32ELi32ELi8ELi32ELi8ELi8ELi32ELc67ELc67EKPKS2_S5_KPS2_EEvlllT_PT11_llSA_llS8_PT12_llPT13_lli ; -- Begin function _ZN12_GLOBAL__N_135rocblas_gemm_batched_general_kernelI19rocblas_complex_numIfELi16ELi16ELi32ELi32ELi8ELi32ELi8ELi8ELi32ELc67ELc67EKPKS2_S5_KPS2_EEvlllT_PT11_llSA_llS8_PT12_llPT13_lli
	.p2align	8
	.type	_ZN12_GLOBAL__N_135rocblas_gemm_batched_general_kernelI19rocblas_complex_numIfELi16ELi16ELi32ELi32ELi8ELi32ELi8ELi8ELi32ELc67ELc67EKPKS2_S5_KPS2_EEvlllT_PT11_llSA_llS8_PT12_llPT13_lli,@function
_ZN12_GLOBAL__N_135rocblas_gemm_batched_general_kernelI19rocblas_complex_numIfELi16ELi16ELi32ELi32ELi8ELi32ELi8ELi8ELi32ELc67ELc67EKPKS2_S5_KPS2_EEvlllT_PT11_llSA_llS8_PT12_llPT13_lli: ; @_ZN12_GLOBAL__N_135rocblas_gemm_batched_general_kernelI19rocblas_complex_numIfELi16ELi16ELi32ELi32ELi8ELi32ELi8ELi8ELi32ELc67ELc67EKPKS2_S5_KPS2_EEvlllT_PT11_llSA_llS8_PT12_llPT13_lli
; %bb.0:
	s_load_dwordx16 s[12:27], s[4:5], 0x0
	s_load_dwordx4 s[28:31], s[4:5], 0x78
	s_load_dwordx8 s[36:43], s[4:5], 0x58
	s_load_dwordx2 s[34:35], s[4:5], 0x50
	s_add_u32 s0, s0, s11
	s_mov_b32 s11, 0
	s_addc_u32 s1, s1, 0
	s_lshl_b64 s[48:49], s[10:11], 3
	s_waitcnt lgkmcnt(0)
	s_add_u32 s10, s36, s48
	s_addc_u32 s11, s37, s49
	s_load_dwordx2 s[36:37], s[10:11], 0x0
	s_add_u32 s10, s42, s48
	s_addc_u32 s11, s43, s49
	s_load_dwordx2 s[44:45], s[10:11], 0x0
	s_mov_b32 s6, s9
	s_ashr_i32 s9, s8, 31
	s_lshl_b64 s[42:43], s[8:9], 5
	s_ashr_i32 s7, s6, 31
	v_cmp_lt_i64_e64 s[8:9], s[16:17], 1
	v_and_b32_e32 v31, 0x3ff, v0
	v_bfe_u32 v33, v0, 10, 10
	v_mov_b32_e32 v78, 0
	s_lshl_b64 s[46:47], s[6:7], 5
	s_and_b64 vcc, exec, s[8:9]
	buffer_store_dword v78, off, s[0:3], 0 offset:4
	buffer_store_dword v78, off, s[0:3], 0
	buffer_store_dword v78, off, s[0:3], 0 offset:12
	buffer_store_dword v78, off, s[0:3], 0 offset:8
	;; [unrolled: 1-line block ×4, first 2 shown]
	s_cbranch_vccnz .LBB256_11
; %bb.1:
	s_load_dwordx4 s[8:11], s[4:5], 0x40
	s_add_u32 s4, s20, s48
	v_lshl_add_u32 v4, v33, 4, v31
	s_addc_u32 s5, s21, s49
	v_lshrrev_b32_e32 v5, 3, v4
	s_load_dwordx2 s[20:21], s[4:5], 0x0
	s_add_u32 s4, s26, s48
	v_mov_b32_e32 v1, s47
	v_add_co_u32_e32 v0, vcc, s46, v5
	s_addc_u32 s5, s27, s49
	v_and_b32_e32 v32, 7, v31
	v_addc_co_u32_e32 v1, vcc, 0, v1, vcc
	s_load_dwordx2 s[26:27], s[4:5], 0x0
	v_cmp_gt_i64_e64 s[4:5], s[14:15], v[0:1]
	v_lshlrev_b32_e32 v0, 3, v32
	v_and_b32_e32 v6, 31, v4
	v_lshl_or_b32 v0, v5, 6, v0
	v_mov_b32_e32 v3, s43
	v_or_b32_e32 v2, s42, v6
	v_add_u32_e32 v80, 0x800, v0
	v_mov_b32_e32 v0, 0x800
	v_lshrrev_b32_e32 v30, 5, v4
	v_cmp_gt_i64_e32 vcc, s[12:13], v[2:3]
	v_lshlrev_b32_e32 v2, 3, v6
	v_lshl_add_u32 v82, v33, 6, v0
	s_waitcnt lgkmcnt(0)
	v_mad_u64_u32 v[0:1], s[48:49], s8, v32, 0
	v_lshl_or_b32 v79, v30, 8, v2
	v_mov_b32_e32 v2, v1
	v_mad_u64_u32 v[2:3], s[48:49], s9, v32, v[2:3]
	s_lshl_b64 s[6:7], s[6:7], 8
	s_lshl_b64 s[10:11], s[10:11], 3
	v_mov_b32_e32 v1, v2
	s_add_u32 s6, s10, s6
	v_lshlrev_b64 v[0:1], 3, v[0:1]
	s_addc_u32 s7, s11, s7
	v_mov_b32_e32 v2, s7
	v_add_co_u32_e64 v0, s[6:7], s6, v0
	v_addc_co_u32_e64 v1, s[6:7], v2, v1, s[6:7]
	v_and_b32_e32 v2, 0x7ff8, v4
	v_add_co_u32_e64 v0, s[6:7], v0, v2
	v_addc_co_u32_e64 v1, s[6:7], 0, v1, s[6:7]
	v_mov_b32_e32 v2, s27
	v_add_co_u32_e64 v0, s[6:7], s26, v0
	v_addc_co_u32_e64 v1, s[6:7], v1, v2, s[6:7]
	v_add_co_u32_e64 v34, s[6:7], 4, v0
	v_addc_co_u32_e64 v35, s[6:7], 0, v1, s[6:7]
	v_mov_b32_e32 v0, s43
	v_add_co_u32_e64 v1, s[6:7], s42, v6
	v_addc_co_u32_e64 v0, s[6:7], 0, v0, s[6:7]
	v_mul_lo_u32 v2, s23, v1
	v_mul_lo_u32 v3, s22, v0
	v_mad_u64_u32 v[0:1], s[6:7], s22, v1, 0
	v_add3_u32 v1, v1, v3, v2
	v_lshlrev_b64 v[0:1], 3, v[0:1]
	s_lshl_b64 s[6:7], s[24:25], 3
	v_mov_b32_e32 v2, s7
	v_add_co_u32_e64 v0, s[6:7], s6, v0
	v_addc_co_u32_e64 v1, s[6:7], v1, v2, s[6:7]
	v_lshlrev_b32_e32 v2, 3, v30
	v_add_co_u32_e64 v0, s[6:7], v0, v2
	v_addc_co_u32_e64 v1, s[6:7], 0, v1, s[6:7]
	v_mov_b32_e32 v2, s21
	v_add_co_u32_e64 v0, s[6:7], s20, v0
	v_addc_co_u32_e64 v1, s[6:7], v1, v2, s[6:7]
	v_add_co_u32_e64 v36, s[6:7], 4, v0
	v_mov_b32_e32 v28, 0
	v_addc_co_u32_e64 v37, s[6:7], 0, v1, s[6:7]
	v_lshlrev_b32_e32 v81, 3, v31
	s_lshl_b64 s[8:9], s[8:9], 6
	s_mov_b64 s[6:7], 0
	s_xor_b64 s[10:11], vcc, -1
	s_xor_b64 s[4:5], s[4:5], -1
	v_mov_b32_e32 v29, v28
	s_branch .LBB256_3
.LBB256_2:                              ;   in Loop: Header=BB256_3 Depth=1
	s_or_b64 exec, exec, s[20:21]
	ds_write_b32 v80, v0 offset:4
	s_waitcnt lgkmcnt(0)
	s_barrier
	ds_read2_b64 v[12:15], v81 offset0:32 offset1:48
	ds_read2_b64 v[16:19], v81 offset0:64 offset1:80
	;; [unrolled: 1-line block ×3, first 2 shown]
	ds_read_b128 v[4:7], v82
	ds_read_b128 v[0:3], v82 offset:16
	ds_read_b128 v[84:87], v82 offset:1024
	ds_read_b128 v[24:27], v82 offset:1040
	s_waitcnt lgkmcnt(6)
	v_mov_b32_e32 v49, v12
	s_waitcnt lgkmcnt(3)
	v_pk_mul_f32 v[20:21], v[6:7], v[12:13] op_sel:[0,1]
	v_pk_fma_f32 v[40:41], v[6:7], v[12:13], v[20:21] op_sel:[0,0,1] op_sel_hi:[1,0,0] neg_lo:[0,0,1] neg_hi:[0,0,1]
	v_pk_fma_f32 v[42:43], v[6:7], v[12:13], v[20:21] op_sel:[0,0,1] op_sel_hi:[1,0,0]
	v_mul_f32_e32 v12, v6, v14
	v_mov_b32_e32 v53, v13
	v_mov_b32_e32 v54, v13
	v_fma_f32 v83, -v7, v15, v12
	s_waitcnt lgkmcnt(2)
	v_pk_mul_f32 v[12:13], v[0:1], v[16:17] op_sel:[0,1]
	v_pk_fma_f32 v[56:57], v[0:1], v[16:17], v[12:13] op_sel:[0,0,1] op_sel_hi:[1,0,0] neg_lo:[0,0,1] neg_hi:[0,0,1]
	v_pk_fma_f32 v[58:59], v[0:1], v[16:17], v[12:13] op_sel:[0,0,1] op_sel_hi:[1,0,0]
	v_mul_f32_e32 v12, v0, v18
	v_fma_f32 v58, -v1, v19, v12
	v_pk_mul_f32 v[12:13], v[2:3], v[8:9] op_sel:[0,1]
	v_mov_b32_e32 v39, v8
	v_pk_fma_f32 v[64:65], v[2:3], v[8:9], v[12:13] op_sel:[0,0,1] op_sel_hi:[1,0,0] neg_lo:[0,0,1] neg_hi:[0,0,1]
	v_pk_fma_f32 v[66:67], v[2:3], v[8:9], v[12:13] op_sel:[0,0,1] op_sel_hi:[1,0,0]
	v_mul_f32_e32 v8, v2, v10
	s_waitcnt lgkmcnt(0)
	v_mul_f32_e32 v124, v27, v10
	v_mov_b32_e32 v38, v10
	v_mov_b32_e32 v96, v11
	;; [unrolled: 1-line block ×5, first 2 shown]
	ds_read2_b64 v[70:73], v81 offset0:128 offset1:144
	v_fma_f32 v66, -v3, v11, v8
	v_fmac_f32_e32 v124, v26, v11
	ds_read_b128 v[8:11], v82 offset:32
	ds_read_b128 v[20:23], v82 offset:1056
	v_mul_f32_e32 v123, v25, v18
	ds_read2_b64 v[88:91], v81 offset0:160 offset1:176
	v_mov_b32_e32 v44, v18
	v_mov_b32_e32 v45, v16
	;; [unrolled: 1-line block ×6, first 2 shown]
	v_fmac_f32_e32 v123, v24, v19
	ds_read_b128 v[16:19], v82 offset:48
	ds_read2_b64 v[92:95], v81 offset0:192 offset1:208
	s_waitcnt lgkmcnt(4)
	v_pk_mul_f32 v[12:13], v[8:9], v[70:71] op_sel:[0,1]
	v_mul_f32_e32 v122, v87, v14
	v_pk_fma_f32 v[100:101], v[8:9], v[70:71], v[12:13] op_sel:[0,0,1] op_sel_hi:[1,0,0] neg_lo:[0,0,1] neg_hi:[0,0,1]
	v_pk_fma_f32 v[102:103], v[8:9], v[70:71], v[12:13] op_sel:[0,0,1] op_sel_hi:[1,0,0]
	v_mul_f32_e32 v12, v8, v72
	v_mov_b32_e32 v48, v14
	v_mov_b32_e32 v52, v15
	;; [unrolled: 1-line block ×3, first 2 shown]
	v_fmac_f32_e32 v122, v86, v15
	v_fma_f32 v102, -v9, v73, v12
	ds_read_b128 v[12:15], v82 offset:1072
	s_waitcnt lgkmcnt(4)
	v_mul_f32_e32 v125, v21, v72
	v_mov_b32_e32 v60, v72
	v_mov_b32_e32 v68, v73
	;; [unrolled: 1-line block ×3, first 2 shown]
	v_fmac_f32_e32 v125, v20, v73
	s_waitcnt lgkmcnt(3)
	v_pk_mul_f32 v[72:73], v[10:11], v[88:89] op_sel:[0,1]
	v_mov_b32_e32 v69, v71
	v_mov_b32_e32 v62, v71
	;; [unrolled: 1-line block ×5, first 2 shown]
	v_pk_fma_f32 v[106:107], v[10:11], v[88:89], v[72:73] op_sel:[0,0,1] op_sel_hi:[1,0,0] neg_lo:[0,0,1] neg_hi:[0,0,1]
	v_pk_fma_f32 v[108:109], v[10:11], v[88:89], v[72:73] op_sel:[0,0,1] op_sel_hi:[1,0,0]
	v_mul_f32_e32 v41, v10, v90
	v_mul_f32_e32 v126, v23, v90
	s_waitcnt lgkmcnt(1)
	v_pk_mul_f32 v[88:89], v[16:17], v[92:93] op_sel:[0,1]
	v_mov_b32_e32 v61, v70
	v_mov_b32_e32 v70, v90
	v_mov_b32_e32 v74, v91
	v_mov_b32_e32 v105, v91
	v_fma_f32 v108, -v11, v91, v41
	v_fmac_f32_e32 v126, v22, v91
	v_mov_b32_e32 v73, v92
	v_mov_b32_e32 v77, v93
	;; [unrolled: 1-line block ×3, first 2 shown]
	v_pk_fma_f32 v[112:113], v[16:17], v[92:93], v[88:89] op_sel:[0,0,1] op_sel_hi:[1,0,0] neg_lo:[0,0,1] neg_hi:[0,0,1]
	v_pk_fma_f32 v[92:93], v[16:17], v[92:93], v[88:89] op_sel:[0,0,1] op_sel_hi:[1,0,0]
	ds_read2_b64 v[88:91], v81 offset1:16
	v_mul_f32_e32 v41, v16, v94
	s_waitcnt lgkmcnt(1)
	v_mul_f32_e32 v127, v13, v94
	v_mov_b32_e32 v72, v94
	v_mov_b32_e32 v76, v95
	;; [unrolled: 1-line block ×3, first 2 shown]
	v_fma_f32 v92, -v17, v95, v41
	v_fmac_f32_e32 v127, v12, v95
	s_waitcnt lgkmcnt(0)
	v_mov_b32_e32 v94, v91
	v_mov_b32_e32 v95, v89
	;; [unrolled: 1-line block ×4, first 2 shown]
	v_pk_mul_f32 v[118:119], v[4:5], v[88:89] op_sel:[0,1]
	v_pk_mul_f32 v[94:95], v[114:115], v[94:95]
	v_mov_b32_e32 v115, v88
	v_mov_b32_e32 v116, v89
	v_pk_fma_f32 v[120:121], v[4:5], v[88:89], v[118:119] op_sel:[0,0,1] op_sel_hi:[1,0,0] neg_lo:[0,0,1] neg_hi:[0,0,1]
	v_pk_fma_f32 v[88:89], v[4:5], v[88:89], v[118:119] op_sel:[0,0,1] op_sel_hi:[1,0,0]
	v_mul_f32_e32 v4, v4, v90
	v_fma_f32 v88, -v5, v91, v4
	v_mul_f32_e32 v118, v85, v90
	v_mov_b32_e32 v4, v5
	v_mov_b32_e32 v114, v90
	;; [unrolled: 1-line block ×3, first 2 shown]
	v_fmac_f32_e32 v118, v84, v91
	v_pk_fma_f32 v[90:91], v[4:5], v[90:91], v[94:95]
	v_mov_b32_e32 v5, v84
	v_pk_fma_f32 v[4:5], v[4:5], v[114:115], v[94:95] neg_lo:[0,0,1] neg_hi:[0,0,1]
	v_pk_mul_f32 v[94:95], v[84:85], v[114:115]
	v_pk_fma_f32 v[114:115], v[84:85], v[116:117], v[94:95] op_sel:[0,0,1] op_sel_hi:[1,1,0]
	v_pk_fma_f32 v[84:85], v[84:85], v[116:117], v[94:95] op_sel:[0,0,1] op_sel_hi:[1,1,0] neg_lo:[1,0,0] neg_hi:[1,0,0]
	v_pk_mul_f32 v[94:95], v[86:87], v[48:49]
	v_pk_fma_f32 v[116:117], v[86:87], v[54:55], v[94:95] op_sel:[0,0,1] op_sel_hi:[1,1,0]
	v_pk_fma_f32 v[54:55], v[86:87], v[54:55], v[94:95] op_sel:[0,0,1] op_sel_hi:[1,1,0] neg_lo:[1,0,0] neg_hi:[1,0,0]
	v_mov_b32_e32 v95, v86
	v_mov_b32_e32 v86, v6
	;; [unrolled: 1-line block ×4, first 2 shown]
	v_pk_mul_f32 v[6:7], v[86:87], v[52:53]
	v_pk_fma_f32 v[52:53], v[4:5], v[48:49], v[6:7]
	v_pk_fma_f32 v[6:7], v[94:95], v[48:49], v[6:7] neg_lo:[0,0,1] neg_hi:[0,0,1]
	buffer_load_dword v94, off, s[0:3], 0 offset:12
	buffer_load_dword v95, off, s[0:3], 0 offset:16
	buffer_load_dword v6, off, s[0:3], 0
	v_mov_b32_e32 v48, v0
	v_mov_b32_e32 v49, v25
	v_pk_mul_f32 v[48:49], v[48:49], v[50:51]
	v_mov_b32_e32 v0, v1
	v_mov_b32_e32 v50, v1
	v_mov_b32_e32 v51, v24
	v_pk_fma_f32 v[86:87], v[0:1], v[44:45], v[48:49]
	v_pk_mul_f32 v[0:1], v[24:25], v[44:45]
	v_pk_fma_f32 v[48:49], v[50:51], v[44:45], v[48:49] neg_lo:[0,0,1] neg_hi:[0,0,1]
	v_pk_fma_f32 v[44:45], v[24:25], v[46:47], v[0:1] op_sel:[0,0,1] op_sel_hi:[1,1,0]
	v_pk_fma_f32 v[24:25], v[24:25], v[46:47], v[0:1] op_sel:[0,0,1] op_sel_hi:[1,1,0] neg_lo:[1,0,0] neg_hi:[1,0,0]
	v_pk_mul_f32 v[0:1], v[26:27], v[38:39]
	v_pk_fma_f32 v[46:47], v[26:27], v[98:99], v[0:1] op_sel:[0,0,1] op_sel_hi:[1,1,0]
	v_pk_fma_f32 v[50:51], v[26:27], v[98:99], v[0:1] op_sel:[0,0,1] op_sel_hi:[1,1,0] neg_lo:[1,0,0] neg_hi:[1,0,0]
	v_mov_b32_e32 v1, v27
	v_mov_b32_e32 v0, v2
	;; [unrolled: 1-line block ×4, first 2 shown]
	v_pk_mul_f32 v[0:1], v[0:1], v[96:97]
	v_mov_b32_e32 v2, v3
	v_pk_fma_f32 v[26:27], v[26:27], v[38:39], v[0:1] neg_lo:[0,0,1] neg_hi:[0,0,1]
	v_pk_fma_f32 v[96:97], v[2:3], v[38:39], v[0:1]
	buffer_load_dword v26, off, s[0:3], 0 offset:20
	buffer_load_dword v38, off, s[0:3], 0 offset:4
	;; [unrolled: 1-line block ×3, first 2 shown]
	v_mov_b32_e32 v121, v89
	v_pk_add_f32 v[0:1], v[28:29], v[120:121]
	v_mov_b32_e32 v41, v43
	v_pk_add_f32 v[0:1], v[0:1], v[40:41]
	;; [unrolled: 2-line block ×5, first 2 shown]
	ds_read2_b64 v[0:3], v81 offset0:224 offset1:240
	v_mov_b32_e32 v115, v85
	v_mov_b32_e32 v117, v55
	;; [unrolled: 1-line block ×4, first 2 shown]
	s_waitcnt lgkmcnt(0)
	v_pk_mul_f32 v[40:41], v[18:19], v[0:1] op_sel:[0,1]
	v_pk_fma_f32 v[42:43], v[18:19], v[0:1], v[40:41] op_sel:[0,0,1] op_sel_hi:[1,0,0] neg_lo:[0,0,1] neg_hi:[0,0,1]
	v_pk_fma_f32 v[40:41], v[18:19], v[0:1], v[40:41] op_sel:[0,0,1] op_sel_hi:[1,0,0]
	v_mov_b32_e32 v43, v41
	v_pk_add_f32 v[28:29], v[28:29], v[106:107]
	v_mov_b32_e32 v113, v93
	v_pk_add_f32 v[28:29], v[28:29], v[112:113]
	;; [unrolled: 2-line block ×3, first 2 shown]
	v_mov_b32_e32 v42, v9
	v_mov_b32_e32 v91, v5
	;; [unrolled: 1-line block ×7, first 2 shown]
	v_add_co_u32_e32 v34, vcc, s8, v34
	s_add_u32 s6, s6, 8
	s_addc_u32 s7, s7, 0
	s_waitcnt vmcnt(4)
	v_pk_add_f32 v[40:41], v[94:95], v[114:115]
	v_pk_add_f32 v[40:41], v[40:41], v[116:117]
	;; [unrolled: 1-line block ×3, first 2 shown]
	v_mov_b32_e32 v40, v8
	v_mov_b32_e32 v41, v21
	v_pk_mul_f32 v[40:41], v[40:41], v[68:69]
	v_pk_fma_f32 v[8:9], v[4:5], v[60:61], v[40:41]
	s_waitcnt vmcnt(3)
	v_add_f32_e32 v4, v6, v88
	v_add_f32_e32 v4, v4, v83
	;; [unrolled: 1-line block ×6, first 2 shown]
	v_mul_f32_e32 v5, v18, v2
	v_add_f32_e32 v4, v4, v92
	v_fma_f32 v5, -v19, v3, v5
	v_pk_fma_f32 v[40:41], v[42:43], v[60:61], v[40:41] neg_lo:[0,0,1] neg_hi:[0,0,1]
	v_pk_mul_f32 v[42:43], v[20:21], v[60:61]
	v_add_f32_e32 v4, v4, v5
	v_pk_fma_f32 v[44:45], v[20:21], v[62:63], v[42:43] op_sel:[0,0,1] op_sel_hi:[1,1,0]
	v_pk_fma_f32 v[20:21], v[20:21], v[62:63], v[42:43] op_sel:[0,0,1] op_sel_hi:[1,1,0] neg_lo:[1,0,0] neg_hi:[1,0,0]
	buffer_store_dword v4, off, s[0:3], 0
	s_waitcnt vmcnt(3)
	v_add_f32_e32 v4, v26, v118
	v_pk_add_f32 v[24:25], v[24:25], v[46:47]
	v_mov_b32_e32 v45, v21
	v_add_f32_e32 v4, v4, v122
	v_pk_add_f32 v[20:21], v[24:25], v[44:45]
	v_pk_mul_f32 v[24:25], v[22:23], v[70:71]
	v_add_f32_e32 v4, v4, v123
	v_pk_fma_f32 v[42:43], v[22:23], v[104:105], v[24:25] op_sel:[0,0,1] op_sel_hi:[1,1,0]
	v_pk_fma_f32 v[24:25], v[22:23], v[104:105], v[24:25] op_sel:[0,0,1] op_sel_hi:[1,1,0] neg_lo:[1,0,0] neg_hi:[1,0,0]
	v_add_f32_e32 v4, v4, v124
	v_mov_b32_e32 v43, v25
	v_pk_mul_f32 v[24:25], v[12:13], v[72:73]
	v_add_f32_e32 v4, v4, v125
	v_pk_add_f32 v[20:21], v[20:21], v[42:43]
	v_pk_fma_f32 v[42:43], v[12:13], v[110:111], v[24:25] op_sel:[0,0,1] op_sel_hi:[1,1,0]
	v_pk_fma_f32 v[24:25], v[12:13], v[110:111], v[24:25] op_sel:[0,0,1] op_sel_hi:[1,1,0] neg_lo:[1,0,0] neg_hi:[1,0,0]
	v_add_f32_e32 v4, v4, v126
	v_mov_b32_e32 v43, v25
	v_add_f32_e32 v25, v4, v127
	s_waitcnt vmcnt(1)
	v_pk_add_f32 v[4:5], v[38:39], v[90:91]
	v_pk_add_f32 v[4:5], v[4:5], v[52:53]
	;; [unrolled: 1-line block ×4, first 2 shown]
	v_mov_b32_e32 v9, v41
	v_pk_add_f32 v[4:5], v[4:5], v[8:9]
	v_mov_b32_e32 v8, v10
	v_mov_b32_e32 v9, v23
	;; [unrolled: 1-line block ×3, first 2 shown]
	v_pk_mul_f32 v[8:9], v[8:9], v[74:75]
	v_mov_b32_e32 v10, v11
	v_mov_b32_e32 v11, v22
	v_pk_fma_f32 v[6:7], v[6:7], v[70:71], v[8:9]
	v_pk_fma_f32 v[8:9], v[10:11], v[70:71], v[8:9] neg_lo:[0,0,1] neg_hi:[0,0,1]
	v_mov_b32_e32 v7, v9
	v_pk_add_f32 v[4:5], v[4:5], v[6:7]
	v_mov_b32_e32 v6, v16
	v_mov_b32_e32 v7, v13
	;; [unrolled: 1-line block ×3, first 2 shown]
	v_pk_mul_f32 v[6:7], v[6:7], v[76:77]
	v_mov_b32_e32 v8, v17
	v_mov_b32_e32 v9, v12
	v_pk_fma_f32 v[10:11], v[24:25], v[72:73], v[6:7]
	v_pk_fma_f32 v[6:7], v[8:9], v[72:73], v[6:7] neg_lo:[0,0,1] neg_hi:[0,0,1]
	v_mov_b32_e32 v38, v3
	v_mov_b32_e32 v39, v1
	;; [unrolled: 1-line block ×9, first 2 shown]
	v_pk_mul_f32 v[8:9], v[18:19], v[38:39]
	v_pk_add_f32 v[20:21], v[20:21], v[42:43]
	v_mov_b32_e32 v42, v1
	v_pk_fma_f32 v[0:1], v[0:1], v[44:45], v[8:9]
	v_pk_fma_f32 v[6:7], v[6:7], v[44:45], v[8:9] neg_lo:[0,0,1] neg_hi:[0,0,1]
	v_pk_add_f32 v[4:5], v[4:5], v[10:11]
	v_mov_b32_e32 v1, v7
	v_pk_add_f32 v[0:1], v[4:5], v[0:1]
	v_mov_b32_e32 v43, v3
	buffer_store_dword v1, off, s[0:3], 0 offset:8
	buffer_store_dword v0, off, s[0:3], 0 offset:4
	v_pk_mul_f32 v[0:1], v[14:15], v[44:45]
	v_pk_fma_f32 v[4:5], v[14:15], v[42:43], v[0:1] op_sel:[0,0,1] op_sel_hi:[1,1,0]
	v_pk_fma_f32 v[0:1], v[14:15], v[42:43], v[0:1] op_sel:[0,0,1] op_sel_hi:[1,1,0] neg_lo:[1,0,0] neg_hi:[1,0,0]
	v_mov_b32_e32 v5, v1
	v_mul_f32_e32 v2, v15, v2
	v_fmac_f32_e32 v2, v14, v3
	v_pk_add_f32 v[0:1], v[20:21], v[4:5]
	v_add_f32_e32 v2, v25, v2
	buffer_store_dword v0, off, s[0:3], 0 offset:12
	buffer_store_dword v1, off, s[0:3], 0 offset:16
	;; [unrolled: 1-line block ×3, first 2 shown]
	v_mov_b32_e32 v0, s9
	v_addc_co_u32_e32 v35, vcc, v35, v0, vcc
	v_add_co_u32_e32 v36, vcc, 64, v36
	v_addc_co_u32_e32 v37, vcc, 0, v37, vcc
	v_pk_mov_b32 v[0:1], s[16:17], s[16:17] op_sel:[0,1]
	v_cmp_lt_i64_e32 vcc, s[6:7], v[0:1]
	s_barrier
	s_cbranch_vccz .LBB256_12
.LBB256_3:                              ; =>This Inner Loop Header: Depth=1
	v_mov_b32_e32 v1, s7
	v_add_co_u32_e32 v0, vcc, s6, v30
	v_addc_co_u32_e32 v1, vcc, 0, v1, vcc
	v_cmp_le_i64_e32 vcc, s[16:17], v[0:1]
	s_or_b64 s[20:21], s[10:11], vcc
                                        ; implicit-def: $sgpr22
	s_and_saveexec_b64 s[24:25], s[20:21]
	s_xor_b64 s[20:21], exec, s[24:25]
	s_cbranch_execz .LBB256_5
; %bb.4:                                ;   in Loop: Header=BB256_3 Depth=1
	ds_write_b32 v79, v78
	s_mov_b32 s22, 0
.LBB256_5:                              ;   in Loop: Header=BB256_3 Depth=1
	s_or_saveexec_b64 s[20:21], s[20:21]
	v_mov_b32_e32 v0, s22
	s_xor_b64 exec, exec, s[20:21]
	s_cbranch_execz .LBB256_7
; %bb.6:                                ;   in Loop: Header=BB256_3 Depth=1
	global_load_dwordx2 v[2:3], v[36:37], off offset:-4
	s_waitcnt vmcnt(0)
	v_xor_b32_e32 v0, 0x80000000, v3
	ds_write_b32 v79, v2
.LBB256_7:                              ;   in Loop: Header=BB256_3 Depth=1
	s_or_b64 exec, exec, s[20:21]
	ds_write_b32 v79, v0 offset:4
	v_mov_b32_e32 v1, s7
	v_add_co_u32_e32 v0, vcc, s6, v32
	v_addc_co_u32_e32 v1, vcc, 0, v1, vcc
	v_cmp_le_i64_e32 vcc, s[16:17], v[0:1]
	s_or_b64 s[20:21], vcc, s[4:5]
                                        ; implicit-def: $sgpr22
	s_and_saveexec_b64 s[24:25], s[20:21]
	s_xor_b64 s[20:21], exec, s[24:25]
	s_cbranch_execz .LBB256_9
; %bb.8:                                ;   in Loop: Header=BB256_3 Depth=1
	ds_write_b32 v80, v78
	s_mov_b32 s22, 0
.LBB256_9:                              ;   in Loop: Header=BB256_3 Depth=1
	s_or_saveexec_b64 s[20:21], s[20:21]
	v_mov_b32_e32 v0, s22
	s_xor_b64 exec, exec, s[20:21]
	s_cbranch_execz .LBB256_2
; %bb.10:                               ;   in Loop: Header=BB256_3 Depth=1
	global_load_dwordx2 v[2:3], v[34:35], off offset:-4
	s_waitcnt vmcnt(0)
	v_xor_b32_e32 v0, 0x80000000, v3
	ds_write_b32 v80, v2
	s_branch .LBB256_2
.LBB256_11:
	v_mov_b32_e32 v29, 0
	v_mov_b32_e32 v28, v78
.LBB256_12:
	s_lshl_b64 s[4:5], s[30:31], 3
	s_waitcnt lgkmcnt(0)
	s_add_u32 s20, s44, s4
	s_addc_u32 s21, s45, s5
	v_mov_b32_e32 v1, s47
	v_add_co_u32_e32 v0, vcc, s46, v33
	s_or_b32 s4, s34, s35
	v_addc_co_u32_e32 v1, vcc, 0, v1, vcc
	s_bitset0_b32 s4, 31
	s_cmp_lg_u32 s4, 0
	v_cmp_gt_i64_e64 s[4:5], s[14:15], v[0:1]
	s_mov_b64 s[6:7], -1
	s_cbranch_scc1 .LBB256_24
; %bb.13:
	s_and_saveexec_b64 s[10:11], s[4:5]
	s_cbranch_execz .LBB256_23
; %bb.14:
	v_mov_b32_e32 v2, s43
	v_add_co_u32_e32 v4, vcc, s42, v31
	v_addc_co_u32_e32 v5, vcc, 0, v2, vcc
	v_mul_lo_u32 v6, v1, s28
	v_mul_lo_u32 v7, v0, s29
	v_mad_u64_u32 v[2:3], s[6:7], v0, s28, 0
	v_add3_u32 v3, v3, v7, v6
	v_lshlrev_b64 v[2:3], 3, v[2:3]
	v_mov_b32_e32 v7, s21
	v_add_co_u32_e64 v6, s[6:7], s20, v2
	v_cmp_gt_i64_e32 vcc, s[12:13], v[4:5]
	v_addc_co_u32_e64 v7, s[6:7], v7, v3, s[6:7]
	v_lshlrev_b64 v[2:3], 3, v[4:5]
	s_and_saveexec_b64 s[8:9], vcc
	s_cbranch_execz .LBB256_16
; %bb.15:
	v_mul_f32_e32 v8, s19, v29
	v_mul_f32_e32 v9, s18, v29
	v_add_co_u32_e64 v10, s[6:7], v6, v2
	v_fma_f32 v8, v28, s18, -v8
	v_fmac_f32_e32 v9, s19, v28
	v_addc_co_u32_e64 v11, s[6:7], v7, v3, s[6:7]
	global_store_dwordx2 v[10:11], v[8:9], off
.LBB256_16:
	s_or_b64 exec, exec, s[8:9]
	v_add_co_u32_e64 v4, s[6:7], 16, v4
	v_addc_co_u32_e64 v5, s[6:7], 0, v5, s[6:7]
	v_cmp_gt_i64_e64 s[6:7], s[12:13], v[4:5]
	s_and_saveexec_b64 s[16:17], s[6:7]
	s_cbranch_execz .LBB256_18
; %bb.17:
	buffer_load_dword v4, off, s[0:3], 0 offset:4
	buffer_load_dword v8, off, s[0:3], 0
	s_waitcnt vmcnt(1)
	v_mul_f32_e32 v9, s19, v4
	v_mul_f32_e32 v5, s18, v4
	s_waitcnt vmcnt(0)
	v_fma_f32 v4, v8, s18, -v9
	v_fmac_f32_e32 v5, s19, v8
	v_add_co_u32_e64 v8, s[8:9], v6, v2
	v_addc_co_u32_e64 v9, s[8:9], v7, v3, s[8:9]
	global_store_dwordx2 v[8:9], v[4:5], off offset:128
.LBB256_18:
	s_or_b64 exec, exec, s[16:17]
	v_add_co_u32_e64 v4, s[8:9], 16, v0
	v_addc_co_u32_e64 v5, s[8:9], 0, v1, s[8:9]
	v_cmp_gt_i64_e64 s[8:9], s[14:15], v[4:5]
	s_and_b64 exec, exec, s[8:9]
	s_cbranch_execz .LBB256_23
; %bb.19:
	buffer_load_dword v4, off, s[0:3], 0 offset:16
	buffer_load_dword v5, off, s[0:3], 0 offset:20
	s_lshl_b64 s[8:9], s[28:29], 7
	v_mov_b32_e32 v8, s9
	v_add_co_u32_e64 v6, s[8:9], s8, v6
	v_addc_co_u32_e64 v7, s[8:9], v7, v8, s[8:9]
	v_add_co_u32_e64 v2, s[8:9], v6, v2
	v_addc_co_u32_e64 v3, s[8:9], v7, v3, s[8:9]
	s_and_saveexec_b64 s[8:9], vcc
	s_cbranch_execz .LBB256_21
; %bb.20:
	buffer_load_dword v6, off, s[0:3], 0 offset:12
	buffer_load_dword v8, off, s[0:3], 0 offset:8
	s_waitcnt vmcnt(1)
	v_mul_f32_e32 v9, s19, v6
	v_mul_f32_e32 v7, s18, v6
	s_waitcnt vmcnt(0)
	v_fma_f32 v6, v8, s18, -v9
	v_fmac_f32_e32 v7, s19, v8
	global_store_dwordx2 v[2:3], v[6:7], off
.LBB256_21:
	s_or_b64 exec, exec, s[8:9]
	s_and_b64 exec, exec, s[6:7]
	s_cbranch_execz .LBB256_23
; %bb.22:
	s_waitcnt vmcnt(0)
	v_mul_f32_e32 v6, s19, v5
	v_mul_f32_e32 v7, s18, v5
	v_fma_f32 v6, v4, s18, -v6
	v_fmac_f32_e32 v7, s19, v4
	global_store_dwordx2 v[2:3], v[6:7], off offset:128
.LBB256_23:
	s_or_b64 exec, exec, s[10:11]
	s_mov_b64 s[6:7], 0
.LBB256_24:
	s_andn2_b64 vcc, exec, s[6:7]
	s_cbranch_vccnz .LBB256_35
; %bb.25:
	s_and_saveexec_b64 s[6:7], s[4:5]
	s_cbranch_execz .LBB256_35
; %bb.26:
	s_lshl_b64 s[4:5], s[40:41], 3
	s_add_u32 s6, s36, s4
	v_mov_b32_e32 v2, s43
	s_waitcnt vmcnt(1)
	v_add_co_u32_e32 v4, vcc, s42, v31
	s_addc_u32 s7, s37, s5
	s_waitcnt vmcnt(0)
	v_addc_co_u32_e32 v5, vcc, 0, v2, vcc
	v_mul_lo_u32 v6, v1, s38
	v_mul_lo_u32 v7, v0, s39
	v_mad_u64_u32 v[2:3], s[4:5], v0, s38, 0
	v_add3_u32 v3, v3, v7, v6
	v_mul_lo_u32 v6, v1, s28
	v_mul_lo_u32 v7, v0, s29
	v_mad_u64_u32 v[8:9], s[4:5], v0, s28, 0
	v_lshlrev_b64 v[2:3], 3, v[2:3]
	v_add3_u32 v9, v9, v7, v6
	v_mov_b32_e32 v7, s7
	v_add_co_u32_e64 v6, s[4:5], s6, v2
	v_addc_co_u32_e64 v7, s[4:5], v7, v3, s[4:5]
	v_lshlrev_b64 v[2:3], 3, v[8:9]
	v_mov_b32_e32 v9, s21
	v_add_co_u32_e64 v8, s[4:5], s20, v2
	v_cmp_gt_i64_e32 vcc, s[12:13], v[4:5]
	v_addc_co_u32_e64 v9, s[4:5], v9, v3, s[4:5]
	v_lshlrev_b64 v[2:3], 3, v[4:5]
	s_and_saveexec_b64 s[6:7], vcc
	s_cbranch_execz .LBB256_28
; %bb.27:
	v_add_co_u32_e64 v10, s[4:5], v6, v2
	v_addc_co_u32_e64 v11, s[4:5], v7, v3, s[4:5]
	global_load_dwordx2 v[10:11], v[10:11], off
	v_mul_f32_e32 v12, s19, v29
	v_mul_f32_e32 v13, s18, v29
	v_fma_f32 v12, v28, s18, -v12
	v_fmac_f32_e32 v13, s19, v28
	s_waitcnt vmcnt(0)
	v_mul_f32_e32 v14, s35, v11
	v_mul_f32_e32 v11, s34, v11
	v_fma_f32 v14, v10, s34, -v14
	v_fmac_f32_e32 v11, s35, v10
	v_add_f32_e32 v10, v12, v14
	v_add_co_u32_e64 v12, s[4:5], v8, v2
	v_add_f32_e32 v11, v13, v11
	v_addc_co_u32_e64 v13, s[4:5], v9, v3, s[4:5]
	global_store_dwordx2 v[12:13], v[10:11], off
.LBB256_28:
	s_or_b64 exec, exec, s[6:7]
	v_add_co_u32_e64 v4, s[4:5], 16, v4
	v_addc_co_u32_e64 v5, s[4:5], 0, v5, s[4:5]
	v_cmp_gt_i64_e64 s[4:5], s[12:13], v[4:5]
	s_and_saveexec_b64 s[8:9], s[4:5]
	s_cbranch_execz .LBB256_30
; %bb.29:
	v_add_co_u32_e64 v4, s[6:7], v6, v2
	buffer_load_dword v10, off, s[0:3], 0
	buffer_load_dword v11, off, s[0:3], 0 offset:4
	v_addc_co_u32_e64 v5, s[6:7], v7, v3, s[6:7]
	global_load_dwordx2 v[4:5], v[4:5], off offset:128
	s_waitcnt vmcnt(1)
	v_mul_f32_e32 v12, s19, v11
	v_mul_f32_e32 v11, s18, v11
	v_fma_f32 v12, v10, s18, -v12
	v_fmac_f32_e32 v11, s19, v10
	s_waitcnt vmcnt(0)
	v_mul_f32_e32 v10, s35, v5
	v_mul_f32_e32 v5, s34, v5
	v_fma_f32 v10, v4, s34, -v10
	v_fmac_f32_e32 v5, s35, v4
	v_add_f32_e32 v4, v12, v10
	v_add_co_u32_e64 v10, s[6:7], v8, v2
	v_add_f32_e32 v5, v11, v5
	v_addc_co_u32_e64 v11, s[6:7], v9, v3, s[6:7]
	global_store_dwordx2 v[10:11], v[4:5], off offset:128
.LBB256_30:
	s_or_b64 exec, exec, s[8:9]
	v_add_co_u32_e64 v0, s[6:7], 16, v0
	v_addc_co_u32_e64 v1, s[6:7], 0, v1, s[6:7]
	v_cmp_gt_i64_e64 s[6:7], s[14:15], v[0:1]
	s_and_b64 exec, exec, s[6:7]
	s_cbranch_execz .LBB256_35
; %bb.31:
	buffer_load_dword v10, off, s[0:3], 0 offset:16
	buffer_load_dword v11, off, s[0:3], 0 offset:20
	s_lshl_b64 s[6:7], s[38:39], 7
	v_mov_b32_e32 v0, s7
	v_add_co_u32_e64 v1, s[6:7], s6, v6
	v_addc_co_u32_e64 v0, s[6:7], v7, v0, s[6:7]
	s_lshl_b64 s[6:7], s[28:29], 7
	v_mov_b32_e32 v4, s7
	v_add_co_u32_e64 v6, s[6:7], s6, v8
	v_addc_co_u32_e64 v7, s[6:7], v9, v4, s[6:7]
	v_add_co_u32_e64 v4, s[6:7], v1, v2
	v_addc_co_u32_e64 v5, s[6:7], v0, v3, s[6:7]
	;; [unrolled: 2-line block ×3, first 2 shown]
	s_and_saveexec_b64 s[6:7], vcc
	s_cbranch_execz .LBB256_33
; %bb.32:
	buffer_load_dword v6, off, s[0:3], 0 offset:12
	buffer_load_dword v7, off, s[0:3], 0 offset:8
	global_load_dwordx2 v[2:3], v[4:5], off
	s_waitcnt vmcnt(2)
	v_mul_f32_e32 v8, s19, v6
	v_mul_f32_e32 v6, s18, v6
	s_waitcnt vmcnt(0)
	v_mul_f32_e32 v9, s35, v3
	v_mul_f32_e32 v3, s34, v3
	v_fma_f32 v8, v7, s18, -v8
	v_fmac_f32_e32 v6, s19, v7
	v_fma_f32 v7, v2, s34, -v9
	v_fmac_f32_e32 v3, s35, v2
	v_add_f32_e32 v2, v8, v7
	v_add_f32_e32 v3, v6, v3
	global_store_dwordx2 v[0:1], v[2:3], off
.LBB256_33:
	s_or_b64 exec, exec, s[6:7]
	s_and_b64 exec, exec, s[4:5]
	s_cbranch_execz .LBB256_35
; %bb.34:
	global_load_dwordx2 v[2:3], v[4:5], off offset:128
	s_waitcnt vmcnt(1)
	v_mul_f32_e32 v4, s19, v11
	v_mul_f32_e32 v5, s18, v11
	v_fma_f32 v4, v10, s18, -v4
	v_fmac_f32_e32 v5, s19, v10
	s_waitcnt vmcnt(0)
	v_mul_f32_e32 v6, s35, v3
	v_mul_f32_e32 v3, s34, v3
	v_fma_f32 v6, v2, s34, -v6
	v_fmac_f32_e32 v3, s35, v2
	v_add_f32_e32 v2, v4, v6
	v_add_f32_e32 v3, v5, v3
	global_store_dwordx2 v[0:1], v[2:3], off offset:128
.LBB256_35:
	s_endpgm
	.section	.rodata,"a",@progbits
	.p2align	6, 0x0
	.amdhsa_kernel _ZN12_GLOBAL__N_135rocblas_gemm_batched_general_kernelI19rocblas_complex_numIfELi16ELi16ELi32ELi32ELi8ELi32ELi8ELi8ELi32ELc67ELc67EKPKS2_S5_KPS2_EEvlllT_PT11_llSA_llS8_PT12_llPT13_lli
		.amdhsa_group_segment_fixed_size 4096
		.amdhsa_private_segment_fixed_size 32
		.amdhsa_kernarg_size 140
		.amdhsa_user_sgpr_count 8
		.amdhsa_user_sgpr_private_segment_buffer 1
		.amdhsa_user_sgpr_dispatch_ptr 0
		.amdhsa_user_sgpr_queue_ptr 0
		.amdhsa_user_sgpr_kernarg_segment_ptr 1
		.amdhsa_user_sgpr_dispatch_id 0
		.amdhsa_user_sgpr_flat_scratch_init 1
		.amdhsa_user_sgpr_kernarg_preload_length 0
		.amdhsa_user_sgpr_kernarg_preload_offset 0
		.amdhsa_user_sgpr_private_segment_size 0
		.amdhsa_uses_dynamic_stack 0
		.amdhsa_system_sgpr_private_segment_wavefront_offset 1
		.amdhsa_system_sgpr_workgroup_id_x 1
		.amdhsa_system_sgpr_workgroup_id_y 1
		.amdhsa_system_sgpr_workgroup_id_z 1
		.amdhsa_system_sgpr_workgroup_info 0
		.amdhsa_system_vgpr_workitem_id 1
		.amdhsa_next_free_vgpr 128
		.amdhsa_next_free_sgpr 50
		.amdhsa_accum_offset 128
		.amdhsa_reserve_vcc 1
		.amdhsa_reserve_flat_scratch 0
		.amdhsa_float_round_mode_32 0
		.amdhsa_float_round_mode_16_64 0
		.amdhsa_float_denorm_mode_32 3
		.amdhsa_float_denorm_mode_16_64 3
		.amdhsa_dx10_clamp 1
		.amdhsa_ieee_mode 1
		.amdhsa_fp16_overflow 0
		.amdhsa_tg_split 0
		.amdhsa_exception_fp_ieee_invalid_op 0
		.amdhsa_exception_fp_denorm_src 0
		.amdhsa_exception_fp_ieee_div_zero 0
		.amdhsa_exception_fp_ieee_overflow 0
		.amdhsa_exception_fp_ieee_underflow 0
		.amdhsa_exception_fp_ieee_inexact 0
		.amdhsa_exception_int_div_zero 0
	.end_amdhsa_kernel
	.section	.text._ZN12_GLOBAL__N_135rocblas_gemm_batched_general_kernelI19rocblas_complex_numIfELi16ELi16ELi32ELi32ELi8ELi32ELi8ELi8ELi32ELc67ELc67EKPKS2_S5_KPS2_EEvlllT_PT11_llSA_llS8_PT12_llPT13_lli,"axG",@progbits,_ZN12_GLOBAL__N_135rocblas_gemm_batched_general_kernelI19rocblas_complex_numIfELi16ELi16ELi32ELi32ELi8ELi32ELi8ELi8ELi32ELc67ELc67EKPKS2_S5_KPS2_EEvlllT_PT11_llSA_llS8_PT12_llPT13_lli,comdat
.Lfunc_end256:
	.size	_ZN12_GLOBAL__N_135rocblas_gemm_batched_general_kernelI19rocblas_complex_numIfELi16ELi16ELi32ELi32ELi8ELi32ELi8ELi8ELi32ELc67ELc67EKPKS2_S5_KPS2_EEvlllT_PT11_llSA_llS8_PT12_llPT13_lli, .Lfunc_end256-_ZN12_GLOBAL__N_135rocblas_gemm_batched_general_kernelI19rocblas_complex_numIfELi16ELi16ELi32ELi32ELi8ELi32ELi8ELi8ELi32ELc67ELc67EKPKS2_S5_KPS2_EEvlllT_PT11_llSA_llS8_PT12_llPT13_lli
                                        ; -- End function
	.section	.AMDGPU.csdata,"",@progbits
; Kernel info:
; codeLenInByte = 3884
; NumSgprs: 54
; NumVgprs: 128
; NumAgprs: 0
; TotalNumVgprs: 128
; ScratchSize: 32
; MemoryBound: 0
; FloatMode: 240
; IeeeMode: 1
; LDSByteSize: 4096 bytes/workgroup (compile time only)
; SGPRBlocks: 6
; VGPRBlocks: 15
; NumSGPRsForWavesPerEU: 54
; NumVGPRsForWavesPerEU: 128
; AccumOffset: 128
; Occupancy: 4
; WaveLimiterHint : 1
; COMPUTE_PGM_RSRC2:SCRATCH_EN: 1
; COMPUTE_PGM_RSRC2:USER_SGPR: 8
; COMPUTE_PGM_RSRC2:TRAP_HANDLER: 0
; COMPUTE_PGM_RSRC2:TGID_X_EN: 1
; COMPUTE_PGM_RSRC2:TGID_Y_EN: 1
; COMPUTE_PGM_RSRC2:TGID_Z_EN: 1
; COMPUTE_PGM_RSRC2:TIDIG_COMP_CNT: 1
; COMPUTE_PGM_RSRC3_GFX90A:ACCUM_OFFSET: 31
; COMPUTE_PGM_RSRC3_GFX90A:TG_SPLIT: 0
	.section	.text._ZN12_GLOBAL__N_135rocblas_gemm_batched_general_kernelI19rocblas_complex_numIfELi16ELi16ELi32ELi32ELi8ELi32ELi8ELi8ELi32ELc67ELc78EKPKS2_S5_KPS2_EEvlllT_PT11_llSA_llS8_PT12_llPT13_lli,"axG",@progbits,_ZN12_GLOBAL__N_135rocblas_gemm_batched_general_kernelI19rocblas_complex_numIfELi16ELi16ELi32ELi32ELi8ELi32ELi8ELi8ELi32ELc67ELc78EKPKS2_S5_KPS2_EEvlllT_PT11_llSA_llS8_PT12_llPT13_lli,comdat
	.globl	_ZN12_GLOBAL__N_135rocblas_gemm_batched_general_kernelI19rocblas_complex_numIfELi16ELi16ELi32ELi32ELi8ELi32ELi8ELi8ELi32ELc67ELc78EKPKS2_S5_KPS2_EEvlllT_PT11_llSA_llS8_PT12_llPT13_lli ; -- Begin function _ZN12_GLOBAL__N_135rocblas_gemm_batched_general_kernelI19rocblas_complex_numIfELi16ELi16ELi32ELi32ELi8ELi32ELi8ELi8ELi32ELc67ELc78EKPKS2_S5_KPS2_EEvlllT_PT11_llSA_llS8_PT12_llPT13_lli
	.p2align	8
	.type	_ZN12_GLOBAL__N_135rocblas_gemm_batched_general_kernelI19rocblas_complex_numIfELi16ELi16ELi32ELi32ELi8ELi32ELi8ELi8ELi32ELc67ELc78EKPKS2_S5_KPS2_EEvlllT_PT11_llSA_llS8_PT12_llPT13_lli,@function
_ZN12_GLOBAL__N_135rocblas_gemm_batched_general_kernelI19rocblas_complex_numIfELi16ELi16ELi32ELi32ELi8ELi32ELi8ELi8ELi32ELc67ELc78EKPKS2_S5_KPS2_EEvlllT_PT11_llSA_llS8_PT12_llPT13_lli: ; @_ZN12_GLOBAL__N_135rocblas_gemm_batched_general_kernelI19rocblas_complex_numIfELi16ELi16ELi32ELi32ELi8ELi32ELi8ELi8ELi32ELc67ELc78EKPKS2_S5_KPS2_EEvlllT_PT11_llSA_llS8_PT12_llPT13_lli
; %bb.0:
	s_load_dwordx16 s[12:27], s[4:5], 0x0
	s_load_dwordx4 s[28:31], s[4:5], 0x78
	s_load_dwordx8 s[36:43], s[4:5], 0x58
	s_load_dwordx2 s[34:35], s[4:5], 0x50
	s_add_u32 s0, s0, s11
	s_mov_b32 s11, 0
	s_addc_u32 s1, s1, 0
	s_lshl_b64 s[6:7], s[10:11], 3
	s_waitcnt lgkmcnt(0)
	s_add_u32 s10, s36, s6
	s_addc_u32 s11, s37, s7
	s_load_dwordx2 s[36:37], s[10:11], 0x0
	s_add_u32 s10, s42, s6
	s_addc_u32 s11, s43, s7
	s_load_dwordx2 s[44:45], s[10:11], 0x0
	s_mov_b32 s46, s9
	s_ashr_i32 s9, s8, 31
	s_lshl_b64 s[42:43], s[8:9], 5
	s_ashr_i32 s47, s46, 31
	v_cmp_lt_i64_e64 s[8:9], s[16:17], 1
	v_and_b32_e32 v31, 0x3ff, v0
	v_bfe_u32 v33, v0, 10, 10
	v_mov_b32_e32 v78, 0
	s_lshl_b64 s[46:47], s[46:47], 5
	s_and_b64 vcc, exec, s[8:9]
	buffer_store_dword v78, off, s[0:3], 0 offset:4
	buffer_store_dword v78, off, s[0:3], 0
	buffer_store_dword v78, off, s[0:3], 0 offset:12
	buffer_store_dword v78, off, s[0:3], 0 offset:8
	;; [unrolled: 1-line block ×4, first 2 shown]
	s_cbranch_vccnz .LBB257_9
; %bb.1:
	v_lshl_add_u32 v2, v33, 4, v31
	v_lshrrev_b32_e32 v4, 3, v2
	v_mov_b32_e32 v1, s47
	v_add_co_u32_e32 v0, vcc, s46, v4
	v_and_b32_e32 v5, 31, v2
	s_load_dwordx4 s[8:11], s[4:5], 0x40
	v_lshrrev_b32_e32 v30, 5, v2
	v_addc_co_u32_e32 v1, vcc, 0, v1, vcc
	v_mov_b32_e32 v3, s43
	v_or_b32_e32 v2, s42, v5
	s_add_u32 s4, s20, s6
	v_and_b32_e32 v32, 7, v31
	v_cmp_gt_i64_e32 vcc, s[12:13], v[2:3]
	v_lshlrev_b32_e32 v2, 3, v5
	s_addc_u32 s5, s21, s7
	v_lshl_or_b32 v79, v30, 8, v2
	v_lshlrev_b32_e32 v2, 3, v32
	s_load_dwordx2 s[20:21], s[4:5], 0x0
	s_add_u32 s4, s26, s6
	v_lshl_or_b32 v3, v4, 6, v2
	s_addc_u32 s5, s27, s7
	v_add_u32_e32 v80, 0x800, v3
	v_mov_b32_e32 v3, 0x800
	s_load_dwordx2 s[26:27], s[4:5], 0x0
	v_cmp_gt_i64_e64 s[4:5], s[14:15], v[0:1]
	v_lshl_add_u32 v82, v33, 6, v3
	s_waitcnt lgkmcnt(0)
	v_mul_lo_u32 v3, s9, v0
	v_mul_lo_u32 v4, s8, v1
	v_mad_u64_u32 v[0:1], s[6:7], s8, v0, 0
	v_add3_u32 v1, v1, v4, v3
	v_lshlrev_b64 v[0:1], 3, v[0:1]
	s_lshl_b64 s[6:7], s[10:11], 3
	v_mov_b32_e32 v3, s7
	v_add_co_u32_e64 v0, s[6:7], s6, v0
	v_addc_co_u32_e64 v1, s[6:7], v1, v3, s[6:7]
	v_add_co_u32_e64 v0, s[6:7], v0, v2
	v_addc_co_u32_e64 v1, s[6:7], 0, v1, s[6:7]
	v_mov_b32_e32 v2, s27
	v_add_co_u32_e64 v34, s[6:7], s26, v0
	v_addc_co_u32_e64 v35, s[6:7], v2, v1, s[6:7]
	v_mov_b32_e32 v0, s43
	v_add_co_u32_e64 v1, s[6:7], s42, v5
	v_addc_co_u32_e64 v0, s[6:7], 0, v0, s[6:7]
	v_mul_lo_u32 v2, s23, v1
	v_mul_lo_u32 v3, s22, v0
	v_mad_u64_u32 v[0:1], s[6:7], s22, v1, 0
	v_add3_u32 v1, v1, v3, v2
	v_lshlrev_b64 v[0:1], 3, v[0:1]
	s_lshl_b64 s[6:7], s[24:25], 3
	v_mov_b32_e32 v2, s7
	v_add_co_u32_e64 v0, s[6:7], s6, v0
	v_addc_co_u32_e64 v1, s[6:7], v1, v2, s[6:7]
	v_lshlrev_b32_e32 v2, 3, v30
	v_add_co_u32_e64 v0, s[6:7], v0, v2
	v_addc_co_u32_e64 v1, s[6:7], 0, v1, s[6:7]
	v_mov_b32_e32 v2, s21
	v_add_co_u32_e64 v0, s[6:7], s20, v0
	v_addc_co_u32_e64 v1, s[6:7], v1, v2, s[6:7]
	v_add_co_u32_e64 v36, s[6:7], 4, v0
	v_mov_b32_e32 v28, 0
	v_addc_co_u32_e64 v37, s[6:7], 0, v1, s[6:7]
	v_lshlrev_b32_e32 v81, 3, v31
	s_mov_b64 s[6:7], 0
	s_xor_b64 s[8:9], vcc, -1
	v_mov_b32_e32 v29, v28
	s_branch .LBB257_3
.LBB257_2:                              ;   in Loop: Header=BB257_3 Depth=1
	s_or_b64 exec, exec, s[10:11]
	s_waitcnt vmcnt(0)
	ds_write_b64 v80, v[0:1]
	s_waitcnt lgkmcnt(0)
	s_barrier
	ds_read2_b64 v[12:15], v81 offset0:32 offset1:48
	ds_read2_b64 v[16:19], v81 offset0:64 offset1:80
	;; [unrolled: 1-line block ×3, first 2 shown]
	ds_read_b128 v[4:7], v82
	ds_read_b128 v[0:3], v82 offset:16
	ds_read_b128 v[84:87], v82 offset:1024
	;; [unrolled: 1-line block ×3, first 2 shown]
	s_waitcnt lgkmcnt(6)
	v_mov_b32_e32 v49, v12
	s_waitcnt lgkmcnt(3)
	v_pk_mul_f32 v[20:21], v[6:7], v[12:13] op_sel:[0,1]
	v_pk_fma_f32 v[40:41], v[6:7], v[12:13], v[20:21] op_sel:[0,0,1] op_sel_hi:[1,0,0] neg_lo:[0,0,1] neg_hi:[0,0,1]
	v_pk_fma_f32 v[42:43], v[6:7], v[12:13], v[20:21] op_sel:[0,0,1] op_sel_hi:[1,0,0]
	v_mul_f32_e32 v12, v6, v14
	v_mov_b32_e32 v53, v13
	v_mov_b32_e32 v54, v13
	v_fma_f32 v83, -v7, v15, v12
	s_waitcnt lgkmcnt(2)
	v_pk_mul_f32 v[12:13], v[0:1], v[16:17] op_sel:[0,1]
	v_pk_fma_f32 v[56:57], v[0:1], v[16:17], v[12:13] op_sel:[0,0,1] op_sel_hi:[1,0,0] neg_lo:[0,0,1] neg_hi:[0,0,1]
	v_pk_fma_f32 v[58:59], v[0:1], v[16:17], v[12:13] op_sel:[0,0,1] op_sel_hi:[1,0,0]
	v_mul_f32_e32 v12, v0, v18
	v_fma_f32 v58, -v1, v19, v12
	v_pk_mul_f32 v[12:13], v[2:3], v[8:9] op_sel:[0,1]
	v_mov_b32_e32 v39, v8
	v_pk_fma_f32 v[64:65], v[2:3], v[8:9], v[12:13] op_sel:[0,0,1] op_sel_hi:[1,0,0] neg_lo:[0,0,1] neg_hi:[0,0,1]
	v_pk_fma_f32 v[66:67], v[2:3], v[8:9], v[12:13] op_sel:[0,0,1] op_sel_hi:[1,0,0]
	v_mul_f32_e32 v8, v2, v10
	s_waitcnt lgkmcnt(0)
	v_mul_f32_e32 v124, v27, v10
	v_mov_b32_e32 v38, v10
	v_mov_b32_e32 v96, v11
	;; [unrolled: 1-line block ×5, first 2 shown]
	ds_read2_b64 v[70:73], v81 offset0:128 offset1:144
	v_fma_f32 v66, -v3, v11, v8
	v_fmac_f32_e32 v124, v26, v11
	ds_read_b128 v[8:11], v82 offset:32
	ds_read_b128 v[20:23], v82 offset:1056
	v_mul_f32_e32 v123, v25, v18
	ds_read2_b64 v[88:91], v81 offset0:160 offset1:176
	v_mov_b32_e32 v44, v18
	v_mov_b32_e32 v45, v16
	;; [unrolled: 1-line block ×6, first 2 shown]
	v_fmac_f32_e32 v123, v24, v19
	ds_read_b128 v[16:19], v82 offset:48
	ds_read2_b64 v[92:95], v81 offset0:192 offset1:208
	s_waitcnt lgkmcnt(4)
	v_pk_mul_f32 v[12:13], v[8:9], v[70:71] op_sel:[0,1]
	v_mul_f32_e32 v122, v87, v14
	v_pk_fma_f32 v[100:101], v[8:9], v[70:71], v[12:13] op_sel:[0,0,1] op_sel_hi:[1,0,0] neg_lo:[0,0,1] neg_hi:[0,0,1]
	v_pk_fma_f32 v[102:103], v[8:9], v[70:71], v[12:13] op_sel:[0,0,1] op_sel_hi:[1,0,0]
	v_mul_f32_e32 v12, v8, v72
	v_mov_b32_e32 v48, v14
	v_mov_b32_e32 v52, v15
	v_mov_b32_e32 v55, v15
	v_fmac_f32_e32 v122, v86, v15
	v_fma_f32 v102, -v9, v73, v12
	ds_read_b128 v[12:15], v82 offset:1072
	s_waitcnt lgkmcnt(4)
	v_mul_f32_e32 v125, v21, v72
	v_mov_b32_e32 v60, v72
	v_mov_b32_e32 v68, v73
	;; [unrolled: 1-line block ×3, first 2 shown]
	v_fmac_f32_e32 v125, v20, v73
	s_waitcnt lgkmcnt(3)
	v_pk_mul_f32 v[72:73], v[10:11], v[88:89] op_sel:[0,1]
	v_mov_b32_e32 v69, v71
	v_mov_b32_e32 v62, v71
	;; [unrolled: 1-line block ×5, first 2 shown]
	v_pk_fma_f32 v[106:107], v[10:11], v[88:89], v[72:73] op_sel:[0,0,1] op_sel_hi:[1,0,0] neg_lo:[0,0,1] neg_hi:[0,0,1]
	v_pk_fma_f32 v[108:109], v[10:11], v[88:89], v[72:73] op_sel:[0,0,1] op_sel_hi:[1,0,0]
	v_mul_f32_e32 v41, v10, v90
	v_mul_f32_e32 v126, v23, v90
	s_waitcnt lgkmcnt(1)
	v_pk_mul_f32 v[88:89], v[16:17], v[92:93] op_sel:[0,1]
	v_mov_b32_e32 v61, v70
	v_mov_b32_e32 v70, v90
	;; [unrolled: 1-line block ×4, first 2 shown]
	v_fma_f32 v108, -v11, v91, v41
	v_fmac_f32_e32 v126, v22, v91
	v_mov_b32_e32 v73, v92
	v_mov_b32_e32 v77, v93
	;; [unrolled: 1-line block ×3, first 2 shown]
	v_pk_fma_f32 v[112:113], v[16:17], v[92:93], v[88:89] op_sel:[0,0,1] op_sel_hi:[1,0,0] neg_lo:[0,0,1] neg_hi:[0,0,1]
	v_pk_fma_f32 v[92:93], v[16:17], v[92:93], v[88:89] op_sel:[0,0,1] op_sel_hi:[1,0,0]
	ds_read2_b64 v[88:91], v81 offset1:16
	v_mul_f32_e32 v41, v16, v94
	s_waitcnt lgkmcnt(1)
	v_mul_f32_e32 v127, v13, v94
	v_mov_b32_e32 v72, v94
	v_mov_b32_e32 v76, v95
	;; [unrolled: 1-line block ×3, first 2 shown]
	v_fma_f32 v92, -v17, v95, v41
	v_fmac_f32_e32 v127, v12, v95
	s_waitcnt lgkmcnt(0)
	v_mov_b32_e32 v94, v91
	v_mov_b32_e32 v95, v89
	;; [unrolled: 1-line block ×4, first 2 shown]
	v_pk_mul_f32 v[118:119], v[4:5], v[88:89] op_sel:[0,1]
	v_pk_mul_f32 v[94:95], v[114:115], v[94:95]
	v_mov_b32_e32 v115, v88
	v_mov_b32_e32 v116, v89
	v_pk_fma_f32 v[120:121], v[4:5], v[88:89], v[118:119] op_sel:[0,0,1] op_sel_hi:[1,0,0] neg_lo:[0,0,1] neg_hi:[0,0,1]
	v_pk_fma_f32 v[88:89], v[4:5], v[88:89], v[118:119] op_sel:[0,0,1] op_sel_hi:[1,0,0]
	v_mul_f32_e32 v4, v4, v90
	v_fma_f32 v88, -v5, v91, v4
	v_mul_f32_e32 v118, v85, v90
	v_mov_b32_e32 v4, v5
	v_mov_b32_e32 v114, v90
	;; [unrolled: 1-line block ×3, first 2 shown]
	v_fmac_f32_e32 v118, v84, v91
	v_pk_fma_f32 v[90:91], v[4:5], v[90:91], v[94:95]
	v_mov_b32_e32 v5, v84
	v_pk_fma_f32 v[4:5], v[4:5], v[114:115], v[94:95] neg_lo:[0,0,1] neg_hi:[0,0,1]
	v_pk_mul_f32 v[94:95], v[84:85], v[114:115]
	v_pk_fma_f32 v[114:115], v[84:85], v[116:117], v[94:95] op_sel:[0,0,1] op_sel_hi:[1,1,0]
	v_pk_fma_f32 v[84:85], v[84:85], v[116:117], v[94:95] op_sel:[0,0,1] op_sel_hi:[1,1,0] neg_lo:[1,0,0] neg_hi:[1,0,0]
	v_pk_mul_f32 v[94:95], v[86:87], v[48:49]
	v_pk_fma_f32 v[116:117], v[86:87], v[54:55], v[94:95] op_sel:[0,0,1] op_sel_hi:[1,1,0]
	v_pk_fma_f32 v[54:55], v[86:87], v[54:55], v[94:95] op_sel:[0,0,1] op_sel_hi:[1,1,0] neg_lo:[1,0,0] neg_hi:[1,0,0]
	v_mov_b32_e32 v95, v86
	v_mov_b32_e32 v86, v6
	;; [unrolled: 1-line block ×4, first 2 shown]
	v_pk_mul_f32 v[6:7], v[86:87], v[52:53]
	v_pk_fma_f32 v[52:53], v[4:5], v[48:49], v[6:7]
	v_pk_fma_f32 v[6:7], v[94:95], v[48:49], v[6:7] neg_lo:[0,0,1] neg_hi:[0,0,1]
	buffer_load_dword v94, off, s[0:3], 0 offset:12
	buffer_load_dword v95, off, s[0:3], 0 offset:16
	buffer_load_dword v6, off, s[0:3], 0
	v_mov_b32_e32 v48, v0
	v_mov_b32_e32 v49, v25
	v_pk_mul_f32 v[48:49], v[48:49], v[50:51]
	v_mov_b32_e32 v0, v1
	v_mov_b32_e32 v50, v1
	;; [unrolled: 1-line block ×3, first 2 shown]
	v_pk_fma_f32 v[86:87], v[0:1], v[44:45], v[48:49]
	v_pk_mul_f32 v[0:1], v[24:25], v[44:45]
	v_pk_fma_f32 v[48:49], v[50:51], v[44:45], v[48:49] neg_lo:[0,0,1] neg_hi:[0,0,1]
	v_pk_fma_f32 v[44:45], v[24:25], v[46:47], v[0:1] op_sel:[0,0,1] op_sel_hi:[1,1,0]
	v_pk_fma_f32 v[24:25], v[24:25], v[46:47], v[0:1] op_sel:[0,0,1] op_sel_hi:[1,1,0] neg_lo:[1,0,0] neg_hi:[1,0,0]
	v_pk_mul_f32 v[0:1], v[26:27], v[38:39]
	v_pk_fma_f32 v[46:47], v[26:27], v[98:99], v[0:1] op_sel:[0,0,1] op_sel_hi:[1,1,0]
	v_pk_fma_f32 v[50:51], v[26:27], v[98:99], v[0:1] op_sel:[0,0,1] op_sel_hi:[1,1,0] neg_lo:[1,0,0] neg_hi:[1,0,0]
	v_mov_b32_e32 v1, v27
	v_mov_b32_e32 v0, v2
	;; [unrolled: 1-line block ×4, first 2 shown]
	v_pk_mul_f32 v[0:1], v[0:1], v[96:97]
	v_mov_b32_e32 v2, v3
	v_pk_fma_f32 v[26:27], v[26:27], v[38:39], v[0:1] neg_lo:[0,0,1] neg_hi:[0,0,1]
	v_pk_fma_f32 v[96:97], v[2:3], v[38:39], v[0:1]
	buffer_load_dword v26, off, s[0:3], 0 offset:20
	buffer_load_dword v38, off, s[0:3], 0 offset:4
	;; [unrolled: 1-line block ×3, first 2 shown]
	v_mov_b32_e32 v121, v89
	v_pk_add_f32 v[0:1], v[28:29], v[120:121]
	v_mov_b32_e32 v41, v43
	v_pk_add_f32 v[0:1], v[0:1], v[40:41]
	v_mov_b32_e32 v57, v59
	v_pk_add_f32 v[0:1], v[0:1], v[56:57]
	v_mov_b32_e32 v65, v67
	v_pk_add_f32 v[0:1], v[0:1], v[64:65]
	v_mov_b32_e32 v101, v103
	v_pk_add_f32 v[28:29], v[0:1], v[100:101]
	ds_read2_b64 v[0:3], v81 offset0:224 offset1:240
	v_mov_b32_e32 v115, v85
	v_mov_b32_e32 v117, v55
	;; [unrolled: 1-line block ×4, first 2 shown]
	s_waitcnt lgkmcnt(0)
	v_pk_mul_f32 v[40:41], v[18:19], v[0:1] op_sel:[0,1]
	v_pk_fma_f32 v[42:43], v[18:19], v[0:1], v[40:41] op_sel:[0,0,1] op_sel_hi:[1,0,0] neg_lo:[0,0,1] neg_hi:[0,0,1]
	v_pk_fma_f32 v[40:41], v[18:19], v[0:1], v[40:41] op_sel:[0,0,1] op_sel_hi:[1,0,0]
	v_mov_b32_e32 v43, v41
	v_pk_add_f32 v[28:29], v[28:29], v[106:107]
	v_mov_b32_e32 v113, v93
	v_pk_add_f32 v[28:29], v[28:29], v[112:113]
	;; [unrolled: 2-line block ×3, first 2 shown]
	v_mov_b32_e32 v42, v9
	v_mov_b32_e32 v91, v5
	;; [unrolled: 1-line block ×7, first 2 shown]
	v_add_co_u32_e32 v34, vcc, 64, v34
	v_addc_co_u32_e32 v35, vcc, 0, v35, vcc
	s_add_u32 s6, s6, 8
	v_add_co_u32_e32 v36, vcc, 64, v36
	s_addc_u32 s7, s7, 0
	v_addc_co_u32_e32 v37, vcc, 0, v37, vcc
	s_waitcnt vmcnt(4)
	v_pk_add_f32 v[40:41], v[94:95], v[114:115]
	v_pk_add_f32 v[40:41], v[40:41], v[116:117]
	;; [unrolled: 1-line block ×3, first 2 shown]
	v_mov_b32_e32 v40, v8
	v_mov_b32_e32 v41, v21
	v_pk_mul_f32 v[40:41], v[40:41], v[68:69]
	v_pk_fma_f32 v[8:9], v[4:5], v[60:61], v[40:41]
	s_waitcnt vmcnt(3)
	v_add_f32_e32 v4, v6, v88
	v_add_f32_e32 v4, v4, v83
	;; [unrolled: 1-line block ×6, first 2 shown]
	v_mul_f32_e32 v5, v18, v2
	v_add_f32_e32 v4, v4, v92
	v_fma_f32 v5, -v19, v3, v5
	v_pk_fma_f32 v[40:41], v[42:43], v[60:61], v[40:41] neg_lo:[0,0,1] neg_hi:[0,0,1]
	v_pk_mul_f32 v[42:43], v[20:21], v[60:61]
	v_add_f32_e32 v4, v4, v5
	v_pk_fma_f32 v[44:45], v[20:21], v[62:63], v[42:43] op_sel:[0,0,1] op_sel_hi:[1,1,0]
	v_pk_fma_f32 v[20:21], v[20:21], v[62:63], v[42:43] op_sel:[0,0,1] op_sel_hi:[1,1,0] neg_lo:[1,0,0] neg_hi:[1,0,0]
	buffer_store_dword v4, off, s[0:3], 0
	s_waitcnt vmcnt(3)
	v_add_f32_e32 v4, v26, v118
	v_pk_add_f32 v[24:25], v[24:25], v[46:47]
	v_mov_b32_e32 v45, v21
	v_add_f32_e32 v4, v4, v122
	v_pk_add_f32 v[20:21], v[24:25], v[44:45]
	v_pk_mul_f32 v[24:25], v[22:23], v[70:71]
	v_add_f32_e32 v4, v4, v123
	v_pk_fma_f32 v[42:43], v[22:23], v[104:105], v[24:25] op_sel:[0,0,1] op_sel_hi:[1,1,0]
	v_pk_fma_f32 v[24:25], v[22:23], v[104:105], v[24:25] op_sel:[0,0,1] op_sel_hi:[1,1,0] neg_lo:[1,0,0] neg_hi:[1,0,0]
	v_add_f32_e32 v4, v4, v124
	v_mov_b32_e32 v43, v25
	v_pk_mul_f32 v[24:25], v[12:13], v[72:73]
	v_add_f32_e32 v4, v4, v125
	v_pk_add_f32 v[20:21], v[20:21], v[42:43]
	v_pk_fma_f32 v[42:43], v[12:13], v[110:111], v[24:25] op_sel:[0,0,1] op_sel_hi:[1,1,0]
	v_pk_fma_f32 v[24:25], v[12:13], v[110:111], v[24:25] op_sel:[0,0,1] op_sel_hi:[1,1,0] neg_lo:[1,0,0] neg_hi:[1,0,0]
	v_add_f32_e32 v4, v4, v126
	v_mov_b32_e32 v43, v25
	v_add_f32_e32 v25, v4, v127
	s_waitcnt vmcnt(1)
	v_pk_add_f32 v[4:5], v[38:39], v[90:91]
	v_pk_add_f32 v[4:5], v[4:5], v[52:53]
	;; [unrolled: 1-line block ×4, first 2 shown]
	v_mov_b32_e32 v9, v41
	v_pk_add_f32 v[4:5], v[4:5], v[8:9]
	v_mov_b32_e32 v8, v10
	v_mov_b32_e32 v9, v23
	;; [unrolled: 1-line block ×3, first 2 shown]
	v_pk_mul_f32 v[8:9], v[8:9], v[74:75]
	v_mov_b32_e32 v10, v11
	v_mov_b32_e32 v11, v22
	v_pk_fma_f32 v[6:7], v[6:7], v[70:71], v[8:9]
	v_pk_fma_f32 v[8:9], v[10:11], v[70:71], v[8:9] neg_lo:[0,0,1] neg_hi:[0,0,1]
	v_mov_b32_e32 v7, v9
	v_pk_add_f32 v[4:5], v[4:5], v[6:7]
	v_mov_b32_e32 v6, v16
	v_mov_b32_e32 v7, v13
	;; [unrolled: 1-line block ×3, first 2 shown]
	v_pk_mul_f32 v[6:7], v[6:7], v[76:77]
	v_mov_b32_e32 v8, v17
	v_mov_b32_e32 v9, v12
	v_pk_fma_f32 v[10:11], v[24:25], v[72:73], v[6:7]
	v_pk_fma_f32 v[6:7], v[8:9], v[72:73], v[6:7] neg_lo:[0,0,1] neg_hi:[0,0,1]
	v_mov_b32_e32 v38, v3
	v_mov_b32_e32 v39, v1
	;; [unrolled: 1-line block ×9, first 2 shown]
	v_pk_mul_f32 v[8:9], v[18:19], v[38:39]
	v_pk_add_f32 v[20:21], v[20:21], v[42:43]
	v_mov_b32_e32 v42, v1
	v_pk_fma_f32 v[0:1], v[0:1], v[44:45], v[8:9]
	v_pk_fma_f32 v[6:7], v[6:7], v[44:45], v[8:9] neg_lo:[0,0,1] neg_hi:[0,0,1]
	v_pk_add_f32 v[4:5], v[4:5], v[10:11]
	v_mov_b32_e32 v1, v7
	v_pk_add_f32 v[0:1], v[4:5], v[0:1]
	v_mov_b32_e32 v43, v3
	buffer_store_dword v1, off, s[0:3], 0 offset:8
	buffer_store_dword v0, off, s[0:3], 0 offset:4
	v_pk_mul_f32 v[0:1], v[14:15], v[44:45]
	v_pk_fma_f32 v[4:5], v[14:15], v[42:43], v[0:1] op_sel:[0,0,1] op_sel_hi:[1,1,0]
	v_pk_fma_f32 v[0:1], v[14:15], v[42:43], v[0:1] op_sel:[0,0,1] op_sel_hi:[1,1,0] neg_lo:[1,0,0] neg_hi:[1,0,0]
	v_mov_b32_e32 v5, v1
	v_mul_f32_e32 v2, v15, v2
	v_fmac_f32_e32 v2, v14, v3
	v_pk_add_f32 v[0:1], v[20:21], v[4:5]
	v_add_f32_e32 v2, v25, v2
	buffer_store_dword v0, off, s[0:3], 0 offset:12
	buffer_store_dword v1, off, s[0:3], 0 offset:16
	;; [unrolled: 1-line block ×3, first 2 shown]
	v_pk_mov_b32 v[0:1], s[16:17], s[16:17] op_sel:[0,1]
	v_cmp_lt_i64_e32 vcc, s[6:7], v[0:1]
	s_barrier
	s_cbranch_vccz .LBB257_10
.LBB257_3:                              ; =>This Inner Loop Header: Depth=1
	v_mov_b32_e32 v1, s7
	v_add_co_u32_e32 v0, vcc, s6, v30
	v_addc_co_u32_e32 v1, vcc, 0, v1, vcc
	v_cmp_le_i64_e32 vcc, s[16:17], v[0:1]
	s_or_b64 s[10:11], s[8:9], vcc
                                        ; implicit-def: $sgpr20
	s_and_saveexec_b64 s[22:23], s[10:11]
	s_xor_b64 s[10:11], exec, s[22:23]
	s_cbranch_execz .LBB257_5
; %bb.4:                                ;   in Loop: Header=BB257_3 Depth=1
	ds_write_b32 v79, v78
	s_mov_b32 s20, 0
.LBB257_5:                              ;   in Loop: Header=BB257_3 Depth=1
	s_or_saveexec_b64 s[10:11], s[10:11]
	v_mov_b32_e32 v0, s20
	s_xor_b64 exec, exec, s[10:11]
	s_cbranch_execz .LBB257_7
; %bb.6:                                ;   in Loop: Header=BB257_3 Depth=1
	global_load_dwordx2 v[2:3], v[36:37], off offset:-4
	s_waitcnt vmcnt(0)
	v_xor_b32_e32 v0, 0x80000000, v3
	ds_write_b32 v79, v2
.LBB257_7:                              ;   in Loop: Header=BB257_3 Depth=1
	s_or_b64 exec, exec, s[10:11]
	ds_write_b32 v79, v0 offset:4
	v_mov_b32_e32 v1, s7
	v_add_co_u32_e32 v0, vcc, s6, v32
	v_addc_co_u32_e32 v1, vcc, 0, v1, vcc
	v_cmp_gt_i64_e32 vcc, s[16:17], v[0:1]
	s_and_b64 s[20:21], vcc, s[4:5]
	v_mov_b32_e32 v0, 0
	v_mov_b32_e32 v1, 0
	s_and_saveexec_b64 s[10:11], s[20:21]
	s_cbranch_execz .LBB257_2
; %bb.8:                                ;   in Loop: Header=BB257_3 Depth=1
	global_load_dwordx2 v[0:1], v[34:35], off
	s_branch .LBB257_2
.LBB257_9:
	v_mov_b32_e32 v29, 0
	v_mov_b32_e32 v28, v78
.LBB257_10:
	s_lshl_b64 s[4:5], s[30:31], 3
	s_waitcnt lgkmcnt(0)
	s_add_u32 s20, s44, s4
	s_addc_u32 s21, s45, s5
	v_mov_b32_e32 v1, s47
	v_add_co_u32_e32 v0, vcc, s46, v33
	s_or_b32 s4, s34, s35
	v_addc_co_u32_e32 v1, vcc, 0, v1, vcc
	s_bitset0_b32 s4, 31
	s_cmp_lg_u32 s4, 0
	v_cmp_gt_i64_e64 s[4:5], s[14:15], v[0:1]
	s_mov_b64 s[6:7], -1
	s_cbranch_scc1 .LBB257_22
; %bb.11:
	s_and_saveexec_b64 s[10:11], s[4:5]
	s_cbranch_execz .LBB257_21
; %bb.12:
	v_mov_b32_e32 v2, s43
	v_add_co_u32_e32 v4, vcc, s42, v31
	v_addc_co_u32_e32 v5, vcc, 0, v2, vcc
	v_mul_lo_u32 v6, v1, s28
	v_mul_lo_u32 v7, v0, s29
	v_mad_u64_u32 v[2:3], s[6:7], v0, s28, 0
	v_add3_u32 v3, v3, v7, v6
	v_lshlrev_b64 v[2:3], 3, v[2:3]
	v_mov_b32_e32 v7, s21
	v_add_co_u32_e64 v6, s[6:7], s20, v2
	v_cmp_gt_i64_e32 vcc, s[12:13], v[4:5]
	v_addc_co_u32_e64 v7, s[6:7], v7, v3, s[6:7]
	v_lshlrev_b64 v[2:3], 3, v[4:5]
	s_and_saveexec_b64 s[8:9], vcc
	s_cbranch_execz .LBB257_14
; %bb.13:
	v_mul_f32_e32 v8, s19, v29
	v_mul_f32_e32 v9, s18, v29
	v_add_co_u32_e64 v10, s[6:7], v6, v2
	v_fma_f32 v8, v28, s18, -v8
	v_fmac_f32_e32 v9, s19, v28
	v_addc_co_u32_e64 v11, s[6:7], v7, v3, s[6:7]
	global_store_dwordx2 v[10:11], v[8:9], off
.LBB257_14:
	s_or_b64 exec, exec, s[8:9]
	v_add_co_u32_e64 v4, s[6:7], 16, v4
	v_addc_co_u32_e64 v5, s[6:7], 0, v5, s[6:7]
	v_cmp_gt_i64_e64 s[6:7], s[12:13], v[4:5]
	s_and_saveexec_b64 s[16:17], s[6:7]
	s_cbranch_execz .LBB257_16
; %bb.15:
	buffer_load_dword v4, off, s[0:3], 0 offset:4
	buffer_load_dword v8, off, s[0:3], 0
	s_waitcnt vmcnt(1)
	v_mul_f32_e32 v9, s19, v4
	v_mul_f32_e32 v5, s18, v4
	s_waitcnt vmcnt(0)
	v_fma_f32 v4, v8, s18, -v9
	v_fmac_f32_e32 v5, s19, v8
	v_add_co_u32_e64 v8, s[8:9], v6, v2
	v_addc_co_u32_e64 v9, s[8:9], v7, v3, s[8:9]
	global_store_dwordx2 v[8:9], v[4:5], off offset:128
.LBB257_16:
	s_or_b64 exec, exec, s[16:17]
	v_add_co_u32_e64 v4, s[8:9], 16, v0
	v_addc_co_u32_e64 v5, s[8:9], 0, v1, s[8:9]
	v_cmp_gt_i64_e64 s[8:9], s[14:15], v[4:5]
	s_and_b64 exec, exec, s[8:9]
	s_cbranch_execz .LBB257_21
; %bb.17:
	buffer_load_dword v4, off, s[0:3], 0 offset:16
	buffer_load_dword v5, off, s[0:3], 0 offset:20
	s_lshl_b64 s[8:9], s[28:29], 7
	v_mov_b32_e32 v8, s9
	v_add_co_u32_e64 v6, s[8:9], s8, v6
	v_addc_co_u32_e64 v7, s[8:9], v7, v8, s[8:9]
	v_add_co_u32_e64 v2, s[8:9], v6, v2
	v_addc_co_u32_e64 v3, s[8:9], v7, v3, s[8:9]
	s_and_saveexec_b64 s[8:9], vcc
	s_cbranch_execz .LBB257_19
; %bb.18:
	buffer_load_dword v6, off, s[0:3], 0 offset:12
	buffer_load_dword v8, off, s[0:3], 0 offset:8
	s_waitcnt vmcnt(1)
	v_mul_f32_e32 v9, s19, v6
	v_mul_f32_e32 v7, s18, v6
	s_waitcnt vmcnt(0)
	v_fma_f32 v6, v8, s18, -v9
	v_fmac_f32_e32 v7, s19, v8
	global_store_dwordx2 v[2:3], v[6:7], off
.LBB257_19:
	s_or_b64 exec, exec, s[8:9]
	s_and_b64 exec, exec, s[6:7]
	s_cbranch_execz .LBB257_21
; %bb.20:
	s_waitcnt vmcnt(0)
	v_mul_f32_e32 v6, s19, v5
	v_mul_f32_e32 v7, s18, v5
	v_fma_f32 v6, v4, s18, -v6
	v_fmac_f32_e32 v7, s19, v4
	global_store_dwordx2 v[2:3], v[6:7], off offset:128
.LBB257_21:
	s_or_b64 exec, exec, s[10:11]
	s_mov_b64 s[6:7], 0
.LBB257_22:
	s_andn2_b64 vcc, exec, s[6:7]
	s_cbranch_vccnz .LBB257_33
; %bb.23:
	s_and_saveexec_b64 s[6:7], s[4:5]
	s_cbranch_execz .LBB257_33
; %bb.24:
	s_lshl_b64 s[4:5], s[40:41], 3
	s_add_u32 s6, s36, s4
	v_mov_b32_e32 v2, s43
	s_waitcnt vmcnt(1)
	v_add_co_u32_e32 v4, vcc, s42, v31
	s_addc_u32 s7, s37, s5
	s_waitcnt vmcnt(0)
	v_addc_co_u32_e32 v5, vcc, 0, v2, vcc
	v_mul_lo_u32 v6, v1, s38
	v_mul_lo_u32 v7, v0, s39
	v_mad_u64_u32 v[2:3], s[4:5], v0, s38, 0
	v_add3_u32 v3, v3, v7, v6
	v_mul_lo_u32 v6, v1, s28
	v_mul_lo_u32 v7, v0, s29
	v_mad_u64_u32 v[8:9], s[4:5], v0, s28, 0
	v_lshlrev_b64 v[2:3], 3, v[2:3]
	v_add3_u32 v9, v9, v7, v6
	v_mov_b32_e32 v7, s7
	v_add_co_u32_e64 v6, s[4:5], s6, v2
	v_addc_co_u32_e64 v7, s[4:5], v7, v3, s[4:5]
	v_lshlrev_b64 v[2:3], 3, v[8:9]
	v_mov_b32_e32 v9, s21
	v_add_co_u32_e64 v8, s[4:5], s20, v2
	v_cmp_gt_i64_e32 vcc, s[12:13], v[4:5]
	v_addc_co_u32_e64 v9, s[4:5], v9, v3, s[4:5]
	v_lshlrev_b64 v[2:3], 3, v[4:5]
	s_and_saveexec_b64 s[6:7], vcc
	s_cbranch_execz .LBB257_26
; %bb.25:
	v_add_co_u32_e64 v10, s[4:5], v6, v2
	v_addc_co_u32_e64 v11, s[4:5], v7, v3, s[4:5]
	global_load_dwordx2 v[10:11], v[10:11], off
	v_mul_f32_e32 v12, s19, v29
	v_mul_f32_e32 v13, s18, v29
	v_fma_f32 v12, v28, s18, -v12
	v_fmac_f32_e32 v13, s19, v28
	s_waitcnt vmcnt(0)
	v_mul_f32_e32 v14, s35, v11
	v_mul_f32_e32 v11, s34, v11
	v_fma_f32 v14, v10, s34, -v14
	v_fmac_f32_e32 v11, s35, v10
	v_add_f32_e32 v10, v12, v14
	v_add_co_u32_e64 v12, s[4:5], v8, v2
	v_add_f32_e32 v11, v13, v11
	v_addc_co_u32_e64 v13, s[4:5], v9, v3, s[4:5]
	global_store_dwordx2 v[12:13], v[10:11], off
.LBB257_26:
	s_or_b64 exec, exec, s[6:7]
	v_add_co_u32_e64 v4, s[4:5], 16, v4
	v_addc_co_u32_e64 v5, s[4:5], 0, v5, s[4:5]
	v_cmp_gt_i64_e64 s[4:5], s[12:13], v[4:5]
	s_and_saveexec_b64 s[8:9], s[4:5]
	s_cbranch_execz .LBB257_28
; %bb.27:
	v_add_co_u32_e64 v4, s[6:7], v6, v2
	buffer_load_dword v10, off, s[0:3], 0
	buffer_load_dword v11, off, s[0:3], 0 offset:4
	v_addc_co_u32_e64 v5, s[6:7], v7, v3, s[6:7]
	global_load_dwordx2 v[4:5], v[4:5], off offset:128
	s_waitcnt vmcnt(1)
	v_mul_f32_e32 v12, s19, v11
	v_mul_f32_e32 v11, s18, v11
	v_fma_f32 v12, v10, s18, -v12
	v_fmac_f32_e32 v11, s19, v10
	s_waitcnt vmcnt(0)
	v_mul_f32_e32 v10, s35, v5
	v_mul_f32_e32 v5, s34, v5
	v_fma_f32 v10, v4, s34, -v10
	v_fmac_f32_e32 v5, s35, v4
	v_add_f32_e32 v4, v12, v10
	v_add_co_u32_e64 v10, s[6:7], v8, v2
	v_add_f32_e32 v5, v11, v5
	v_addc_co_u32_e64 v11, s[6:7], v9, v3, s[6:7]
	global_store_dwordx2 v[10:11], v[4:5], off offset:128
.LBB257_28:
	s_or_b64 exec, exec, s[8:9]
	v_add_co_u32_e64 v0, s[6:7], 16, v0
	v_addc_co_u32_e64 v1, s[6:7], 0, v1, s[6:7]
	v_cmp_gt_i64_e64 s[6:7], s[14:15], v[0:1]
	s_and_b64 exec, exec, s[6:7]
	s_cbranch_execz .LBB257_33
; %bb.29:
	buffer_load_dword v10, off, s[0:3], 0 offset:16
	buffer_load_dword v11, off, s[0:3], 0 offset:20
	s_lshl_b64 s[6:7], s[38:39], 7
	v_mov_b32_e32 v0, s7
	v_add_co_u32_e64 v1, s[6:7], s6, v6
	v_addc_co_u32_e64 v0, s[6:7], v7, v0, s[6:7]
	s_lshl_b64 s[6:7], s[28:29], 7
	v_mov_b32_e32 v4, s7
	v_add_co_u32_e64 v6, s[6:7], s6, v8
	v_addc_co_u32_e64 v7, s[6:7], v9, v4, s[6:7]
	v_add_co_u32_e64 v4, s[6:7], v1, v2
	v_addc_co_u32_e64 v5, s[6:7], v0, v3, s[6:7]
	;; [unrolled: 2-line block ×3, first 2 shown]
	s_and_saveexec_b64 s[6:7], vcc
	s_cbranch_execz .LBB257_31
; %bb.30:
	buffer_load_dword v6, off, s[0:3], 0 offset:12
	buffer_load_dword v7, off, s[0:3], 0 offset:8
	global_load_dwordx2 v[2:3], v[4:5], off
	s_waitcnt vmcnt(2)
	v_mul_f32_e32 v8, s19, v6
	v_mul_f32_e32 v6, s18, v6
	s_waitcnt vmcnt(0)
	v_mul_f32_e32 v9, s35, v3
	v_mul_f32_e32 v3, s34, v3
	v_fma_f32 v8, v7, s18, -v8
	v_fmac_f32_e32 v6, s19, v7
	v_fma_f32 v7, v2, s34, -v9
	v_fmac_f32_e32 v3, s35, v2
	v_add_f32_e32 v2, v8, v7
	v_add_f32_e32 v3, v6, v3
	global_store_dwordx2 v[0:1], v[2:3], off
.LBB257_31:
	s_or_b64 exec, exec, s[6:7]
	s_and_b64 exec, exec, s[4:5]
	s_cbranch_execz .LBB257_33
; %bb.32:
	global_load_dwordx2 v[2:3], v[4:5], off offset:128
	s_waitcnt vmcnt(1)
	v_mul_f32_e32 v4, s19, v11
	v_mul_f32_e32 v5, s18, v11
	v_fma_f32 v4, v10, s18, -v4
	v_fmac_f32_e32 v5, s19, v10
	s_waitcnt vmcnt(0)
	v_mul_f32_e32 v6, s35, v3
	v_mul_f32_e32 v3, s34, v3
	v_fma_f32 v6, v2, s34, -v6
	v_fmac_f32_e32 v3, s35, v2
	v_add_f32_e32 v2, v4, v6
	v_add_f32_e32 v3, v5, v3
	global_store_dwordx2 v[0:1], v[2:3], off offset:128
.LBB257_33:
	s_endpgm
	.section	.rodata,"a",@progbits
	.p2align	6, 0x0
	.amdhsa_kernel _ZN12_GLOBAL__N_135rocblas_gemm_batched_general_kernelI19rocblas_complex_numIfELi16ELi16ELi32ELi32ELi8ELi32ELi8ELi8ELi32ELc67ELc78EKPKS2_S5_KPS2_EEvlllT_PT11_llSA_llS8_PT12_llPT13_lli
		.amdhsa_group_segment_fixed_size 4096
		.amdhsa_private_segment_fixed_size 32
		.amdhsa_kernarg_size 140
		.amdhsa_user_sgpr_count 8
		.amdhsa_user_sgpr_private_segment_buffer 1
		.amdhsa_user_sgpr_dispatch_ptr 0
		.amdhsa_user_sgpr_queue_ptr 0
		.amdhsa_user_sgpr_kernarg_segment_ptr 1
		.amdhsa_user_sgpr_dispatch_id 0
		.amdhsa_user_sgpr_flat_scratch_init 1
		.amdhsa_user_sgpr_kernarg_preload_length 0
		.amdhsa_user_sgpr_kernarg_preload_offset 0
		.amdhsa_user_sgpr_private_segment_size 0
		.amdhsa_uses_dynamic_stack 0
		.amdhsa_system_sgpr_private_segment_wavefront_offset 1
		.amdhsa_system_sgpr_workgroup_id_x 1
		.amdhsa_system_sgpr_workgroup_id_y 1
		.amdhsa_system_sgpr_workgroup_id_z 1
		.amdhsa_system_sgpr_workgroup_info 0
		.amdhsa_system_vgpr_workitem_id 1
		.amdhsa_next_free_vgpr 128
		.amdhsa_next_free_sgpr 48
		.amdhsa_accum_offset 128
		.amdhsa_reserve_vcc 1
		.amdhsa_reserve_flat_scratch 0
		.amdhsa_float_round_mode_32 0
		.amdhsa_float_round_mode_16_64 0
		.amdhsa_float_denorm_mode_32 3
		.amdhsa_float_denorm_mode_16_64 3
		.amdhsa_dx10_clamp 1
		.amdhsa_ieee_mode 1
		.amdhsa_fp16_overflow 0
		.amdhsa_tg_split 0
		.amdhsa_exception_fp_ieee_invalid_op 0
		.amdhsa_exception_fp_denorm_src 0
		.amdhsa_exception_fp_ieee_div_zero 0
		.amdhsa_exception_fp_ieee_overflow 0
		.amdhsa_exception_fp_ieee_underflow 0
		.amdhsa_exception_fp_ieee_inexact 0
		.amdhsa_exception_int_div_zero 0
	.end_amdhsa_kernel
	.section	.text._ZN12_GLOBAL__N_135rocblas_gemm_batched_general_kernelI19rocblas_complex_numIfELi16ELi16ELi32ELi32ELi8ELi32ELi8ELi8ELi32ELc67ELc78EKPKS2_S5_KPS2_EEvlllT_PT11_llSA_llS8_PT12_llPT13_lli,"axG",@progbits,_ZN12_GLOBAL__N_135rocblas_gemm_batched_general_kernelI19rocblas_complex_numIfELi16ELi16ELi32ELi32ELi8ELi32ELi8ELi8ELi32ELc67ELc78EKPKS2_S5_KPS2_EEvlllT_PT11_llSA_llS8_PT12_llPT13_lli,comdat
.Lfunc_end257:
	.size	_ZN12_GLOBAL__N_135rocblas_gemm_batched_general_kernelI19rocblas_complex_numIfELi16ELi16ELi32ELi32ELi8ELi32ELi8ELi8ELi32ELc67ELc78EKPKS2_S5_KPS2_EEvlllT_PT11_llSA_llS8_PT12_llPT13_lli, .Lfunc_end257-_ZN12_GLOBAL__N_135rocblas_gemm_batched_general_kernelI19rocblas_complex_numIfELi16ELi16ELi32ELi32ELi8ELi32ELi8ELi8ELi32ELc67ELc78EKPKS2_S5_KPS2_EEvlllT_PT11_llSA_llS8_PT12_llPT13_lli
                                        ; -- End function
	.section	.AMDGPU.csdata,"",@progbits
; Kernel info:
; codeLenInByte = 3804
; NumSgprs: 52
; NumVgprs: 128
; NumAgprs: 0
; TotalNumVgprs: 128
; ScratchSize: 32
; MemoryBound: 0
; FloatMode: 240
; IeeeMode: 1
; LDSByteSize: 4096 bytes/workgroup (compile time only)
; SGPRBlocks: 6
; VGPRBlocks: 15
; NumSGPRsForWavesPerEU: 52
; NumVGPRsForWavesPerEU: 128
; AccumOffset: 128
; Occupancy: 4
; WaveLimiterHint : 1
; COMPUTE_PGM_RSRC2:SCRATCH_EN: 1
; COMPUTE_PGM_RSRC2:USER_SGPR: 8
; COMPUTE_PGM_RSRC2:TRAP_HANDLER: 0
; COMPUTE_PGM_RSRC2:TGID_X_EN: 1
; COMPUTE_PGM_RSRC2:TGID_Y_EN: 1
; COMPUTE_PGM_RSRC2:TGID_Z_EN: 1
; COMPUTE_PGM_RSRC2:TIDIG_COMP_CNT: 1
; COMPUTE_PGM_RSRC3_GFX90A:ACCUM_OFFSET: 31
; COMPUTE_PGM_RSRC3_GFX90A:TG_SPLIT: 0
	.section	.text._ZN12_GLOBAL__N_135rocblas_gemm_batched_general_kernelI19rocblas_complex_numIfELi16ELi16ELi32ELi32ELi8ELi32ELi8ELi8ELi32ELc67ELc84EKPKS2_S5_KPS2_EEvlllT_PT11_llSA_llS8_PT12_llPT13_lli,"axG",@progbits,_ZN12_GLOBAL__N_135rocblas_gemm_batched_general_kernelI19rocblas_complex_numIfELi16ELi16ELi32ELi32ELi8ELi32ELi8ELi8ELi32ELc67ELc84EKPKS2_S5_KPS2_EEvlllT_PT11_llSA_llS8_PT12_llPT13_lli,comdat
	.globl	_ZN12_GLOBAL__N_135rocblas_gemm_batched_general_kernelI19rocblas_complex_numIfELi16ELi16ELi32ELi32ELi8ELi32ELi8ELi8ELi32ELc67ELc84EKPKS2_S5_KPS2_EEvlllT_PT11_llSA_llS8_PT12_llPT13_lli ; -- Begin function _ZN12_GLOBAL__N_135rocblas_gemm_batched_general_kernelI19rocblas_complex_numIfELi16ELi16ELi32ELi32ELi8ELi32ELi8ELi8ELi32ELc67ELc84EKPKS2_S5_KPS2_EEvlllT_PT11_llSA_llS8_PT12_llPT13_lli
	.p2align	8
	.type	_ZN12_GLOBAL__N_135rocblas_gemm_batched_general_kernelI19rocblas_complex_numIfELi16ELi16ELi32ELi32ELi8ELi32ELi8ELi8ELi32ELc67ELc84EKPKS2_S5_KPS2_EEvlllT_PT11_llSA_llS8_PT12_llPT13_lli,@function
_ZN12_GLOBAL__N_135rocblas_gemm_batched_general_kernelI19rocblas_complex_numIfELi16ELi16ELi32ELi32ELi8ELi32ELi8ELi8ELi32ELc67ELc84EKPKS2_S5_KPS2_EEvlllT_PT11_llSA_llS8_PT12_llPT13_lli: ; @_ZN12_GLOBAL__N_135rocblas_gemm_batched_general_kernelI19rocblas_complex_numIfELi16ELi16ELi32ELi32ELi8ELi32ELi8ELi8ELi32ELc67ELc84EKPKS2_S5_KPS2_EEvlllT_PT11_llSA_llS8_PT12_llPT13_lli
; %bb.0:
	s_load_dwordx16 s[12:27], s[4:5], 0x0
	s_load_dwordx4 s[28:31], s[4:5], 0x78
	s_load_dwordx8 s[36:43], s[4:5], 0x58
	s_load_dwordx2 s[34:35], s[4:5], 0x50
	s_add_u32 s0, s0, s11
	s_mov_b32 s11, 0
	s_addc_u32 s1, s1, 0
	s_lshl_b64 s[48:49], s[10:11], 3
	s_waitcnt lgkmcnt(0)
	s_add_u32 s10, s36, s48
	s_addc_u32 s11, s37, s49
	s_load_dwordx2 s[36:37], s[10:11], 0x0
	s_add_u32 s10, s42, s48
	s_addc_u32 s11, s43, s49
	s_load_dwordx2 s[44:45], s[10:11], 0x0
	s_mov_b32 s6, s9
	s_ashr_i32 s9, s8, 31
	s_lshl_b64 s[42:43], s[8:9], 5
	s_ashr_i32 s7, s6, 31
	v_cmp_lt_i64_e64 s[8:9], s[16:17], 1
	v_and_b32_e32 v31, 0x3ff, v0
	v_bfe_u32 v33, v0, 10, 10
	v_mov_b32_e32 v78, 0
	s_lshl_b64 s[46:47], s[6:7], 5
	s_and_b64 vcc, exec, s[8:9]
	buffer_store_dword v78, off, s[0:3], 0 offset:4
	buffer_store_dword v78, off, s[0:3], 0
	buffer_store_dword v78, off, s[0:3], 0 offset:12
	buffer_store_dword v78, off, s[0:3], 0 offset:8
	;; [unrolled: 1-line block ×4, first 2 shown]
	s_cbranch_vccnz .LBB258_9
; %bb.1:
	s_load_dwordx4 s[8:11], s[4:5], 0x40
	s_add_u32 s4, s20, s48
	v_lshl_add_u32 v4, v33, 4, v31
	s_addc_u32 s5, s21, s49
	v_lshrrev_b32_e32 v5, 3, v4
	s_load_dwordx2 s[20:21], s[4:5], 0x0
	s_add_u32 s4, s26, s48
	v_mov_b32_e32 v1, s47
	v_add_co_u32_e32 v0, vcc, s46, v5
	s_addc_u32 s5, s27, s49
	v_and_b32_e32 v32, 7, v31
	v_addc_co_u32_e32 v1, vcc, 0, v1, vcc
	s_load_dwordx2 s[26:27], s[4:5], 0x0
	v_cmp_gt_i64_e64 s[4:5], s[14:15], v[0:1]
	v_lshlrev_b32_e32 v0, 3, v32
	v_and_b32_e32 v6, 31, v4
	v_lshl_or_b32 v0, v5, 6, v0
	v_mov_b32_e32 v3, s43
	v_or_b32_e32 v2, s42, v6
	v_add_u32_e32 v80, 0x800, v0
	v_mov_b32_e32 v0, 0x800
	v_lshrrev_b32_e32 v30, 5, v4
	v_cmp_gt_i64_e32 vcc, s[12:13], v[2:3]
	v_lshlrev_b32_e32 v2, 3, v6
	v_lshl_add_u32 v82, v33, 6, v0
	s_waitcnt lgkmcnt(0)
	v_mad_u64_u32 v[0:1], s[48:49], s8, v32, 0
	v_lshl_or_b32 v79, v30, 8, v2
	v_mov_b32_e32 v2, v1
	v_mad_u64_u32 v[2:3], s[48:49], s9, v32, v[2:3]
	s_lshl_b64 s[6:7], s[6:7], 8
	s_lshl_b64 s[10:11], s[10:11], 3
	v_mov_b32_e32 v1, v2
	s_add_u32 s6, s10, s6
	v_lshlrev_b64 v[0:1], 3, v[0:1]
	s_addc_u32 s7, s11, s7
	v_mov_b32_e32 v2, s7
	v_add_co_u32_e64 v0, s[6:7], s6, v0
	v_addc_co_u32_e64 v1, s[6:7], v2, v1, s[6:7]
	v_and_b32_e32 v2, 0x7ff8, v4
	v_add_co_u32_e64 v0, s[6:7], v0, v2
	v_addc_co_u32_e64 v1, s[6:7], 0, v1, s[6:7]
	v_mov_b32_e32 v2, s27
	v_add_co_u32_e64 v34, s[6:7], s26, v0
	v_addc_co_u32_e64 v35, s[6:7], v2, v1, s[6:7]
	v_mov_b32_e32 v0, s43
	v_add_co_u32_e64 v1, s[6:7], s42, v6
	v_addc_co_u32_e64 v0, s[6:7], 0, v0, s[6:7]
	v_mul_lo_u32 v2, s23, v1
	v_mul_lo_u32 v3, s22, v0
	v_mad_u64_u32 v[0:1], s[6:7], s22, v1, 0
	v_add3_u32 v1, v1, v3, v2
	v_lshlrev_b64 v[0:1], 3, v[0:1]
	s_lshl_b64 s[6:7], s[24:25], 3
	v_mov_b32_e32 v2, s7
	v_add_co_u32_e64 v0, s[6:7], s6, v0
	v_addc_co_u32_e64 v1, s[6:7], v1, v2, s[6:7]
	v_lshlrev_b32_e32 v2, 3, v30
	v_add_co_u32_e64 v0, s[6:7], v0, v2
	v_addc_co_u32_e64 v1, s[6:7], 0, v1, s[6:7]
	v_mov_b32_e32 v2, s21
	v_add_co_u32_e64 v0, s[6:7], s20, v0
	v_addc_co_u32_e64 v1, s[6:7], v1, v2, s[6:7]
	v_add_co_u32_e64 v36, s[6:7], 4, v0
	v_mov_b32_e32 v28, 0
	v_addc_co_u32_e64 v37, s[6:7], 0, v1, s[6:7]
	v_lshlrev_b32_e32 v81, 3, v31
	s_lshl_b64 s[8:9], s[8:9], 6
	s_mov_b64 s[6:7], 0
	s_xor_b64 s[10:11], vcc, -1
	v_mov_b32_e32 v29, v28
	s_branch .LBB258_3
.LBB258_2:                              ;   in Loop: Header=BB258_3 Depth=1
	s_or_b64 exec, exec, s[20:21]
	s_waitcnt vmcnt(0)
	ds_write_b64 v80, v[0:1]
	s_waitcnt lgkmcnt(0)
	s_barrier
	ds_read2_b64 v[12:15], v81 offset0:32 offset1:48
	ds_read2_b64 v[16:19], v81 offset0:64 offset1:80
	;; [unrolled: 1-line block ×3, first 2 shown]
	ds_read_b128 v[4:7], v82
	ds_read_b128 v[0:3], v82 offset:16
	ds_read_b128 v[84:87], v82 offset:1024
	;; [unrolled: 1-line block ×3, first 2 shown]
	s_waitcnt lgkmcnt(6)
	v_mov_b32_e32 v49, v12
	s_waitcnt lgkmcnt(3)
	v_pk_mul_f32 v[20:21], v[6:7], v[12:13] op_sel:[0,1]
	v_pk_fma_f32 v[40:41], v[6:7], v[12:13], v[20:21] op_sel:[0,0,1] op_sel_hi:[1,0,0] neg_lo:[0,0,1] neg_hi:[0,0,1]
	v_pk_fma_f32 v[42:43], v[6:7], v[12:13], v[20:21] op_sel:[0,0,1] op_sel_hi:[1,0,0]
	v_mul_f32_e32 v12, v6, v14
	v_mov_b32_e32 v53, v13
	v_mov_b32_e32 v54, v13
	v_fma_f32 v83, -v7, v15, v12
	s_waitcnt lgkmcnt(2)
	v_pk_mul_f32 v[12:13], v[0:1], v[16:17] op_sel:[0,1]
	v_pk_fma_f32 v[56:57], v[0:1], v[16:17], v[12:13] op_sel:[0,0,1] op_sel_hi:[1,0,0] neg_lo:[0,0,1] neg_hi:[0,0,1]
	v_pk_fma_f32 v[58:59], v[0:1], v[16:17], v[12:13] op_sel:[0,0,1] op_sel_hi:[1,0,0]
	v_mul_f32_e32 v12, v0, v18
	v_fma_f32 v58, -v1, v19, v12
	v_pk_mul_f32 v[12:13], v[2:3], v[8:9] op_sel:[0,1]
	v_mov_b32_e32 v39, v8
	v_pk_fma_f32 v[64:65], v[2:3], v[8:9], v[12:13] op_sel:[0,0,1] op_sel_hi:[1,0,0] neg_lo:[0,0,1] neg_hi:[0,0,1]
	v_pk_fma_f32 v[66:67], v[2:3], v[8:9], v[12:13] op_sel:[0,0,1] op_sel_hi:[1,0,0]
	v_mul_f32_e32 v8, v2, v10
	s_waitcnt lgkmcnt(0)
	v_mul_f32_e32 v124, v27, v10
	v_mov_b32_e32 v38, v10
	v_mov_b32_e32 v96, v11
	;; [unrolled: 1-line block ×5, first 2 shown]
	ds_read2_b64 v[70:73], v81 offset0:128 offset1:144
	v_fma_f32 v66, -v3, v11, v8
	v_fmac_f32_e32 v124, v26, v11
	ds_read_b128 v[8:11], v82 offset:32
	ds_read_b128 v[20:23], v82 offset:1056
	v_mul_f32_e32 v123, v25, v18
	ds_read2_b64 v[88:91], v81 offset0:160 offset1:176
	v_mov_b32_e32 v44, v18
	v_mov_b32_e32 v45, v16
	;; [unrolled: 1-line block ×6, first 2 shown]
	v_fmac_f32_e32 v123, v24, v19
	ds_read_b128 v[16:19], v82 offset:48
	ds_read2_b64 v[92:95], v81 offset0:192 offset1:208
	s_waitcnt lgkmcnt(4)
	v_pk_mul_f32 v[12:13], v[8:9], v[70:71] op_sel:[0,1]
	v_mul_f32_e32 v122, v87, v14
	v_pk_fma_f32 v[100:101], v[8:9], v[70:71], v[12:13] op_sel:[0,0,1] op_sel_hi:[1,0,0] neg_lo:[0,0,1] neg_hi:[0,0,1]
	v_pk_fma_f32 v[102:103], v[8:9], v[70:71], v[12:13] op_sel:[0,0,1] op_sel_hi:[1,0,0]
	v_mul_f32_e32 v12, v8, v72
	v_mov_b32_e32 v48, v14
	v_mov_b32_e32 v52, v15
	;; [unrolled: 1-line block ×3, first 2 shown]
	v_fmac_f32_e32 v122, v86, v15
	v_fma_f32 v102, -v9, v73, v12
	ds_read_b128 v[12:15], v82 offset:1072
	s_waitcnt lgkmcnt(4)
	v_mul_f32_e32 v125, v21, v72
	v_mov_b32_e32 v60, v72
	v_mov_b32_e32 v68, v73
	;; [unrolled: 1-line block ×3, first 2 shown]
	v_fmac_f32_e32 v125, v20, v73
	s_waitcnt lgkmcnt(3)
	v_pk_mul_f32 v[72:73], v[10:11], v[88:89] op_sel:[0,1]
	v_mov_b32_e32 v69, v71
	v_mov_b32_e32 v62, v71
	;; [unrolled: 1-line block ×5, first 2 shown]
	v_pk_fma_f32 v[106:107], v[10:11], v[88:89], v[72:73] op_sel:[0,0,1] op_sel_hi:[1,0,0] neg_lo:[0,0,1] neg_hi:[0,0,1]
	v_pk_fma_f32 v[108:109], v[10:11], v[88:89], v[72:73] op_sel:[0,0,1] op_sel_hi:[1,0,0]
	v_mul_f32_e32 v41, v10, v90
	v_mul_f32_e32 v126, v23, v90
	s_waitcnt lgkmcnt(1)
	v_pk_mul_f32 v[88:89], v[16:17], v[92:93] op_sel:[0,1]
	v_mov_b32_e32 v61, v70
	v_mov_b32_e32 v70, v90
	v_mov_b32_e32 v74, v91
	v_mov_b32_e32 v105, v91
	v_fma_f32 v108, -v11, v91, v41
	v_fmac_f32_e32 v126, v22, v91
	v_mov_b32_e32 v73, v92
	v_mov_b32_e32 v77, v93
	;; [unrolled: 1-line block ×3, first 2 shown]
	v_pk_fma_f32 v[112:113], v[16:17], v[92:93], v[88:89] op_sel:[0,0,1] op_sel_hi:[1,0,0] neg_lo:[0,0,1] neg_hi:[0,0,1]
	v_pk_fma_f32 v[92:93], v[16:17], v[92:93], v[88:89] op_sel:[0,0,1] op_sel_hi:[1,0,0]
	ds_read2_b64 v[88:91], v81 offset1:16
	v_mul_f32_e32 v41, v16, v94
	s_waitcnt lgkmcnt(1)
	v_mul_f32_e32 v127, v13, v94
	v_mov_b32_e32 v72, v94
	v_mov_b32_e32 v76, v95
	;; [unrolled: 1-line block ×3, first 2 shown]
	v_fma_f32 v92, -v17, v95, v41
	v_fmac_f32_e32 v127, v12, v95
	s_waitcnt lgkmcnt(0)
	v_mov_b32_e32 v94, v91
	v_mov_b32_e32 v95, v89
	;; [unrolled: 1-line block ×4, first 2 shown]
	v_pk_mul_f32 v[118:119], v[4:5], v[88:89] op_sel:[0,1]
	v_pk_mul_f32 v[94:95], v[114:115], v[94:95]
	v_mov_b32_e32 v115, v88
	v_mov_b32_e32 v116, v89
	v_pk_fma_f32 v[120:121], v[4:5], v[88:89], v[118:119] op_sel:[0,0,1] op_sel_hi:[1,0,0] neg_lo:[0,0,1] neg_hi:[0,0,1]
	v_pk_fma_f32 v[88:89], v[4:5], v[88:89], v[118:119] op_sel:[0,0,1] op_sel_hi:[1,0,0]
	v_mul_f32_e32 v4, v4, v90
	v_fma_f32 v88, -v5, v91, v4
	v_mul_f32_e32 v118, v85, v90
	v_mov_b32_e32 v4, v5
	v_mov_b32_e32 v114, v90
	v_mov_b32_e32 v117, v91
	v_fmac_f32_e32 v118, v84, v91
	v_pk_fma_f32 v[90:91], v[4:5], v[90:91], v[94:95]
	v_mov_b32_e32 v5, v84
	v_pk_fma_f32 v[4:5], v[4:5], v[114:115], v[94:95] neg_lo:[0,0,1] neg_hi:[0,0,1]
	v_pk_mul_f32 v[94:95], v[84:85], v[114:115]
	v_pk_fma_f32 v[114:115], v[84:85], v[116:117], v[94:95] op_sel:[0,0,1] op_sel_hi:[1,1,0]
	v_pk_fma_f32 v[84:85], v[84:85], v[116:117], v[94:95] op_sel:[0,0,1] op_sel_hi:[1,1,0] neg_lo:[1,0,0] neg_hi:[1,0,0]
	v_pk_mul_f32 v[94:95], v[86:87], v[48:49]
	v_pk_fma_f32 v[116:117], v[86:87], v[54:55], v[94:95] op_sel:[0,0,1] op_sel_hi:[1,1,0]
	v_pk_fma_f32 v[54:55], v[86:87], v[54:55], v[94:95] op_sel:[0,0,1] op_sel_hi:[1,1,0] neg_lo:[1,0,0] neg_hi:[1,0,0]
	v_mov_b32_e32 v95, v86
	v_mov_b32_e32 v86, v6
	v_mov_b32_e32 v94, v7
	v_mov_b32_e32 v4, v7
	v_pk_mul_f32 v[6:7], v[86:87], v[52:53]
	v_pk_fma_f32 v[52:53], v[4:5], v[48:49], v[6:7]
	v_pk_fma_f32 v[6:7], v[94:95], v[48:49], v[6:7] neg_lo:[0,0,1] neg_hi:[0,0,1]
	buffer_load_dword v94, off, s[0:3], 0 offset:12
	buffer_load_dword v95, off, s[0:3], 0 offset:16
	buffer_load_dword v6, off, s[0:3], 0
	v_mov_b32_e32 v48, v0
	v_mov_b32_e32 v49, v25
	v_pk_mul_f32 v[48:49], v[48:49], v[50:51]
	v_mov_b32_e32 v0, v1
	v_mov_b32_e32 v50, v1
	;; [unrolled: 1-line block ×3, first 2 shown]
	v_pk_fma_f32 v[86:87], v[0:1], v[44:45], v[48:49]
	v_pk_mul_f32 v[0:1], v[24:25], v[44:45]
	v_pk_fma_f32 v[48:49], v[50:51], v[44:45], v[48:49] neg_lo:[0,0,1] neg_hi:[0,0,1]
	v_pk_fma_f32 v[44:45], v[24:25], v[46:47], v[0:1] op_sel:[0,0,1] op_sel_hi:[1,1,0]
	v_pk_fma_f32 v[24:25], v[24:25], v[46:47], v[0:1] op_sel:[0,0,1] op_sel_hi:[1,1,0] neg_lo:[1,0,0] neg_hi:[1,0,0]
	v_pk_mul_f32 v[0:1], v[26:27], v[38:39]
	v_pk_fma_f32 v[46:47], v[26:27], v[98:99], v[0:1] op_sel:[0,0,1] op_sel_hi:[1,1,0]
	v_pk_fma_f32 v[50:51], v[26:27], v[98:99], v[0:1] op_sel:[0,0,1] op_sel_hi:[1,1,0] neg_lo:[1,0,0] neg_hi:[1,0,0]
	v_mov_b32_e32 v1, v27
	v_mov_b32_e32 v0, v2
	v_mov_b32_e32 v27, v26
	v_mov_b32_e32 v26, v3
	v_pk_mul_f32 v[0:1], v[0:1], v[96:97]
	v_mov_b32_e32 v2, v3
	v_pk_fma_f32 v[26:27], v[26:27], v[38:39], v[0:1] neg_lo:[0,0,1] neg_hi:[0,0,1]
	v_pk_fma_f32 v[96:97], v[2:3], v[38:39], v[0:1]
	buffer_load_dword v26, off, s[0:3], 0 offset:20
	buffer_load_dword v38, off, s[0:3], 0 offset:4
	;; [unrolled: 1-line block ×3, first 2 shown]
	v_mov_b32_e32 v121, v89
	v_pk_add_f32 v[0:1], v[28:29], v[120:121]
	v_mov_b32_e32 v41, v43
	v_pk_add_f32 v[0:1], v[0:1], v[40:41]
	;; [unrolled: 2-line block ×5, first 2 shown]
	ds_read2_b64 v[0:3], v81 offset0:224 offset1:240
	v_mov_b32_e32 v115, v85
	v_mov_b32_e32 v117, v55
	;; [unrolled: 1-line block ×4, first 2 shown]
	s_waitcnt lgkmcnt(0)
	v_pk_mul_f32 v[40:41], v[18:19], v[0:1] op_sel:[0,1]
	v_pk_fma_f32 v[42:43], v[18:19], v[0:1], v[40:41] op_sel:[0,0,1] op_sel_hi:[1,0,0] neg_lo:[0,0,1] neg_hi:[0,0,1]
	v_pk_fma_f32 v[40:41], v[18:19], v[0:1], v[40:41] op_sel:[0,0,1] op_sel_hi:[1,0,0]
	v_mov_b32_e32 v43, v41
	v_pk_add_f32 v[28:29], v[28:29], v[106:107]
	v_mov_b32_e32 v113, v93
	v_pk_add_f32 v[28:29], v[28:29], v[112:113]
	;; [unrolled: 2-line block ×3, first 2 shown]
	v_mov_b32_e32 v42, v9
	v_mov_b32_e32 v91, v5
	;; [unrolled: 1-line block ×7, first 2 shown]
	v_add_co_u32_e32 v34, vcc, s8, v34
	s_add_u32 s6, s6, 8
	s_addc_u32 s7, s7, 0
	s_waitcnt vmcnt(4)
	v_pk_add_f32 v[40:41], v[94:95], v[114:115]
	v_pk_add_f32 v[40:41], v[40:41], v[116:117]
	;; [unrolled: 1-line block ×3, first 2 shown]
	v_mov_b32_e32 v40, v8
	v_mov_b32_e32 v41, v21
	v_pk_mul_f32 v[40:41], v[40:41], v[68:69]
	v_pk_fma_f32 v[8:9], v[4:5], v[60:61], v[40:41]
	s_waitcnt vmcnt(3)
	v_add_f32_e32 v4, v6, v88
	v_add_f32_e32 v4, v4, v83
	;; [unrolled: 1-line block ×6, first 2 shown]
	v_mul_f32_e32 v5, v18, v2
	v_add_f32_e32 v4, v4, v92
	v_fma_f32 v5, -v19, v3, v5
	v_pk_fma_f32 v[40:41], v[42:43], v[60:61], v[40:41] neg_lo:[0,0,1] neg_hi:[0,0,1]
	v_pk_mul_f32 v[42:43], v[20:21], v[60:61]
	v_add_f32_e32 v4, v4, v5
	v_pk_fma_f32 v[44:45], v[20:21], v[62:63], v[42:43] op_sel:[0,0,1] op_sel_hi:[1,1,0]
	v_pk_fma_f32 v[20:21], v[20:21], v[62:63], v[42:43] op_sel:[0,0,1] op_sel_hi:[1,1,0] neg_lo:[1,0,0] neg_hi:[1,0,0]
	buffer_store_dword v4, off, s[0:3], 0
	s_waitcnt vmcnt(3)
	v_add_f32_e32 v4, v26, v118
	v_pk_add_f32 v[24:25], v[24:25], v[46:47]
	v_mov_b32_e32 v45, v21
	v_add_f32_e32 v4, v4, v122
	v_pk_add_f32 v[20:21], v[24:25], v[44:45]
	v_pk_mul_f32 v[24:25], v[22:23], v[70:71]
	v_add_f32_e32 v4, v4, v123
	v_pk_fma_f32 v[42:43], v[22:23], v[104:105], v[24:25] op_sel:[0,0,1] op_sel_hi:[1,1,0]
	v_pk_fma_f32 v[24:25], v[22:23], v[104:105], v[24:25] op_sel:[0,0,1] op_sel_hi:[1,1,0] neg_lo:[1,0,0] neg_hi:[1,0,0]
	v_add_f32_e32 v4, v4, v124
	v_mov_b32_e32 v43, v25
	v_pk_mul_f32 v[24:25], v[12:13], v[72:73]
	v_add_f32_e32 v4, v4, v125
	v_pk_add_f32 v[20:21], v[20:21], v[42:43]
	v_pk_fma_f32 v[42:43], v[12:13], v[110:111], v[24:25] op_sel:[0,0,1] op_sel_hi:[1,1,0]
	v_pk_fma_f32 v[24:25], v[12:13], v[110:111], v[24:25] op_sel:[0,0,1] op_sel_hi:[1,1,0] neg_lo:[1,0,0] neg_hi:[1,0,0]
	v_add_f32_e32 v4, v4, v126
	v_mov_b32_e32 v43, v25
	v_add_f32_e32 v25, v4, v127
	s_waitcnt vmcnt(1)
	v_pk_add_f32 v[4:5], v[38:39], v[90:91]
	v_pk_add_f32 v[4:5], v[4:5], v[52:53]
	;; [unrolled: 1-line block ×4, first 2 shown]
	v_mov_b32_e32 v9, v41
	v_pk_add_f32 v[4:5], v[4:5], v[8:9]
	v_mov_b32_e32 v8, v10
	v_mov_b32_e32 v9, v23
	;; [unrolled: 1-line block ×3, first 2 shown]
	v_pk_mul_f32 v[8:9], v[8:9], v[74:75]
	v_mov_b32_e32 v10, v11
	v_mov_b32_e32 v11, v22
	v_pk_fma_f32 v[6:7], v[6:7], v[70:71], v[8:9]
	v_pk_fma_f32 v[8:9], v[10:11], v[70:71], v[8:9] neg_lo:[0,0,1] neg_hi:[0,0,1]
	v_mov_b32_e32 v7, v9
	v_pk_add_f32 v[4:5], v[4:5], v[6:7]
	v_mov_b32_e32 v6, v16
	v_mov_b32_e32 v7, v13
	v_mov_b32_e32 v24, v17
	v_pk_mul_f32 v[6:7], v[6:7], v[76:77]
	v_mov_b32_e32 v8, v17
	v_mov_b32_e32 v9, v12
	v_pk_fma_f32 v[10:11], v[24:25], v[72:73], v[6:7]
	v_pk_fma_f32 v[6:7], v[8:9], v[72:73], v[6:7] neg_lo:[0,0,1] neg_hi:[0,0,1]
	v_mov_b32_e32 v38, v3
	v_mov_b32_e32 v39, v1
	;; [unrolled: 1-line block ×9, first 2 shown]
	v_pk_mul_f32 v[8:9], v[18:19], v[38:39]
	v_pk_add_f32 v[20:21], v[20:21], v[42:43]
	v_mov_b32_e32 v42, v1
	v_pk_fma_f32 v[0:1], v[0:1], v[44:45], v[8:9]
	v_pk_fma_f32 v[6:7], v[6:7], v[44:45], v[8:9] neg_lo:[0,0,1] neg_hi:[0,0,1]
	v_pk_add_f32 v[4:5], v[4:5], v[10:11]
	v_mov_b32_e32 v1, v7
	v_pk_add_f32 v[0:1], v[4:5], v[0:1]
	v_mov_b32_e32 v43, v3
	buffer_store_dword v1, off, s[0:3], 0 offset:8
	buffer_store_dword v0, off, s[0:3], 0 offset:4
	v_pk_mul_f32 v[0:1], v[14:15], v[44:45]
	v_pk_fma_f32 v[4:5], v[14:15], v[42:43], v[0:1] op_sel:[0,0,1] op_sel_hi:[1,1,0]
	v_pk_fma_f32 v[0:1], v[14:15], v[42:43], v[0:1] op_sel:[0,0,1] op_sel_hi:[1,1,0] neg_lo:[1,0,0] neg_hi:[1,0,0]
	v_mov_b32_e32 v5, v1
	v_mul_f32_e32 v2, v15, v2
	v_fmac_f32_e32 v2, v14, v3
	v_pk_add_f32 v[0:1], v[20:21], v[4:5]
	v_add_f32_e32 v2, v25, v2
	buffer_store_dword v0, off, s[0:3], 0 offset:12
	buffer_store_dword v1, off, s[0:3], 0 offset:16
	;; [unrolled: 1-line block ×3, first 2 shown]
	v_mov_b32_e32 v0, s9
	v_addc_co_u32_e32 v35, vcc, v35, v0, vcc
	v_add_co_u32_e32 v36, vcc, 64, v36
	v_addc_co_u32_e32 v37, vcc, 0, v37, vcc
	v_pk_mov_b32 v[0:1], s[16:17], s[16:17] op_sel:[0,1]
	v_cmp_lt_i64_e32 vcc, s[6:7], v[0:1]
	s_barrier
	s_cbranch_vccz .LBB258_10
.LBB258_3:                              ; =>This Inner Loop Header: Depth=1
	v_mov_b32_e32 v1, s7
	v_add_co_u32_e32 v0, vcc, s6, v30
	v_addc_co_u32_e32 v1, vcc, 0, v1, vcc
	v_cmp_le_i64_e32 vcc, s[16:17], v[0:1]
	s_or_b64 s[20:21], s[10:11], vcc
                                        ; implicit-def: $sgpr22
	s_and_saveexec_b64 s[24:25], s[20:21]
	s_xor_b64 s[20:21], exec, s[24:25]
	s_cbranch_execz .LBB258_5
; %bb.4:                                ;   in Loop: Header=BB258_3 Depth=1
	ds_write_b32 v79, v78
	s_mov_b32 s22, 0
.LBB258_5:                              ;   in Loop: Header=BB258_3 Depth=1
	s_or_saveexec_b64 s[20:21], s[20:21]
	v_mov_b32_e32 v0, s22
	s_xor_b64 exec, exec, s[20:21]
	s_cbranch_execz .LBB258_7
; %bb.6:                                ;   in Loop: Header=BB258_3 Depth=1
	global_load_dwordx2 v[2:3], v[36:37], off offset:-4
	s_waitcnt vmcnt(0)
	v_xor_b32_e32 v0, 0x80000000, v3
	ds_write_b32 v79, v2
.LBB258_7:                              ;   in Loop: Header=BB258_3 Depth=1
	s_or_b64 exec, exec, s[20:21]
	ds_write_b32 v79, v0 offset:4
	v_mov_b32_e32 v1, s7
	v_add_co_u32_e32 v0, vcc, s6, v32
	v_addc_co_u32_e32 v1, vcc, 0, v1, vcc
	v_cmp_gt_i64_e32 vcc, s[16:17], v[0:1]
	s_and_b64 s[22:23], vcc, s[4:5]
	v_mov_b32_e32 v0, 0
	v_mov_b32_e32 v1, 0
	s_and_saveexec_b64 s[20:21], s[22:23]
	s_cbranch_execz .LBB258_2
; %bb.8:                                ;   in Loop: Header=BB258_3 Depth=1
	global_load_dwordx2 v[0:1], v[34:35], off
	s_branch .LBB258_2
.LBB258_9:
	v_mov_b32_e32 v29, 0
	v_mov_b32_e32 v28, v78
.LBB258_10:
	s_lshl_b64 s[4:5], s[30:31], 3
	s_waitcnt lgkmcnt(0)
	s_add_u32 s20, s44, s4
	s_addc_u32 s21, s45, s5
	v_mov_b32_e32 v1, s47
	v_add_co_u32_e32 v0, vcc, s46, v33
	s_or_b32 s4, s34, s35
	v_addc_co_u32_e32 v1, vcc, 0, v1, vcc
	s_bitset0_b32 s4, 31
	s_cmp_lg_u32 s4, 0
	v_cmp_gt_i64_e64 s[4:5], s[14:15], v[0:1]
	s_mov_b64 s[6:7], -1
	s_cbranch_scc1 .LBB258_22
; %bb.11:
	s_and_saveexec_b64 s[10:11], s[4:5]
	s_cbranch_execz .LBB258_21
; %bb.12:
	v_mov_b32_e32 v2, s43
	v_add_co_u32_e32 v4, vcc, s42, v31
	v_addc_co_u32_e32 v5, vcc, 0, v2, vcc
	v_mul_lo_u32 v6, v1, s28
	v_mul_lo_u32 v7, v0, s29
	v_mad_u64_u32 v[2:3], s[6:7], v0, s28, 0
	v_add3_u32 v3, v3, v7, v6
	v_lshlrev_b64 v[2:3], 3, v[2:3]
	v_mov_b32_e32 v7, s21
	v_add_co_u32_e64 v6, s[6:7], s20, v2
	v_cmp_gt_i64_e32 vcc, s[12:13], v[4:5]
	v_addc_co_u32_e64 v7, s[6:7], v7, v3, s[6:7]
	v_lshlrev_b64 v[2:3], 3, v[4:5]
	s_and_saveexec_b64 s[8:9], vcc
	s_cbranch_execz .LBB258_14
; %bb.13:
	v_mul_f32_e32 v8, s19, v29
	v_mul_f32_e32 v9, s18, v29
	v_add_co_u32_e64 v10, s[6:7], v6, v2
	v_fma_f32 v8, v28, s18, -v8
	v_fmac_f32_e32 v9, s19, v28
	v_addc_co_u32_e64 v11, s[6:7], v7, v3, s[6:7]
	global_store_dwordx2 v[10:11], v[8:9], off
.LBB258_14:
	s_or_b64 exec, exec, s[8:9]
	v_add_co_u32_e64 v4, s[6:7], 16, v4
	v_addc_co_u32_e64 v5, s[6:7], 0, v5, s[6:7]
	v_cmp_gt_i64_e64 s[6:7], s[12:13], v[4:5]
	s_and_saveexec_b64 s[16:17], s[6:7]
	s_cbranch_execz .LBB258_16
; %bb.15:
	buffer_load_dword v4, off, s[0:3], 0 offset:4
	buffer_load_dword v8, off, s[0:3], 0
	s_waitcnt vmcnt(1)
	v_mul_f32_e32 v9, s19, v4
	v_mul_f32_e32 v5, s18, v4
	s_waitcnt vmcnt(0)
	v_fma_f32 v4, v8, s18, -v9
	v_fmac_f32_e32 v5, s19, v8
	v_add_co_u32_e64 v8, s[8:9], v6, v2
	v_addc_co_u32_e64 v9, s[8:9], v7, v3, s[8:9]
	global_store_dwordx2 v[8:9], v[4:5], off offset:128
.LBB258_16:
	s_or_b64 exec, exec, s[16:17]
	v_add_co_u32_e64 v4, s[8:9], 16, v0
	v_addc_co_u32_e64 v5, s[8:9], 0, v1, s[8:9]
	v_cmp_gt_i64_e64 s[8:9], s[14:15], v[4:5]
	s_and_b64 exec, exec, s[8:9]
	s_cbranch_execz .LBB258_21
; %bb.17:
	buffer_load_dword v4, off, s[0:3], 0 offset:16
	buffer_load_dword v5, off, s[0:3], 0 offset:20
	s_lshl_b64 s[8:9], s[28:29], 7
	v_mov_b32_e32 v8, s9
	v_add_co_u32_e64 v6, s[8:9], s8, v6
	v_addc_co_u32_e64 v7, s[8:9], v7, v8, s[8:9]
	v_add_co_u32_e64 v2, s[8:9], v6, v2
	v_addc_co_u32_e64 v3, s[8:9], v7, v3, s[8:9]
	s_and_saveexec_b64 s[8:9], vcc
	s_cbranch_execz .LBB258_19
; %bb.18:
	buffer_load_dword v6, off, s[0:3], 0 offset:12
	buffer_load_dword v8, off, s[0:3], 0 offset:8
	s_waitcnt vmcnt(1)
	v_mul_f32_e32 v9, s19, v6
	v_mul_f32_e32 v7, s18, v6
	s_waitcnt vmcnt(0)
	v_fma_f32 v6, v8, s18, -v9
	v_fmac_f32_e32 v7, s19, v8
	global_store_dwordx2 v[2:3], v[6:7], off
.LBB258_19:
	s_or_b64 exec, exec, s[8:9]
	s_and_b64 exec, exec, s[6:7]
	s_cbranch_execz .LBB258_21
; %bb.20:
	s_waitcnt vmcnt(0)
	v_mul_f32_e32 v6, s19, v5
	v_mul_f32_e32 v7, s18, v5
	v_fma_f32 v6, v4, s18, -v6
	v_fmac_f32_e32 v7, s19, v4
	global_store_dwordx2 v[2:3], v[6:7], off offset:128
.LBB258_21:
	s_or_b64 exec, exec, s[10:11]
	s_mov_b64 s[6:7], 0
.LBB258_22:
	s_andn2_b64 vcc, exec, s[6:7]
	s_cbranch_vccnz .LBB258_33
; %bb.23:
	s_and_saveexec_b64 s[6:7], s[4:5]
	s_cbranch_execz .LBB258_33
; %bb.24:
	s_lshl_b64 s[4:5], s[40:41], 3
	s_add_u32 s6, s36, s4
	v_mov_b32_e32 v2, s43
	s_waitcnt vmcnt(1)
	v_add_co_u32_e32 v4, vcc, s42, v31
	s_addc_u32 s7, s37, s5
	s_waitcnt vmcnt(0)
	v_addc_co_u32_e32 v5, vcc, 0, v2, vcc
	v_mul_lo_u32 v6, v1, s38
	v_mul_lo_u32 v7, v0, s39
	v_mad_u64_u32 v[2:3], s[4:5], v0, s38, 0
	v_add3_u32 v3, v3, v7, v6
	v_mul_lo_u32 v6, v1, s28
	v_mul_lo_u32 v7, v0, s29
	v_mad_u64_u32 v[8:9], s[4:5], v0, s28, 0
	v_lshlrev_b64 v[2:3], 3, v[2:3]
	v_add3_u32 v9, v9, v7, v6
	v_mov_b32_e32 v7, s7
	v_add_co_u32_e64 v6, s[4:5], s6, v2
	v_addc_co_u32_e64 v7, s[4:5], v7, v3, s[4:5]
	v_lshlrev_b64 v[2:3], 3, v[8:9]
	v_mov_b32_e32 v9, s21
	v_add_co_u32_e64 v8, s[4:5], s20, v2
	v_cmp_gt_i64_e32 vcc, s[12:13], v[4:5]
	v_addc_co_u32_e64 v9, s[4:5], v9, v3, s[4:5]
	v_lshlrev_b64 v[2:3], 3, v[4:5]
	s_and_saveexec_b64 s[6:7], vcc
	s_cbranch_execz .LBB258_26
; %bb.25:
	v_add_co_u32_e64 v10, s[4:5], v6, v2
	v_addc_co_u32_e64 v11, s[4:5], v7, v3, s[4:5]
	global_load_dwordx2 v[10:11], v[10:11], off
	v_mul_f32_e32 v12, s19, v29
	v_mul_f32_e32 v13, s18, v29
	v_fma_f32 v12, v28, s18, -v12
	v_fmac_f32_e32 v13, s19, v28
	s_waitcnt vmcnt(0)
	v_mul_f32_e32 v14, s35, v11
	v_mul_f32_e32 v11, s34, v11
	v_fma_f32 v14, v10, s34, -v14
	v_fmac_f32_e32 v11, s35, v10
	v_add_f32_e32 v10, v12, v14
	v_add_co_u32_e64 v12, s[4:5], v8, v2
	v_add_f32_e32 v11, v13, v11
	v_addc_co_u32_e64 v13, s[4:5], v9, v3, s[4:5]
	global_store_dwordx2 v[12:13], v[10:11], off
.LBB258_26:
	s_or_b64 exec, exec, s[6:7]
	v_add_co_u32_e64 v4, s[4:5], 16, v4
	v_addc_co_u32_e64 v5, s[4:5], 0, v5, s[4:5]
	v_cmp_gt_i64_e64 s[4:5], s[12:13], v[4:5]
	s_and_saveexec_b64 s[8:9], s[4:5]
	s_cbranch_execz .LBB258_28
; %bb.27:
	v_add_co_u32_e64 v4, s[6:7], v6, v2
	buffer_load_dword v10, off, s[0:3], 0
	buffer_load_dword v11, off, s[0:3], 0 offset:4
	v_addc_co_u32_e64 v5, s[6:7], v7, v3, s[6:7]
	global_load_dwordx2 v[4:5], v[4:5], off offset:128
	s_waitcnt vmcnt(1)
	v_mul_f32_e32 v12, s19, v11
	v_mul_f32_e32 v11, s18, v11
	v_fma_f32 v12, v10, s18, -v12
	v_fmac_f32_e32 v11, s19, v10
	s_waitcnt vmcnt(0)
	v_mul_f32_e32 v10, s35, v5
	v_mul_f32_e32 v5, s34, v5
	v_fma_f32 v10, v4, s34, -v10
	v_fmac_f32_e32 v5, s35, v4
	v_add_f32_e32 v4, v12, v10
	v_add_co_u32_e64 v10, s[6:7], v8, v2
	v_add_f32_e32 v5, v11, v5
	v_addc_co_u32_e64 v11, s[6:7], v9, v3, s[6:7]
	global_store_dwordx2 v[10:11], v[4:5], off offset:128
.LBB258_28:
	s_or_b64 exec, exec, s[8:9]
	v_add_co_u32_e64 v0, s[6:7], 16, v0
	v_addc_co_u32_e64 v1, s[6:7], 0, v1, s[6:7]
	v_cmp_gt_i64_e64 s[6:7], s[14:15], v[0:1]
	s_and_b64 exec, exec, s[6:7]
	s_cbranch_execz .LBB258_33
; %bb.29:
	buffer_load_dword v10, off, s[0:3], 0 offset:16
	buffer_load_dword v11, off, s[0:3], 0 offset:20
	s_lshl_b64 s[6:7], s[38:39], 7
	v_mov_b32_e32 v0, s7
	v_add_co_u32_e64 v1, s[6:7], s6, v6
	v_addc_co_u32_e64 v0, s[6:7], v7, v0, s[6:7]
	s_lshl_b64 s[6:7], s[28:29], 7
	v_mov_b32_e32 v4, s7
	v_add_co_u32_e64 v6, s[6:7], s6, v8
	v_addc_co_u32_e64 v7, s[6:7], v9, v4, s[6:7]
	v_add_co_u32_e64 v4, s[6:7], v1, v2
	v_addc_co_u32_e64 v5, s[6:7], v0, v3, s[6:7]
	;; [unrolled: 2-line block ×3, first 2 shown]
	s_and_saveexec_b64 s[6:7], vcc
	s_cbranch_execz .LBB258_31
; %bb.30:
	buffer_load_dword v6, off, s[0:3], 0 offset:12
	buffer_load_dword v7, off, s[0:3], 0 offset:8
	global_load_dwordx2 v[2:3], v[4:5], off
	s_waitcnt vmcnt(2)
	v_mul_f32_e32 v8, s19, v6
	v_mul_f32_e32 v6, s18, v6
	s_waitcnt vmcnt(0)
	v_mul_f32_e32 v9, s35, v3
	v_mul_f32_e32 v3, s34, v3
	v_fma_f32 v8, v7, s18, -v8
	v_fmac_f32_e32 v6, s19, v7
	v_fma_f32 v7, v2, s34, -v9
	v_fmac_f32_e32 v3, s35, v2
	v_add_f32_e32 v2, v8, v7
	v_add_f32_e32 v3, v6, v3
	global_store_dwordx2 v[0:1], v[2:3], off
.LBB258_31:
	s_or_b64 exec, exec, s[6:7]
	s_and_b64 exec, exec, s[4:5]
	s_cbranch_execz .LBB258_33
; %bb.32:
	global_load_dwordx2 v[2:3], v[4:5], off offset:128
	s_waitcnt vmcnt(1)
	v_mul_f32_e32 v4, s19, v11
	v_mul_f32_e32 v5, s18, v11
	v_fma_f32 v4, v10, s18, -v4
	v_fmac_f32_e32 v5, s19, v10
	s_waitcnt vmcnt(0)
	v_mul_f32_e32 v6, s35, v3
	v_mul_f32_e32 v3, s34, v3
	v_fma_f32 v6, v2, s34, -v6
	v_fmac_f32_e32 v3, s35, v2
	v_add_f32_e32 v2, v4, v6
	v_add_f32_e32 v3, v5, v3
	global_store_dwordx2 v[0:1], v[2:3], off offset:128
.LBB258_33:
	s_endpgm
	.section	.rodata,"a",@progbits
	.p2align	6, 0x0
	.amdhsa_kernel _ZN12_GLOBAL__N_135rocblas_gemm_batched_general_kernelI19rocblas_complex_numIfELi16ELi16ELi32ELi32ELi8ELi32ELi8ELi8ELi32ELc67ELc84EKPKS2_S5_KPS2_EEvlllT_PT11_llSA_llS8_PT12_llPT13_lli
		.amdhsa_group_segment_fixed_size 4096
		.amdhsa_private_segment_fixed_size 32
		.amdhsa_kernarg_size 140
		.amdhsa_user_sgpr_count 8
		.amdhsa_user_sgpr_private_segment_buffer 1
		.amdhsa_user_sgpr_dispatch_ptr 0
		.amdhsa_user_sgpr_queue_ptr 0
		.amdhsa_user_sgpr_kernarg_segment_ptr 1
		.amdhsa_user_sgpr_dispatch_id 0
		.amdhsa_user_sgpr_flat_scratch_init 1
		.amdhsa_user_sgpr_kernarg_preload_length 0
		.amdhsa_user_sgpr_kernarg_preload_offset 0
		.amdhsa_user_sgpr_private_segment_size 0
		.amdhsa_uses_dynamic_stack 0
		.amdhsa_system_sgpr_private_segment_wavefront_offset 1
		.amdhsa_system_sgpr_workgroup_id_x 1
		.amdhsa_system_sgpr_workgroup_id_y 1
		.amdhsa_system_sgpr_workgroup_id_z 1
		.amdhsa_system_sgpr_workgroup_info 0
		.amdhsa_system_vgpr_workitem_id 1
		.amdhsa_next_free_vgpr 128
		.amdhsa_next_free_sgpr 50
		.amdhsa_accum_offset 128
		.amdhsa_reserve_vcc 1
		.amdhsa_reserve_flat_scratch 0
		.amdhsa_float_round_mode_32 0
		.amdhsa_float_round_mode_16_64 0
		.amdhsa_float_denorm_mode_32 3
		.amdhsa_float_denorm_mode_16_64 3
		.amdhsa_dx10_clamp 1
		.amdhsa_ieee_mode 1
		.amdhsa_fp16_overflow 0
		.amdhsa_tg_split 0
		.amdhsa_exception_fp_ieee_invalid_op 0
		.amdhsa_exception_fp_denorm_src 0
		.amdhsa_exception_fp_ieee_div_zero 0
		.amdhsa_exception_fp_ieee_overflow 0
		.amdhsa_exception_fp_ieee_underflow 0
		.amdhsa_exception_fp_ieee_inexact 0
		.amdhsa_exception_int_div_zero 0
	.end_amdhsa_kernel
	.section	.text._ZN12_GLOBAL__N_135rocblas_gemm_batched_general_kernelI19rocblas_complex_numIfELi16ELi16ELi32ELi32ELi8ELi32ELi8ELi8ELi32ELc67ELc84EKPKS2_S5_KPS2_EEvlllT_PT11_llSA_llS8_PT12_llPT13_lli,"axG",@progbits,_ZN12_GLOBAL__N_135rocblas_gemm_batched_general_kernelI19rocblas_complex_numIfELi16ELi16ELi32ELi32ELi8ELi32ELi8ELi8ELi32ELc67ELc84EKPKS2_S5_KPS2_EEvlllT_PT11_llSA_llS8_PT12_llPT13_lli,comdat
.Lfunc_end258:
	.size	_ZN12_GLOBAL__N_135rocblas_gemm_batched_general_kernelI19rocblas_complex_numIfELi16ELi16ELi32ELi32ELi8ELi32ELi8ELi8ELi32ELc67ELc84EKPKS2_S5_KPS2_EEvlllT_PT11_llSA_llS8_PT12_llPT13_lli, .Lfunc_end258-_ZN12_GLOBAL__N_135rocblas_gemm_batched_general_kernelI19rocblas_complex_numIfELi16ELi16ELi32ELi32ELi8ELi32ELi8ELi8ELi32ELc67ELc84EKPKS2_S5_KPS2_EEvlllT_PT11_llSA_llS8_PT12_llPT13_lli
                                        ; -- End function
	.section	.AMDGPU.csdata,"",@progbits
; Kernel info:
; codeLenInByte = 3824
; NumSgprs: 54
; NumVgprs: 128
; NumAgprs: 0
; TotalNumVgprs: 128
; ScratchSize: 32
; MemoryBound: 0
; FloatMode: 240
; IeeeMode: 1
; LDSByteSize: 4096 bytes/workgroup (compile time only)
; SGPRBlocks: 6
; VGPRBlocks: 15
; NumSGPRsForWavesPerEU: 54
; NumVGPRsForWavesPerEU: 128
; AccumOffset: 128
; Occupancy: 4
; WaveLimiterHint : 1
; COMPUTE_PGM_RSRC2:SCRATCH_EN: 1
; COMPUTE_PGM_RSRC2:USER_SGPR: 8
; COMPUTE_PGM_RSRC2:TRAP_HANDLER: 0
; COMPUTE_PGM_RSRC2:TGID_X_EN: 1
; COMPUTE_PGM_RSRC2:TGID_Y_EN: 1
; COMPUTE_PGM_RSRC2:TGID_Z_EN: 1
; COMPUTE_PGM_RSRC2:TIDIG_COMP_CNT: 1
; COMPUTE_PGM_RSRC3_GFX90A:ACCUM_OFFSET: 31
; COMPUTE_PGM_RSRC3_GFX90A:TG_SPLIT: 0
	.section	.text._ZN12_GLOBAL__N_135rocblas_gemm_batched_general_kernelI19rocblas_complex_numIfELi16ELi16ELi32ELi32ELi8ELi32ELi8ELi8ELi32ELc78ELc67EKPKS2_S5_KPS2_EEvlllT_PT11_llSA_llS8_PT12_llPT13_lli,"axG",@progbits,_ZN12_GLOBAL__N_135rocblas_gemm_batched_general_kernelI19rocblas_complex_numIfELi16ELi16ELi32ELi32ELi8ELi32ELi8ELi8ELi32ELc78ELc67EKPKS2_S5_KPS2_EEvlllT_PT11_llSA_llS8_PT12_llPT13_lli,comdat
	.globl	_ZN12_GLOBAL__N_135rocblas_gemm_batched_general_kernelI19rocblas_complex_numIfELi16ELi16ELi32ELi32ELi8ELi32ELi8ELi8ELi32ELc78ELc67EKPKS2_S5_KPS2_EEvlllT_PT11_llSA_llS8_PT12_llPT13_lli ; -- Begin function _ZN12_GLOBAL__N_135rocblas_gemm_batched_general_kernelI19rocblas_complex_numIfELi16ELi16ELi32ELi32ELi8ELi32ELi8ELi8ELi32ELc78ELc67EKPKS2_S5_KPS2_EEvlllT_PT11_llSA_llS8_PT12_llPT13_lli
	.p2align	8
	.type	_ZN12_GLOBAL__N_135rocblas_gemm_batched_general_kernelI19rocblas_complex_numIfELi16ELi16ELi32ELi32ELi8ELi32ELi8ELi8ELi32ELc78ELc67EKPKS2_S5_KPS2_EEvlllT_PT11_llSA_llS8_PT12_llPT13_lli,@function
_ZN12_GLOBAL__N_135rocblas_gemm_batched_general_kernelI19rocblas_complex_numIfELi16ELi16ELi32ELi32ELi8ELi32ELi8ELi8ELi32ELc78ELc67EKPKS2_S5_KPS2_EEvlllT_PT11_llSA_llS8_PT12_llPT13_lli: ; @_ZN12_GLOBAL__N_135rocblas_gemm_batched_general_kernelI19rocblas_complex_numIfELi16ELi16ELi32ELi32ELi8ELi32ELi8ELi8ELi32ELc78ELc67EKPKS2_S5_KPS2_EEvlllT_PT11_llSA_llS8_PT12_llPT13_lli
; %bb.0:
	s_load_dwordx16 s[12:27], s[4:5], 0x0
	s_load_dwordx4 s[28:31], s[4:5], 0x78
	s_load_dwordx8 s[36:43], s[4:5], 0x58
	s_load_dwordx2 s[34:35], s[4:5], 0x50
	s_add_u32 s0, s0, s11
	s_mov_b32 s11, 0
	s_addc_u32 s1, s1, 0
	s_lshl_b64 s[50:51], s[10:11], 3
	s_waitcnt lgkmcnt(0)
	s_add_u32 s10, s36, s50
	s_addc_u32 s11, s37, s51
	s_add_u32 s36, s42, s50
	s_addc_u32 s37, s43, s51
	s_load_dwordx2 s[10:11], s[10:11], 0x0
	s_mov_b32 s6, s9
	s_load_dwordx2 s[42:43], s[36:37], 0x0
	s_ashr_i32 s9, s8, 31
	s_ashr_i32 s7, s6, 31
	v_cmp_lt_i64_e64 s[44:45], s[16:17], 1
	v_and_b32_e32 v31, 0x3ff, v0
	v_bfe_u32 v33, v0, 10, 10
	v_mov_b32_e32 v78, 0
	s_lshl_b64 s[36:37], s[8:9], 5
	s_lshl_b64 s[48:49], s[6:7], 5
	s_and_b64 vcc, exec, s[44:45]
	buffer_store_dword v78, off, s[0:3], 0 offset:4
	buffer_store_dword v78, off, s[0:3], 0
	buffer_store_dword v78, off, s[0:3], 0 offset:12
	buffer_store_dword v78, off, s[0:3], 0 offset:8
	;; [unrolled: 1-line block ×4, first 2 shown]
	s_cbranch_vccnz .LBB259_9
; %bb.1:
	v_lshl_add_u32 v4, v33, 4, v31
	v_lshrrev_b32_e32 v5, 3, v4
	s_load_dwordx4 s[44:47], s[4:5], 0x40
	v_mov_b32_e32 v1, s49
	v_add_co_u32_e32 v0, vcc, s48, v5
	v_and_b32_e32 v32, 7, v31
	v_addc_co_u32_e32 v1, vcc, 0, v1, vcc
	s_add_u32 s4, s20, s50
	v_cmp_gt_i64_e32 vcc, s[14:15], v[0:1]
	v_lshlrev_b32_e32 v0, 3, v32
	s_addc_u32 s5, s21, s51
	v_lshl_or_b32 v0, v5, 6, v0
	s_load_dwordx2 s[52:53], s[4:5], 0x0
	s_add_u32 s4, s26, s50
	v_and_b32_e32 v6, 31, v4
	v_add_u32_e32 v80, 0x800, v0
	v_mov_b32_e32 v0, 0x800
	s_addc_u32 s5, s27, s51
	v_mov_b32_e32 v3, s37
	v_or_b32_e32 v2, s36, v6
	v_lshl_add_u32 v82, v33, 6, v0
	s_waitcnt lgkmcnt(0)
	v_mad_u64_u32 v[0:1], s[26:27], s44, v32, 0
	s_load_dwordx2 s[20:21], s[4:5], 0x0
	v_cmp_gt_i64_e64 s[4:5], s[12:13], v[2:3]
	v_mov_b32_e32 v2, v1
	v_mad_u64_u32 v[2:3], s[26:27], s45, v32, v[2:3]
	s_lshl_b64 s[6:7], s[6:7], 8
	s_lshl_b64 s[26:27], s[46:47], 3
	v_mov_b32_e32 v1, v2
	s_add_u32 s6, s26, s6
	v_lshlrev_b64 v[0:1], 3, v[0:1]
	s_addc_u32 s7, s27, s7
	v_mov_b32_e32 v2, s7
	v_add_co_u32_e64 v0, s[6:7], s6, v0
	v_addc_co_u32_e64 v1, s[6:7], v2, v1, s[6:7]
	v_and_b32_e32 v2, 0x7ff8, v4
	v_add_co_u32_e64 v0, s[6:7], v0, v2
	v_addc_co_u32_e64 v1, s[6:7], 0, v1, s[6:7]
	s_waitcnt lgkmcnt(0)
	v_mov_b32_e32 v2, s21
	v_add_co_u32_e64 v0, s[6:7], s20, v0
	v_addc_co_u32_e64 v1, s[6:7], v1, v2, s[6:7]
	v_lshrrev_b32_e32 v30, 5, v4
	v_add_co_u32_e64 v34, s[6:7], 4, v0
	v_addc_co_u32_e64 v35, s[6:7], 0, v1, s[6:7]
	v_mad_u64_u32 v[0:1], s[6:7], s22, v30, 0
	v_mov_b32_e32 v2, v1
	v_mad_u64_u32 v[2:3], s[6:7], s23, v30, v[2:3]
	s_lshl_b64 s[20:21], s[44:45], 6
	s_lshl_b64 s[6:7], s[8:9], 8
	;; [unrolled: 1-line block ×3, first 2 shown]
	v_mov_b32_e32 v1, v2
	s_add_u32 s6, s8, s6
	v_lshlrev_b64 v[0:1], 3, v[0:1]
	s_addc_u32 s7, s9, s7
	v_mov_b32_e32 v2, s7
	v_add_co_u32_e64 v0, s[6:7], s6, v0
	v_lshlrev_b32_e32 v6, 3, v6
	v_addc_co_u32_e64 v1, s[6:7], v2, v1, s[6:7]
	v_add_co_u32_e64 v0, s[6:7], v0, v6
	v_addc_co_u32_e64 v1, s[6:7], 0, v1, s[6:7]
	v_mov_b32_e32 v2, s53
	v_add_co_u32_e64 v36, s[6:7], s52, v0
	v_mov_b32_e32 v28, 0
	v_addc_co_u32_e64 v37, s[6:7], v2, v1, s[6:7]
	v_lshl_or_b32 v79, v30, 8, v6
	v_lshlrev_b32_e32 v81, 3, v31
	s_lshl_b64 s[6:7], s[22:23], 6
	s_mov_b64 s[8:9], 0
	s_xor_b64 s[22:23], vcc, -1
	v_mov_b32_e32 v29, v28
	s_branch .LBB259_3
.LBB259_2:                              ;   in Loop: Header=BB259_3 Depth=1
	s_or_b64 exec, exec, s[24:25]
	ds_write_b32 v80, v0 offset:4
	s_waitcnt lgkmcnt(0)
	s_barrier
	ds_read2_b64 v[12:15], v81 offset0:32 offset1:48
	ds_read2_b64 v[16:19], v81 offset0:64 offset1:80
	;; [unrolled: 1-line block ×3, first 2 shown]
	ds_read_b128 v[4:7], v82
	ds_read_b128 v[0:3], v82 offset:16
	ds_read_b128 v[84:87], v82 offset:1024
	;; [unrolled: 1-line block ×3, first 2 shown]
	s_waitcnt lgkmcnt(6)
	v_mov_b32_e32 v49, v12
	s_waitcnt lgkmcnt(3)
	v_pk_mul_f32 v[20:21], v[6:7], v[12:13] op_sel:[0,1]
	v_pk_fma_f32 v[40:41], v[6:7], v[12:13], v[20:21] op_sel:[0,0,1] op_sel_hi:[1,0,0] neg_lo:[0,0,1] neg_hi:[0,0,1]
	v_pk_fma_f32 v[42:43], v[6:7], v[12:13], v[20:21] op_sel:[0,0,1] op_sel_hi:[1,0,0]
	v_mul_f32_e32 v12, v6, v14
	v_mov_b32_e32 v53, v13
	v_mov_b32_e32 v54, v13
	v_fma_f32 v83, -v7, v15, v12
	s_waitcnt lgkmcnt(2)
	v_pk_mul_f32 v[12:13], v[0:1], v[16:17] op_sel:[0,1]
	v_pk_fma_f32 v[56:57], v[0:1], v[16:17], v[12:13] op_sel:[0,0,1] op_sel_hi:[1,0,0] neg_lo:[0,0,1] neg_hi:[0,0,1]
	v_pk_fma_f32 v[58:59], v[0:1], v[16:17], v[12:13] op_sel:[0,0,1] op_sel_hi:[1,0,0]
	v_mul_f32_e32 v12, v0, v18
	v_fma_f32 v58, -v1, v19, v12
	v_pk_mul_f32 v[12:13], v[2:3], v[8:9] op_sel:[0,1]
	v_mov_b32_e32 v39, v8
	v_pk_fma_f32 v[64:65], v[2:3], v[8:9], v[12:13] op_sel:[0,0,1] op_sel_hi:[1,0,0] neg_lo:[0,0,1] neg_hi:[0,0,1]
	v_pk_fma_f32 v[66:67], v[2:3], v[8:9], v[12:13] op_sel:[0,0,1] op_sel_hi:[1,0,0]
	v_mul_f32_e32 v8, v2, v10
	s_waitcnt lgkmcnt(0)
	v_mul_f32_e32 v124, v27, v10
	v_mov_b32_e32 v38, v10
	v_mov_b32_e32 v96, v11
	;; [unrolled: 1-line block ×5, first 2 shown]
	ds_read2_b64 v[70:73], v81 offset0:128 offset1:144
	v_fma_f32 v66, -v3, v11, v8
	v_fmac_f32_e32 v124, v26, v11
	ds_read_b128 v[8:11], v82 offset:32
	ds_read_b128 v[20:23], v82 offset:1056
	v_mul_f32_e32 v123, v25, v18
	ds_read2_b64 v[88:91], v81 offset0:160 offset1:176
	v_mov_b32_e32 v44, v18
	v_mov_b32_e32 v45, v16
	;; [unrolled: 1-line block ×6, first 2 shown]
	v_fmac_f32_e32 v123, v24, v19
	ds_read_b128 v[16:19], v82 offset:48
	ds_read2_b64 v[92:95], v81 offset0:192 offset1:208
	s_waitcnt lgkmcnt(4)
	v_pk_mul_f32 v[12:13], v[8:9], v[70:71] op_sel:[0,1]
	v_mul_f32_e32 v122, v87, v14
	v_pk_fma_f32 v[100:101], v[8:9], v[70:71], v[12:13] op_sel:[0,0,1] op_sel_hi:[1,0,0] neg_lo:[0,0,1] neg_hi:[0,0,1]
	v_pk_fma_f32 v[102:103], v[8:9], v[70:71], v[12:13] op_sel:[0,0,1] op_sel_hi:[1,0,0]
	v_mul_f32_e32 v12, v8, v72
	v_mov_b32_e32 v48, v14
	v_mov_b32_e32 v52, v15
	;; [unrolled: 1-line block ×3, first 2 shown]
	v_fmac_f32_e32 v122, v86, v15
	v_fma_f32 v102, -v9, v73, v12
	ds_read_b128 v[12:15], v82 offset:1072
	s_waitcnt lgkmcnt(4)
	v_mul_f32_e32 v125, v21, v72
	v_mov_b32_e32 v60, v72
	v_mov_b32_e32 v68, v73
	;; [unrolled: 1-line block ×3, first 2 shown]
	v_fmac_f32_e32 v125, v20, v73
	s_waitcnt lgkmcnt(3)
	v_pk_mul_f32 v[72:73], v[10:11], v[88:89] op_sel:[0,1]
	v_mov_b32_e32 v69, v71
	v_mov_b32_e32 v62, v71
	;; [unrolled: 1-line block ×5, first 2 shown]
	v_pk_fma_f32 v[106:107], v[10:11], v[88:89], v[72:73] op_sel:[0,0,1] op_sel_hi:[1,0,0] neg_lo:[0,0,1] neg_hi:[0,0,1]
	v_pk_fma_f32 v[108:109], v[10:11], v[88:89], v[72:73] op_sel:[0,0,1] op_sel_hi:[1,0,0]
	v_mul_f32_e32 v41, v10, v90
	v_mul_f32_e32 v126, v23, v90
	s_waitcnt lgkmcnt(1)
	v_pk_mul_f32 v[88:89], v[16:17], v[92:93] op_sel:[0,1]
	v_mov_b32_e32 v61, v70
	v_mov_b32_e32 v70, v90
	;; [unrolled: 1-line block ×4, first 2 shown]
	v_fma_f32 v108, -v11, v91, v41
	v_fmac_f32_e32 v126, v22, v91
	v_mov_b32_e32 v73, v92
	v_mov_b32_e32 v77, v93
	;; [unrolled: 1-line block ×3, first 2 shown]
	v_pk_fma_f32 v[112:113], v[16:17], v[92:93], v[88:89] op_sel:[0,0,1] op_sel_hi:[1,0,0] neg_lo:[0,0,1] neg_hi:[0,0,1]
	v_pk_fma_f32 v[92:93], v[16:17], v[92:93], v[88:89] op_sel:[0,0,1] op_sel_hi:[1,0,0]
	ds_read2_b64 v[88:91], v81 offset1:16
	v_mul_f32_e32 v41, v16, v94
	s_waitcnt lgkmcnt(1)
	v_mul_f32_e32 v127, v13, v94
	v_mov_b32_e32 v72, v94
	v_mov_b32_e32 v76, v95
	;; [unrolled: 1-line block ×3, first 2 shown]
	v_fma_f32 v92, -v17, v95, v41
	v_fmac_f32_e32 v127, v12, v95
	s_waitcnt lgkmcnt(0)
	v_mov_b32_e32 v94, v91
	v_mov_b32_e32 v95, v89
	;; [unrolled: 1-line block ×4, first 2 shown]
	v_pk_mul_f32 v[118:119], v[4:5], v[88:89] op_sel:[0,1]
	v_pk_mul_f32 v[94:95], v[114:115], v[94:95]
	v_mov_b32_e32 v115, v88
	v_mov_b32_e32 v116, v89
	v_pk_fma_f32 v[120:121], v[4:5], v[88:89], v[118:119] op_sel:[0,0,1] op_sel_hi:[1,0,0] neg_lo:[0,0,1] neg_hi:[0,0,1]
	v_pk_fma_f32 v[88:89], v[4:5], v[88:89], v[118:119] op_sel:[0,0,1] op_sel_hi:[1,0,0]
	v_mul_f32_e32 v4, v4, v90
	v_fma_f32 v88, -v5, v91, v4
	v_mul_f32_e32 v118, v85, v90
	v_mov_b32_e32 v4, v5
	v_mov_b32_e32 v114, v90
	;; [unrolled: 1-line block ×3, first 2 shown]
	v_fmac_f32_e32 v118, v84, v91
	v_pk_fma_f32 v[90:91], v[4:5], v[90:91], v[94:95]
	v_mov_b32_e32 v5, v84
	v_pk_fma_f32 v[4:5], v[4:5], v[114:115], v[94:95] neg_lo:[0,0,1] neg_hi:[0,0,1]
	v_pk_mul_f32 v[94:95], v[84:85], v[114:115]
	v_pk_fma_f32 v[114:115], v[84:85], v[116:117], v[94:95] op_sel:[0,0,1] op_sel_hi:[1,1,0]
	v_pk_fma_f32 v[84:85], v[84:85], v[116:117], v[94:95] op_sel:[0,0,1] op_sel_hi:[1,1,0] neg_lo:[1,0,0] neg_hi:[1,0,0]
	v_pk_mul_f32 v[94:95], v[86:87], v[48:49]
	v_pk_fma_f32 v[116:117], v[86:87], v[54:55], v[94:95] op_sel:[0,0,1] op_sel_hi:[1,1,0]
	v_pk_fma_f32 v[54:55], v[86:87], v[54:55], v[94:95] op_sel:[0,0,1] op_sel_hi:[1,1,0] neg_lo:[1,0,0] neg_hi:[1,0,0]
	v_mov_b32_e32 v95, v86
	v_mov_b32_e32 v86, v6
	;; [unrolled: 1-line block ×4, first 2 shown]
	v_pk_mul_f32 v[6:7], v[86:87], v[52:53]
	v_pk_fma_f32 v[52:53], v[4:5], v[48:49], v[6:7]
	v_pk_fma_f32 v[6:7], v[94:95], v[48:49], v[6:7] neg_lo:[0,0,1] neg_hi:[0,0,1]
	buffer_load_dword v94, off, s[0:3], 0 offset:12
	buffer_load_dword v95, off, s[0:3], 0 offset:16
	buffer_load_dword v6, off, s[0:3], 0
	v_mov_b32_e32 v48, v0
	v_mov_b32_e32 v49, v25
	v_pk_mul_f32 v[48:49], v[48:49], v[50:51]
	v_mov_b32_e32 v0, v1
	v_mov_b32_e32 v50, v1
	;; [unrolled: 1-line block ×3, first 2 shown]
	v_pk_fma_f32 v[86:87], v[0:1], v[44:45], v[48:49]
	v_pk_mul_f32 v[0:1], v[24:25], v[44:45]
	v_pk_fma_f32 v[48:49], v[50:51], v[44:45], v[48:49] neg_lo:[0,0,1] neg_hi:[0,0,1]
	v_pk_fma_f32 v[44:45], v[24:25], v[46:47], v[0:1] op_sel:[0,0,1] op_sel_hi:[1,1,0]
	v_pk_fma_f32 v[24:25], v[24:25], v[46:47], v[0:1] op_sel:[0,0,1] op_sel_hi:[1,1,0] neg_lo:[1,0,0] neg_hi:[1,0,0]
	v_pk_mul_f32 v[0:1], v[26:27], v[38:39]
	v_pk_fma_f32 v[46:47], v[26:27], v[98:99], v[0:1] op_sel:[0,0,1] op_sel_hi:[1,1,0]
	v_pk_fma_f32 v[50:51], v[26:27], v[98:99], v[0:1] op_sel:[0,0,1] op_sel_hi:[1,1,0] neg_lo:[1,0,0] neg_hi:[1,0,0]
	v_mov_b32_e32 v1, v27
	v_mov_b32_e32 v0, v2
	;; [unrolled: 1-line block ×4, first 2 shown]
	v_pk_mul_f32 v[0:1], v[0:1], v[96:97]
	v_mov_b32_e32 v2, v3
	v_pk_fma_f32 v[26:27], v[26:27], v[38:39], v[0:1] neg_lo:[0,0,1] neg_hi:[0,0,1]
	v_pk_fma_f32 v[96:97], v[2:3], v[38:39], v[0:1]
	buffer_load_dword v26, off, s[0:3], 0 offset:20
	buffer_load_dword v38, off, s[0:3], 0 offset:4
	;; [unrolled: 1-line block ×3, first 2 shown]
	v_mov_b32_e32 v121, v89
	v_pk_add_f32 v[0:1], v[28:29], v[120:121]
	v_mov_b32_e32 v41, v43
	v_pk_add_f32 v[0:1], v[0:1], v[40:41]
	v_mov_b32_e32 v57, v59
	v_pk_add_f32 v[0:1], v[0:1], v[56:57]
	v_mov_b32_e32 v65, v67
	v_pk_add_f32 v[0:1], v[0:1], v[64:65]
	v_mov_b32_e32 v101, v103
	v_pk_add_f32 v[28:29], v[0:1], v[100:101]
	ds_read2_b64 v[0:3], v81 offset0:224 offset1:240
	v_mov_b32_e32 v115, v85
	v_mov_b32_e32 v117, v55
	;; [unrolled: 1-line block ×4, first 2 shown]
	s_waitcnt lgkmcnt(0)
	v_pk_mul_f32 v[40:41], v[18:19], v[0:1] op_sel:[0,1]
	v_pk_fma_f32 v[42:43], v[18:19], v[0:1], v[40:41] op_sel:[0,0,1] op_sel_hi:[1,0,0] neg_lo:[0,0,1] neg_hi:[0,0,1]
	v_pk_fma_f32 v[40:41], v[18:19], v[0:1], v[40:41] op_sel:[0,0,1] op_sel_hi:[1,0,0]
	v_mov_b32_e32 v43, v41
	v_pk_add_f32 v[28:29], v[28:29], v[106:107]
	v_mov_b32_e32 v113, v93
	v_pk_add_f32 v[28:29], v[28:29], v[112:113]
	;; [unrolled: 2-line block ×3, first 2 shown]
	v_mov_b32_e32 v42, v9
	v_mov_b32_e32 v91, v5
	;; [unrolled: 1-line block ×7, first 2 shown]
	v_add_co_u32_e32 v34, vcc, s20, v34
	s_add_u32 s8, s8, 8
	s_addc_u32 s9, s9, 0
	s_waitcnt vmcnt(4)
	v_pk_add_f32 v[40:41], v[94:95], v[114:115]
	v_pk_add_f32 v[40:41], v[40:41], v[116:117]
	;; [unrolled: 1-line block ×3, first 2 shown]
	v_mov_b32_e32 v40, v8
	v_mov_b32_e32 v41, v21
	v_pk_mul_f32 v[40:41], v[40:41], v[68:69]
	v_pk_fma_f32 v[8:9], v[4:5], v[60:61], v[40:41]
	s_waitcnt vmcnt(3)
	v_add_f32_e32 v4, v6, v88
	v_add_f32_e32 v4, v4, v83
	;; [unrolled: 1-line block ×6, first 2 shown]
	v_mul_f32_e32 v5, v18, v2
	v_add_f32_e32 v4, v4, v92
	v_fma_f32 v5, -v19, v3, v5
	v_pk_fma_f32 v[40:41], v[42:43], v[60:61], v[40:41] neg_lo:[0,0,1] neg_hi:[0,0,1]
	v_pk_mul_f32 v[42:43], v[20:21], v[60:61]
	v_add_f32_e32 v4, v4, v5
	v_pk_fma_f32 v[44:45], v[20:21], v[62:63], v[42:43] op_sel:[0,0,1] op_sel_hi:[1,1,0]
	v_pk_fma_f32 v[20:21], v[20:21], v[62:63], v[42:43] op_sel:[0,0,1] op_sel_hi:[1,1,0] neg_lo:[1,0,0] neg_hi:[1,0,0]
	buffer_store_dword v4, off, s[0:3], 0
	s_waitcnt vmcnt(3)
	v_add_f32_e32 v4, v26, v118
	v_pk_add_f32 v[24:25], v[24:25], v[46:47]
	v_mov_b32_e32 v45, v21
	v_add_f32_e32 v4, v4, v122
	v_pk_add_f32 v[20:21], v[24:25], v[44:45]
	v_pk_mul_f32 v[24:25], v[22:23], v[70:71]
	v_add_f32_e32 v4, v4, v123
	v_pk_fma_f32 v[42:43], v[22:23], v[104:105], v[24:25] op_sel:[0,0,1] op_sel_hi:[1,1,0]
	v_pk_fma_f32 v[24:25], v[22:23], v[104:105], v[24:25] op_sel:[0,0,1] op_sel_hi:[1,1,0] neg_lo:[1,0,0] neg_hi:[1,0,0]
	v_add_f32_e32 v4, v4, v124
	v_mov_b32_e32 v43, v25
	v_pk_mul_f32 v[24:25], v[12:13], v[72:73]
	v_add_f32_e32 v4, v4, v125
	v_pk_add_f32 v[20:21], v[20:21], v[42:43]
	v_pk_fma_f32 v[42:43], v[12:13], v[110:111], v[24:25] op_sel:[0,0,1] op_sel_hi:[1,1,0]
	v_pk_fma_f32 v[24:25], v[12:13], v[110:111], v[24:25] op_sel:[0,0,1] op_sel_hi:[1,1,0] neg_lo:[1,0,0] neg_hi:[1,0,0]
	v_add_f32_e32 v4, v4, v126
	v_mov_b32_e32 v43, v25
	v_add_f32_e32 v25, v4, v127
	s_waitcnt vmcnt(1)
	v_pk_add_f32 v[4:5], v[38:39], v[90:91]
	v_pk_add_f32 v[4:5], v[4:5], v[52:53]
	;; [unrolled: 1-line block ×4, first 2 shown]
	v_mov_b32_e32 v9, v41
	v_pk_add_f32 v[4:5], v[4:5], v[8:9]
	v_mov_b32_e32 v8, v10
	v_mov_b32_e32 v9, v23
	;; [unrolled: 1-line block ×3, first 2 shown]
	v_pk_mul_f32 v[8:9], v[8:9], v[74:75]
	v_mov_b32_e32 v10, v11
	v_mov_b32_e32 v11, v22
	v_pk_fma_f32 v[6:7], v[6:7], v[70:71], v[8:9]
	v_pk_fma_f32 v[8:9], v[10:11], v[70:71], v[8:9] neg_lo:[0,0,1] neg_hi:[0,0,1]
	v_mov_b32_e32 v7, v9
	v_pk_add_f32 v[4:5], v[4:5], v[6:7]
	v_mov_b32_e32 v6, v16
	v_mov_b32_e32 v7, v13
	;; [unrolled: 1-line block ×3, first 2 shown]
	v_pk_mul_f32 v[6:7], v[6:7], v[76:77]
	v_mov_b32_e32 v8, v17
	v_mov_b32_e32 v9, v12
	v_pk_fma_f32 v[10:11], v[24:25], v[72:73], v[6:7]
	v_pk_fma_f32 v[6:7], v[8:9], v[72:73], v[6:7] neg_lo:[0,0,1] neg_hi:[0,0,1]
	v_mov_b32_e32 v38, v3
	v_mov_b32_e32 v39, v1
	;; [unrolled: 1-line block ×9, first 2 shown]
	v_pk_mul_f32 v[8:9], v[18:19], v[38:39]
	v_pk_add_f32 v[20:21], v[20:21], v[42:43]
	v_mov_b32_e32 v42, v1
	v_pk_fma_f32 v[0:1], v[0:1], v[44:45], v[8:9]
	v_pk_fma_f32 v[6:7], v[6:7], v[44:45], v[8:9] neg_lo:[0,0,1] neg_hi:[0,0,1]
	v_pk_add_f32 v[4:5], v[4:5], v[10:11]
	v_mov_b32_e32 v1, v7
	v_pk_add_f32 v[0:1], v[4:5], v[0:1]
	v_mov_b32_e32 v43, v3
	buffer_store_dword v1, off, s[0:3], 0 offset:8
	buffer_store_dword v0, off, s[0:3], 0 offset:4
	v_pk_mul_f32 v[0:1], v[14:15], v[44:45]
	v_pk_fma_f32 v[4:5], v[14:15], v[42:43], v[0:1] op_sel:[0,0,1] op_sel_hi:[1,1,0]
	v_pk_fma_f32 v[0:1], v[14:15], v[42:43], v[0:1] op_sel:[0,0,1] op_sel_hi:[1,1,0] neg_lo:[1,0,0] neg_hi:[1,0,0]
	v_mov_b32_e32 v5, v1
	v_mul_f32_e32 v2, v15, v2
	v_fmac_f32_e32 v2, v14, v3
	v_pk_add_f32 v[0:1], v[20:21], v[4:5]
	v_add_f32_e32 v2, v25, v2
	buffer_store_dword v0, off, s[0:3], 0 offset:12
	buffer_store_dword v1, off, s[0:3], 0 offset:16
	;; [unrolled: 1-line block ×3, first 2 shown]
	v_mov_b32_e32 v0, s21
	v_addc_co_u32_e32 v35, vcc, v35, v0, vcc
	v_mov_b32_e32 v0, s7
	v_add_co_u32_e32 v36, vcc, s6, v36
	v_addc_co_u32_e32 v37, vcc, v37, v0, vcc
	v_pk_mov_b32 v[0:1], s[16:17], s[16:17] op_sel:[0,1]
	v_cmp_lt_i64_e32 vcc, s[8:9], v[0:1]
	s_barrier
	s_cbranch_vccz .LBB259_10
.LBB259_3:                              ; =>This Inner Loop Header: Depth=1
	v_mov_b32_e32 v1, s9
	v_add_co_u32_e32 v0, vcc, s8, v30
	v_addc_co_u32_e32 v1, vcc, 0, v1, vcc
	v_cmp_gt_i64_e32 vcc, s[16:17], v[0:1]
	s_and_b64 s[26:27], s[4:5], vcc
	v_mov_b32_e32 v0, 0
	v_mov_b32_e32 v1, 0
	s_and_saveexec_b64 s[24:25], s[26:27]
	s_cbranch_execz .LBB259_5
; %bb.4:                                ;   in Loop: Header=BB259_3 Depth=1
	global_load_dwordx2 v[0:1], v[36:37], off
.LBB259_5:                              ;   in Loop: Header=BB259_3 Depth=1
	s_or_b64 exec, exec, s[24:25]
	s_waitcnt vmcnt(0)
	ds_write_b64 v79, v[0:1]
	v_mov_b32_e32 v1, s9
	v_add_co_u32_e32 v0, vcc, s8, v32
	v_addc_co_u32_e32 v1, vcc, 0, v1, vcc
	v_cmp_le_i64_e32 vcc, s[16:17], v[0:1]
	s_or_b64 s[24:25], vcc, s[22:23]
                                        ; implicit-def: $sgpr26
	s_and_saveexec_b64 s[44:45], s[24:25]
	s_xor_b64 s[24:25], exec, s[44:45]
	s_cbranch_execz .LBB259_7
; %bb.6:                                ;   in Loop: Header=BB259_3 Depth=1
	ds_write_b32 v80, v78
	s_mov_b32 s26, 0
.LBB259_7:                              ;   in Loop: Header=BB259_3 Depth=1
	s_or_saveexec_b64 s[24:25], s[24:25]
	v_mov_b32_e32 v0, s26
	s_xor_b64 exec, exec, s[24:25]
	s_cbranch_execz .LBB259_2
; %bb.8:                                ;   in Loop: Header=BB259_3 Depth=1
	global_load_dwordx2 v[2:3], v[34:35], off offset:-4
	s_waitcnt vmcnt(0)
	v_xor_b32_e32 v0, 0x80000000, v3
	ds_write_b32 v80, v2
	s_branch .LBB259_2
.LBB259_9:
	v_mov_b32_e32 v29, 0
	v_mov_b32_e32 v28, v78
.LBB259_10:
	s_lshl_b64 s[4:5], s[30:31], 3
	s_waitcnt lgkmcnt(0)
	s_add_u32 s22, s42, s4
	s_addc_u32 s23, s43, s5
	v_mov_b32_e32 v1, s49
	v_add_co_u32_e32 v0, vcc, s48, v33
	s_or_b32 s4, s34, s35
	v_addc_co_u32_e32 v1, vcc, 0, v1, vcc
	s_bitset0_b32 s4, 31
	s_cmp_lg_u32 s4, 0
	v_cmp_gt_i64_e64 s[4:5], s[14:15], v[0:1]
	s_mov_b64 s[6:7], -1
	s_cbranch_scc1 .LBB259_22
; %bb.11:
	s_and_saveexec_b64 s[16:17], s[4:5]
	s_cbranch_execz .LBB259_21
; %bb.12:
	v_mov_b32_e32 v2, s37
	v_add_co_u32_e32 v4, vcc, s36, v31
	v_addc_co_u32_e32 v5, vcc, 0, v2, vcc
	v_mul_lo_u32 v6, v1, s28
	v_mul_lo_u32 v7, v0, s29
	v_mad_u64_u32 v[2:3], s[6:7], v0, s28, 0
	v_add3_u32 v3, v3, v7, v6
	v_lshlrev_b64 v[2:3], 3, v[2:3]
	v_mov_b32_e32 v7, s23
	v_add_co_u32_e64 v6, s[6:7], s22, v2
	v_cmp_gt_i64_e32 vcc, s[12:13], v[4:5]
	v_addc_co_u32_e64 v7, s[6:7], v7, v3, s[6:7]
	v_lshlrev_b64 v[2:3], 3, v[4:5]
	s_and_saveexec_b64 s[8:9], vcc
	s_cbranch_execz .LBB259_14
; %bb.13:
	v_mul_f32_e32 v8, s19, v29
	v_mul_f32_e32 v9, s18, v29
	v_add_co_u32_e64 v10, s[6:7], v6, v2
	v_fma_f32 v8, v28, s18, -v8
	v_fmac_f32_e32 v9, s19, v28
	v_addc_co_u32_e64 v11, s[6:7], v7, v3, s[6:7]
	global_store_dwordx2 v[10:11], v[8:9], off
.LBB259_14:
	s_or_b64 exec, exec, s[8:9]
	v_add_co_u32_e64 v4, s[6:7], 16, v4
	v_addc_co_u32_e64 v5, s[6:7], 0, v5, s[6:7]
	v_cmp_gt_i64_e64 s[6:7], s[12:13], v[4:5]
	s_and_saveexec_b64 s[20:21], s[6:7]
	s_cbranch_execz .LBB259_16
; %bb.15:
	buffer_load_dword v4, off, s[0:3], 0 offset:4
	buffer_load_dword v8, off, s[0:3], 0
	s_waitcnt vmcnt(1)
	v_mul_f32_e32 v9, s19, v4
	v_mul_f32_e32 v5, s18, v4
	s_waitcnt vmcnt(0)
	v_fma_f32 v4, v8, s18, -v9
	v_fmac_f32_e32 v5, s19, v8
	v_add_co_u32_e64 v8, s[8:9], v6, v2
	v_addc_co_u32_e64 v9, s[8:9], v7, v3, s[8:9]
	global_store_dwordx2 v[8:9], v[4:5], off offset:128
.LBB259_16:
	s_or_b64 exec, exec, s[20:21]
	v_add_co_u32_e64 v4, s[8:9], 16, v0
	v_addc_co_u32_e64 v5, s[8:9], 0, v1, s[8:9]
	v_cmp_gt_i64_e64 s[8:9], s[14:15], v[4:5]
	s_and_b64 exec, exec, s[8:9]
	s_cbranch_execz .LBB259_21
; %bb.17:
	buffer_load_dword v4, off, s[0:3], 0 offset:16
	buffer_load_dword v5, off, s[0:3], 0 offset:20
	s_lshl_b64 s[8:9], s[28:29], 7
	v_mov_b32_e32 v8, s9
	v_add_co_u32_e64 v6, s[8:9], s8, v6
	v_addc_co_u32_e64 v7, s[8:9], v7, v8, s[8:9]
	v_add_co_u32_e64 v2, s[8:9], v6, v2
	v_addc_co_u32_e64 v3, s[8:9], v7, v3, s[8:9]
	s_and_saveexec_b64 s[8:9], vcc
	s_cbranch_execz .LBB259_19
; %bb.18:
	buffer_load_dword v6, off, s[0:3], 0 offset:12
	buffer_load_dword v8, off, s[0:3], 0 offset:8
	s_waitcnt vmcnt(1)
	v_mul_f32_e32 v9, s19, v6
	v_mul_f32_e32 v7, s18, v6
	s_waitcnt vmcnt(0)
	v_fma_f32 v6, v8, s18, -v9
	v_fmac_f32_e32 v7, s19, v8
	global_store_dwordx2 v[2:3], v[6:7], off
.LBB259_19:
	s_or_b64 exec, exec, s[8:9]
	s_and_b64 exec, exec, s[6:7]
	s_cbranch_execz .LBB259_21
; %bb.20:
	s_waitcnt vmcnt(0)
	v_mul_f32_e32 v6, s19, v5
	v_mul_f32_e32 v7, s18, v5
	v_fma_f32 v6, v4, s18, -v6
	v_fmac_f32_e32 v7, s19, v4
	global_store_dwordx2 v[2:3], v[6:7], off offset:128
.LBB259_21:
	s_or_b64 exec, exec, s[16:17]
	s_mov_b64 s[6:7], 0
.LBB259_22:
	s_andn2_b64 vcc, exec, s[6:7]
	s_cbranch_vccnz .LBB259_33
; %bb.23:
	s_and_saveexec_b64 s[6:7], s[4:5]
	s_cbranch_execz .LBB259_33
; %bb.24:
	s_lshl_b64 s[4:5], s[40:41], 3
	s_add_u32 s6, s10, s4
	v_mov_b32_e32 v2, s37
	s_waitcnt vmcnt(1)
	v_add_co_u32_e32 v4, vcc, s36, v31
	s_addc_u32 s7, s11, s5
	s_waitcnt vmcnt(0)
	v_addc_co_u32_e32 v5, vcc, 0, v2, vcc
	v_mul_lo_u32 v6, v1, s38
	v_mul_lo_u32 v7, v0, s39
	v_mad_u64_u32 v[2:3], s[4:5], v0, s38, 0
	v_add3_u32 v3, v3, v7, v6
	v_mul_lo_u32 v6, v1, s28
	v_mul_lo_u32 v7, v0, s29
	v_mad_u64_u32 v[8:9], s[4:5], v0, s28, 0
	v_lshlrev_b64 v[2:3], 3, v[2:3]
	v_add3_u32 v9, v9, v7, v6
	v_mov_b32_e32 v7, s7
	v_add_co_u32_e64 v6, s[4:5], s6, v2
	v_addc_co_u32_e64 v7, s[4:5], v7, v3, s[4:5]
	v_lshlrev_b64 v[2:3], 3, v[8:9]
	v_mov_b32_e32 v9, s23
	v_add_co_u32_e64 v8, s[4:5], s22, v2
	v_cmp_gt_i64_e32 vcc, s[12:13], v[4:5]
	v_addc_co_u32_e64 v9, s[4:5], v9, v3, s[4:5]
	v_lshlrev_b64 v[2:3], 3, v[4:5]
	s_and_saveexec_b64 s[6:7], vcc
	s_cbranch_execz .LBB259_26
; %bb.25:
	v_add_co_u32_e64 v10, s[4:5], v6, v2
	v_addc_co_u32_e64 v11, s[4:5], v7, v3, s[4:5]
	global_load_dwordx2 v[10:11], v[10:11], off
	v_mul_f32_e32 v12, s19, v29
	v_mul_f32_e32 v13, s18, v29
	v_fma_f32 v12, v28, s18, -v12
	v_fmac_f32_e32 v13, s19, v28
	s_waitcnt vmcnt(0)
	v_mul_f32_e32 v14, s35, v11
	v_mul_f32_e32 v11, s34, v11
	v_fma_f32 v14, v10, s34, -v14
	v_fmac_f32_e32 v11, s35, v10
	v_add_f32_e32 v10, v12, v14
	v_add_co_u32_e64 v12, s[4:5], v8, v2
	v_add_f32_e32 v11, v13, v11
	v_addc_co_u32_e64 v13, s[4:5], v9, v3, s[4:5]
	global_store_dwordx2 v[12:13], v[10:11], off
.LBB259_26:
	s_or_b64 exec, exec, s[6:7]
	v_add_co_u32_e64 v4, s[4:5], 16, v4
	v_addc_co_u32_e64 v5, s[4:5], 0, v5, s[4:5]
	v_cmp_gt_i64_e64 s[4:5], s[12:13], v[4:5]
	s_and_saveexec_b64 s[8:9], s[4:5]
	s_cbranch_execz .LBB259_28
; %bb.27:
	v_add_co_u32_e64 v4, s[6:7], v6, v2
	buffer_load_dword v10, off, s[0:3], 0
	buffer_load_dword v11, off, s[0:3], 0 offset:4
	v_addc_co_u32_e64 v5, s[6:7], v7, v3, s[6:7]
	global_load_dwordx2 v[4:5], v[4:5], off offset:128
	s_waitcnt vmcnt(1)
	v_mul_f32_e32 v12, s19, v11
	v_mul_f32_e32 v11, s18, v11
	v_fma_f32 v12, v10, s18, -v12
	v_fmac_f32_e32 v11, s19, v10
	s_waitcnt vmcnt(0)
	v_mul_f32_e32 v10, s35, v5
	v_mul_f32_e32 v5, s34, v5
	v_fma_f32 v10, v4, s34, -v10
	v_fmac_f32_e32 v5, s35, v4
	v_add_f32_e32 v4, v12, v10
	v_add_co_u32_e64 v10, s[6:7], v8, v2
	v_add_f32_e32 v5, v11, v5
	v_addc_co_u32_e64 v11, s[6:7], v9, v3, s[6:7]
	global_store_dwordx2 v[10:11], v[4:5], off offset:128
.LBB259_28:
	s_or_b64 exec, exec, s[8:9]
	v_add_co_u32_e64 v0, s[6:7], 16, v0
	v_addc_co_u32_e64 v1, s[6:7], 0, v1, s[6:7]
	v_cmp_gt_i64_e64 s[6:7], s[14:15], v[0:1]
	s_and_b64 exec, exec, s[6:7]
	s_cbranch_execz .LBB259_33
; %bb.29:
	buffer_load_dword v10, off, s[0:3], 0 offset:16
	buffer_load_dword v11, off, s[0:3], 0 offset:20
	s_lshl_b64 s[6:7], s[38:39], 7
	v_mov_b32_e32 v0, s7
	v_add_co_u32_e64 v1, s[6:7], s6, v6
	v_addc_co_u32_e64 v0, s[6:7], v7, v0, s[6:7]
	s_lshl_b64 s[6:7], s[28:29], 7
	v_mov_b32_e32 v4, s7
	v_add_co_u32_e64 v6, s[6:7], s6, v8
	v_addc_co_u32_e64 v7, s[6:7], v9, v4, s[6:7]
	v_add_co_u32_e64 v4, s[6:7], v1, v2
	v_addc_co_u32_e64 v5, s[6:7], v0, v3, s[6:7]
	;; [unrolled: 2-line block ×3, first 2 shown]
	s_and_saveexec_b64 s[6:7], vcc
	s_cbranch_execz .LBB259_31
; %bb.30:
	buffer_load_dword v6, off, s[0:3], 0 offset:12
	buffer_load_dword v7, off, s[0:3], 0 offset:8
	global_load_dwordx2 v[2:3], v[4:5], off
	s_waitcnt vmcnt(2)
	v_mul_f32_e32 v8, s19, v6
	v_mul_f32_e32 v6, s18, v6
	s_waitcnt vmcnt(0)
	v_mul_f32_e32 v9, s35, v3
	v_mul_f32_e32 v3, s34, v3
	v_fma_f32 v8, v7, s18, -v8
	v_fmac_f32_e32 v6, s19, v7
	v_fma_f32 v7, v2, s34, -v9
	v_fmac_f32_e32 v3, s35, v2
	v_add_f32_e32 v2, v8, v7
	v_add_f32_e32 v3, v6, v3
	global_store_dwordx2 v[0:1], v[2:3], off
.LBB259_31:
	s_or_b64 exec, exec, s[6:7]
	s_and_b64 exec, exec, s[4:5]
	s_cbranch_execz .LBB259_33
; %bb.32:
	global_load_dwordx2 v[2:3], v[4:5], off offset:128
	s_waitcnt vmcnt(1)
	v_mul_f32_e32 v4, s19, v11
	v_mul_f32_e32 v5, s18, v11
	v_fma_f32 v4, v10, s18, -v4
	v_fmac_f32_e32 v5, s19, v10
	s_waitcnt vmcnt(0)
	v_mul_f32_e32 v6, s35, v3
	v_mul_f32_e32 v3, s34, v3
	v_fma_f32 v6, v2, s34, -v6
	v_fmac_f32_e32 v3, s35, v2
	v_add_f32_e32 v2, v4, v6
	v_add_f32_e32 v3, v5, v3
	global_store_dwordx2 v[0:1], v[2:3], off offset:128
.LBB259_33:
	s_endpgm
	.section	.rodata,"a",@progbits
	.p2align	6, 0x0
	.amdhsa_kernel _ZN12_GLOBAL__N_135rocblas_gemm_batched_general_kernelI19rocblas_complex_numIfELi16ELi16ELi32ELi32ELi8ELi32ELi8ELi8ELi32ELc78ELc67EKPKS2_S5_KPS2_EEvlllT_PT11_llSA_llS8_PT12_llPT13_lli
		.amdhsa_group_segment_fixed_size 4096
		.amdhsa_private_segment_fixed_size 32
		.amdhsa_kernarg_size 140
		.amdhsa_user_sgpr_count 8
		.amdhsa_user_sgpr_private_segment_buffer 1
		.amdhsa_user_sgpr_dispatch_ptr 0
		.amdhsa_user_sgpr_queue_ptr 0
		.amdhsa_user_sgpr_kernarg_segment_ptr 1
		.amdhsa_user_sgpr_dispatch_id 0
		.amdhsa_user_sgpr_flat_scratch_init 1
		.amdhsa_user_sgpr_kernarg_preload_length 0
		.amdhsa_user_sgpr_kernarg_preload_offset 0
		.amdhsa_user_sgpr_private_segment_size 0
		.amdhsa_uses_dynamic_stack 0
		.amdhsa_system_sgpr_private_segment_wavefront_offset 1
		.amdhsa_system_sgpr_workgroup_id_x 1
		.amdhsa_system_sgpr_workgroup_id_y 1
		.amdhsa_system_sgpr_workgroup_id_z 1
		.amdhsa_system_sgpr_workgroup_info 0
		.amdhsa_system_vgpr_workitem_id 1
		.amdhsa_next_free_vgpr 128
		.amdhsa_next_free_sgpr 54
		.amdhsa_accum_offset 128
		.amdhsa_reserve_vcc 1
		.amdhsa_reserve_flat_scratch 0
		.amdhsa_float_round_mode_32 0
		.amdhsa_float_round_mode_16_64 0
		.amdhsa_float_denorm_mode_32 3
		.amdhsa_float_denorm_mode_16_64 3
		.amdhsa_dx10_clamp 1
		.amdhsa_ieee_mode 1
		.amdhsa_fp16_overflow 0
		.amdhsa_tg_split 0
		.amdhsa_exception_fp_ieee_invalid_op 0
		.amdhsa_exception_fp_denorm_src 0
		.amdhsa_exception_fp_ieee_div_zero 0
		.amdhsa_exception_fp_ieee_overflow 0
		.amdhsa_exception_fp_ieee_underflow 0
		.amdhsa_exception_fp_ieee_inexact 0
		.amdhsa_exception_int_div_zero 0
	.end_amdhsa_kernel
	.section	.text._ZN12_GLOBAL__N_135rocblas_gemm_batched_general_kernelI19rocblas_complex_numIfELi16ELi16ELi32ELi32ELi8ELi32ELi8ELi8ELi32ELc78ELc67EKPKS2_S5_KPS2_EEvlllT_PT11_llSA_llS8_PT12_llPT13_lli,"axG",@progbits,_ZN12_GLOBAL__N_135rocblas_gemm_batched_general_kernelI19rocblas_complex_numIfELi16ELi16ELi32ELi32ELi8ELi32ELi8ELi8ELi32ELc78ELc67EKPKS2_S5_KPS2_EEvlllT_PT11_llSA_llS8_PT12_llPT13_lli,comdat
.Lfunc_end259:
	.size	_ZN12_GLOBAL__N_135rocblas_gemm_batched_general_kernelI19rocblas_complex_numIfELi16ELi16ELi32ELi32ELi8ELi32ELi8ELi8ELi32ELc78ELc67EKPKS2_S5_KPS2_EEvlllT_PT11_llSA_llS8_PT12_llPT13_lli, .Lfunc_end259-_ZN12_GLOBAL__N_135rocblas_gemm_batched_general_kernelI19rocblas_complex_numIfELi16ELi16ELi32ELi32ELi8ELi32ELi8ELi8ELi32ELc78ELc67EKPKS2_S5_KPS2_EEvlllT_PT11_llSA_llS8_PT12_llPT13_lli
                                        ; -- End function
	.section	.AMDGPU.csdata,"",@progbits
; Kernel info:
; codeLenInByte = 3816
; NumSgprs: 58
; NumVgprs: 128
; NumAgprs: 0
; TotalNumVgprs: 128
; ScratchSize: 32
; MemoryBound: 0
; FloatMode: 240
; IeeeMode: 1
; LDSByteSize: 4096 bytes/workgroup (compile time only)
; SGPRBlocks: 7
; VGPRBlocks: 15
; NumSGPRsForWavesPerEU: 58
; NumVGPRsForWavesPerEU: 128
; AccumOffset: 128
; Occupancy: 4
; WaveLimiterHint : 1
; COMPUTE_PGM_RSRC2:SCRATCH_EN: 1
; COMPUTE_PGM_RSRC2:USER_SGPR: 8
; COMPUTE_PGM_RSRC2:TRAP_HANDLER: 0
; COMPUTE_PGM_RSRC2:TGID_X_EN: 1
; COMPUTE_PGM_RSRC2:TGID_Y_EN: 1
; COMPUTE_PGM_RSRC2:TGID_Z_EN: 1
; COMPUTE_PGM_RSRC2:TIDIG_COMP_CNT: 1
; COMPUTE_PGM_RSRC3_GFX90A:ACCUM_OFFSET: 31
; COMPUTE_PGM_RSRC3_GFX90A:TG_SPLIT: 0
	.section	.text._ZN12_GLOBAL__N_135rocblas_gemm_batched_general_kernelI19rocblas_complex_numIfELi16ELi16ELi32ELi32ELi8ELi32ELi8ELi8ELi32ELc84ELc67EKPKS2_S5_KPS2_EEvlllT_PT11_llSA_llS8_PT12_llPT13_lli,"axG",@progbits,_ZN12_GLOBAL__N_135rocblas_gemm_batched_general_kernelI19rocblas_complex_numIfELi16ELi16ELi32ELi32ELi8ELi32ELi8ELi8ELi32ELc84ELc67EKPKS2_S5_KPS2_EEvlllT_PT11_llSA_llS8_PT12_llPT13_lli,comdat
	.globl	_ZN12_GLOBAL__N_135rocblas_gemm_batched_general_kernelI19rocblas_complex_numIfELi16ELi16ELi32ELi32ELi8ELi32ELi8ELi8ELi32ELc84ELc67EKPKS2_S5_KPS2_EEvlllT_PT11_llSA_llS8_PT12_llPT13_lli ; -- Begin function _ZN12_GLOBAL__N_135rocblas_gemm_batched_general_kernelI19rocblas_complex_numIfELi16ELi16ELi32ELi32ELi8ELi32ELi8ELi8ELi32ELc84ELc67EKPKS2_S5_KPS2_EEvlllT_PT11_llSA_llS8_PT12_llPT13_lli
	.p2align	8
	.type	_ZN12_GLOBAL__N_135rocblas_gemm_batched_general_kernelI19rocblas_complex_numIfELi16ELi16ELi32ELi32ELi8ELi32ELi8ELi8ELi32ELc84ELc67EKPKS2_S5_KPS2_EEvlllT_PT11_llSA_llS8_PT12_llPT13_lli,@function
_ZN12_GLOBAL__N_135rocblas_gemm_batched_general_kernelI19rocblas_complex_numIfELi16ELi16ELi32ELi32ELi8ELi32ELi8ELi8ELi32ELc84ELc67EKPKS2_S5_KPS2_EEvlllT_PT11_llSA_llS8_PT12_llPT13_lli: ; @_ZN12_GLOBAL__N_135rocblas_gemm_batched_general_kernelI19rocblas_complex_numIfELi16ELi16ELi32ELi32ELi8ELi32ELi8ELi8ELi32ELc84ELc67EKPKS2_S5_KPS2_EEvlllT_PT11_llSA_llS8_PT12_llPT13_lli
; %bb.0:
	s_load_dwordx16 s[12:27], s[4:5], 0x0
	s_load_dwordx4 s[28:31], s[4:5], 0x78
	s_load_dwordx8 s[36:43], s[4:5], 0x58
	s_load_dwordx2 s[34:35], s[4:5], 0x50
	s_add_u32 s0, s0, s11
	s_mov_b32 s11, 0
	s_addc_u32 s1, s1, 0
	s_lshl_b64 s[48:49], s[10:11], 3
	s_waitcnt lgkmcnt(0)
	s_add_u32 s10, s36, s48
	s_addc_u32 s11, s37, s49
	s_load_dwordx2 s[36:37], s[10:11], 0x0
	s_add_u32 s10, s42, s48
	s_addc_u32 s11, s43, s49
	s_load_dwordx2 s[44:45], s[10:11], 0x0
	s_mov_b32 s6, s9
	s_ashr_i32 s9, s8, 31
	s_lshl_b64 s[42:43], s[8:9], 5
	s_ashr_i32 s7, s6, 31
	v_cmp_lt_i64_e64 s[8:9], s[16:17], 1
	v_and_b32_e32 v31, 0x3ff, v0
	v_bfe_u32 v33, v0, 10, 10
	v_mov_b32_e32 v78, 0
	s_lshl_b64 s[46:47], s[6:7], 5
	s_and_b64 vcc, exec, s[8:9]
	buffer_store_dword v78, off, s[0:3], 0 offset:4
	buffer_store_dword v78, off, s[0:3], 0
	buffer_store_dword v78, off, s[0:3], 0 offset:12
	buffer_store_dword v78, off, s[0:3], 0 offset:8
	;; [unrolled: 1-line block ×4, first 2 shown]
	s_cbranch_vccnz .LBB260_9
; %bb.1:
	v_lshl_add_u32 v4, v33, 4, v31
	v_lshrrev_b32_e32 v5, 3, v4
	s_load_dwordx4 s[8:11], s[4:5], 0x40
	v_mov_b32_e32 v1, s47
	v_add_co_u32_e32 v0, vcc, s46, v5
	s_add_u32 s4, s20, s48
	v_and_b32_e32 v32, 7, v31
	v_addc_co_u32_e32 v1, vcc, 0, v1, vcc
	s_addc_u32 s5, s21, s49
	v_cmp_gt_i64_e32 vcc, s[14:15], v[0:1]
	v_lshlrev_b32_e32 v0, 3, v32
	s_load_dwordx2 s[20:21], s[4:5], 0x0
	s_add_u32 s4, s26, s48
	v_and_b32_e32 v6, 31, v4
	v_lshl_or_b32 v0, v5, 6, v0
	s_addc_u32 s5, s27, s49
	v_mov_b32_e32 v3, s43
	v_or_b32_e32 v2, s42, v6
	v_add_u32_e32 v80, 0x800, v0
	v_mov_b32_e32 v0, 0x800
	s_load_dwordx2 s[26:27], s[4:5], 0x0
	v_lshrrev_b32_e32 v30, 5, v4
	v_cmp_gt_i64_e64 s[4:5], s[12:13], v[2:3]
	v_lshlrev_b32_e32 v2, 3, v6
	v_lshl_add_u32 v82, v33, 6, v0
	s_waitcnt lgkmcnt(0)
	v_mad_u64_u32 v[0:1], s[48:49], s8, v32, 0
	v_lshl_or_b32 v79, v30, 8, v2
	v_mov_b32_e32 v2, v1
	v_mad_u64_u32 v[2:3], s[48:49], s9, v32, v[2:3]
	s_lshl_b64 s[6:7], s[6:7], 8
	s_lshl_b64 s[10:11], s[10:11], 3
	v_mov_b32_e32 v1, v2
	s_add_u32 s6, s10, s6
	v_lshlrev_b64 v[0:1], 3, v[0:1]
	s_addc_u32 s7, s11, s7
	v_mov_b32_e32 v2, s7
	v_add_co_u32_e64 v0, s[6:7], s6, v0
	v_addc_co_u32_e64 v1, s[6:7], v2, v1, s[6:7]
	v_and_b32_e32 v2, 0x7ff8, v4
	v_add_co_u32_e64 v0, s[6:7], v0, v2
	v_addc_co_u32_e64 v1, s[6:7], 0, v1, s[6:7]
	v_mov_b32_e32 v2, s27
	v_add_co_u32_e64 v0, s[6:7], s26, v0
	v_addc_co_u32_e64 v1, s[6:7], v1, v2, s[6:7]
	v_add_co_u32_e64 v34, s[6:7], 4, v0
	v_addc_co_u32_e64 v35, s[6:7], 0, v1, s[6:7]
	v_mov_b32_e32 v0, s43
	v_add_co_u32_e64 v1, s[6:7], s42, v6
	v_addc_co_u32_e64 v0, s[6:7], 0, v0, s[6:7]
	v_mul_lo_u32 v2, s23, v1
	v_mul_lo_u32 v3, s22, v0
	v_mad_u64_u32 v[0:1], s[6:7], s22, v1, 0
	v_add3_u32 v1, v1, v3, v2
	v_lshlrev_b64 v[0:1], 3, v[0:1]
	s_lshl_b64 s[6:7], s[24:25], 3
	v_mov_b32_e32 v2, s7
	v_add_co_u32_e64 v0, s[6:7], s6, v0
	v_addc_co_u32_e64 v1, s[6:7], v1, v2, s[6:7]
	v_lshlrev_b32_e32 v2, 3, v30
	v_add_co_u32_e64 v0, s[6:7], v0, v2
	v_addc_co_u32_e64 v1, s[6:7], 0, v1, s[6:7]
	v_mov_b32_e32 v2, s21
	v_add_co_u32_e64 v36, s[6:7], s20, v0
	v_mov_b32_e32 v28, 0
	v_addc_co_u32_e64 v37, s[6:7], v2, v1, s[6:7]
	v_lshlrev_b32_e32 v81, 3, v31
	s_lshl_b64 s[8:9], s[8:9], 6
	s_mov_b64 s[6:7], 0
	s_xor_b64 s[10:11], vcc, -1
	v_mov_b32_e32 v29, v28
	s_branch .LBB260_3
.LBB260_2:                              ;   in Loop: Header=BB260_3 Depth=1
	s_or_b64 exec, exec, s[20:21]
	ds_write_b32 v80, v0 offset:4
	s_waitcnt lgkmcnt(0)
	s_barrier
	ds_read2_b64 v[12:15], v81 offset0:32 offset1:48
	ds_read2_b64 v[16:19], v81 offset0:64 offset1:80
	ds_read2_b64 v[8:11], v81 offset0:96 offset1:112
	ds_read_b128 v[4:7], v82
	ds_read_b128 v[0:3], v82 offset:16
	ds_read_b128 v[84:87], v82 offset:1024
	;; [unrolled: 1-line block ×3, first 2 shown]
	s_waitcnt lgkmcnt(6)
	v_mov_b32_e32 v49, v12
	s_waitcnt lgkmcnt(3)
	v_pk_mul_f32 v[20:21], v[6:7], v[12:13] op_sel:[0,1]
	v_pk_fma_f32 v[40:41], v[6:7], v[12:13], v[20:21] op_sel:[0,0,1] op_sel_hi:[1,0,0] neg_lo:[0,0,1] neg_hi:[0,0,1]
	v_pk_fma_f32 v[42:43], v[6:7], v[12:13], v[20:21] op_sel:[0,0,1] op_sel_hi:[1,0,0]
	v_mul_f32_e32 v12, v6, v14
	v_mov_b32_e32 v53, v13
	v_mov_b32_e32 v54, v13
	v_fma_f32 v83, -v7, v15, v12
	s_waitcnt lgkmcnt(2)
	v_pk_mul_f32 v[12:13], v[0:1], v[16:17] op_sel:[0,1]
	v_pk_fma_f32 v[56:57], v[0:1], v[16:17], v[12:13] op_sel:[0,0,1] op_sel_hi:[1,0,0] neg_lo:[0,0,1] neg_hi:[0,0,1]
	v_pk_fma_f32 v[58:59], v[0:1], v[16:17], v[12:13] op_sel:[0,0,1] op_sel_hi:[1,0,0]
	v_mul_f32_e32 v12, v0, v18
	v_fma_f32 v58, -v1, v19, v12
	v_pk_mul_f32 v[12:13], v[2:3], v[8:9] op_sel:[0,1]
	v_mov_b32_e32 v39, v8
	v_pk_fma_f32 v[64:65], v[2:3], v[8:9], v[12:13] op_sel:[0,0,1] op_sel_hi:[1,0,0] neg_lo:[0,0,1] neg_hi:[0,0,1]
	v_pk_fma_f32 v[66:67], v[2:3], v[8:9], v[12:13] op_sel:[0,0,1] op_sel_hi:[1,0,0]
	v_mul_f32_e32 v8, v2, v10
	s_waitcnt lgkmcnt(0)
	v_mul_f32_e32 v124, v27, v10
	v_mov_b32_e32 v38, v10
	v_mov_b32_e32 v96, v11
	;; [unrolled: 1-line block ×5, first 2 shown]
	ds_read2_b64 v[70:73], v81 offset0:128 offset1:144
	v_fma_f32 v66, -v3, v11, v8
	v_fmac_f32_e32 v124, v26, v11
	ds_read_b128 v[8:11], v82 offset:32
	ds_read_b128 v[20:23], v82 offset:1056
	v_mul_f32_e32 v123, v25, v18
	ds_read2_b64 v[88:91], v81 offset0:160 offset1:176
	v_mov_b32_e32 v44, v18
	v_mov_b32_e32 v45, v16
	;; [unrolled: 1-line block ×6, first 2 shown]
	v_fmac_f32_e32 v123, v24, v19
	ds_read_b128 v[16:19], v82 offset:48
	ds_read2_b64 v[92:95], v81 offset0:192 offset1:208
	s_waitcnt lgkmcnt(4)
	v_pk_mul_f32 v[12:13], v[8:9], v[70:71] op_sel:[0,1]
	v_mul_f32_e32 v122, v87, v14
	v_pk_fma_f32 v[100:101], v[8:9], v[70:71], v[12:13] op_sel:[0,0,1] op_sel_hi:[1,0,0] neg_lo:[0,0,1] neg_hi:[0,0,1]
	v_pk_fma_f32 v[102:103], v[8:9], v[70:71], v[12:13] op_sel:[0,0,1] op_sel_hi:[1,0,0]
	v_mul_f32_e32 v12, v8, v72
	v_mov_b32_e32 v48, v14
	v_mov_b32_e32 v52, v15
	;; [unrolled: 1-line block ×3, first 2 shown]
	v_fmac_f32_e32 v122, v86, v15
	v_fma_f32 v102, -v9, v73, v12
	ds_read_b128 v[12:15], v82 offset:1072
	s_waitcnt lgkmcnt(4)
	v_mul_f32_e32 v125, v21, v72
	v_mov_b32_e32 v60, v72
	v_mov_b32_e32 v68, v73
	;; [unrolled: 1-line block ×3, first 2 shown]
	v_fmac_f32_e32 v125, v20, v73
	s_waitcnt lgkmcnt(3)
	v_pk_mul_f32 v[72:73], v[10:11], v[88:89] op_sel:[0,1]
	v_mov_b32_e32 v69, v71
	v_mov_b32_e32 v62, v71
	;; [unrolled: 1-line block ×5, first 2 shown]
	v_pk_fma_f32 v[106:107], v[10:11], v[88:89], v[72:73] op_sel:[0,0,1] op_sel_hi:[1,0,0] neg_lo:[0,0,1] neg_hi:[0,0,1]
	v_pk_fma_f32 v[108:109], v[10:11], v[88:89], v[72:73] op_sel:[0,0,1] op_sel_hi:[1,0,0]
	v_mul_f32_e32 v41, v10, v90
	v_mul_f32_e32 v126, v23, v90
	s_waitcnt lgkmcnt(1)
	v_pk_mul_f32 v[88:89], v[16:17], v[92:93] op_sel:[0,1]
	v_mov_b32_e32 v61, v70
	v_mov_b32_e32 v70, v90
	;; [unrolled: 1-line block ×4, first 2 shown]
	v_fma_f32 v108, -v11, v91, v41
	v_fmac_f32_e32 v126, v22, v91
	v_mov_b32_e32 v73, v92
	v_mov_b32_e32 v77, v93
	;; [unrolled: 1-line block ×3, first 2 shown]
	v_pk_fma_f32 v[112:113], v[16:17], v[92:93], v[88:89] op_sel:[0,0,1] op_sel_hi:[1,0,0] neg_lo:[0,0,1] neg_hi:[0,0,1]
	v_pk_fma_f32 v[92:93], v[16:17], v[92:93], v[88:89] op_sel:[0,0,1] op_sel_hi:[1,0,0]
	ds_read2_b64 v[88:91], v81 offset1:16
	v_mul_f32_e32 v41, v16, v94
	s_waitcnt lgkmcnt(1)
	v_mul_f32_e32 v127, v13, v94
	v_mov_b32_e32 v72, v94
	v_mov_b32_e32 v76, v95
	;; [unrolled: 1-line block ×3, first 2 shown]
	v_fma_f32 v92, -v17, v95, v41
	v_fmac_f32_e32 v127, v12, v95
	s_waitcnt lgkmcnt(0)
	v_mov_b32_e32 v94, v91
	v_mov_b32_e32 v95, v89
	;; [unrolled: 1-line block ×4, first 2 shown]
	v_pk_mul_f32 v[118:119], v[4:5], v[88:89] op_sel:[0,1]
	v_pk_mul_f32 v[94:95], v[114:115], v[94:95]
	v_mov_b32_e32 v115, v88
	v_mov_b32_e32 v116, v89
	v_pk_fma_f32 v[120:121], v[4:5], v[88:89], v[118:119] op_sel:[0,0,1] op_sel_hi:[1,0,0] neg_lo:[0,0,1] neg_hi:[0,0,1]
	v_pk_fma_f32 v[88:89], v[4:5], v[88:89], v[118:119] op_sel:[0,0,1] op_sel_hi:[1,0,0]
	v_mul_f32_e32 v4, v4, v90
	v_fma_f32 v88, -v5, v91, v4
	v_mul_f32_e32 v118, v85, v90
	v_mov_b32_e32 v4, v5
	v_mov_b32_e32 v114, v90
	;; [unrolled: 1-line block ×3, first 2 shown]
	v_fmac_f32_e32 v118, v84, v91
	v_pk_fma_f32 v[90:91], v[4:5], v[90:91], v[94:95]
	v_mov_b32_e32 v5, v84
	v_pk_fma_f32 v[4:5], v[4:5], v[114:115], v[94:95] neg_lo:[0,0,1] neg_hi:[0,0,1]
	v_pk_mul_f32 v[94:95], v[84:85], v[114:115]
	v_pk_fma_f32 v[114:115], v[84:85], v[116:117], v[94:95] op_sel:[0,0,1] op_sel_hi:[1,1,0]
	v_pk_fma_f32 v[84:85], v[84:85], v[116:117], v[94:95] op_sel:[0,0,1] op_sel_hi:[1,1,0] neg_lo:[1,0,0] neg_hi:[1,0,0]
	v_pk_mul_f32 v[94:95], v[86:87], v[48:49]
	v_pk_fma_f32 v[116:117], v[86:87], v[54:55], v[94:95] op_sel:[0,0,1] op_sel_hi:[1,1,0]
	v_pk_fma_f32 v[54:55], v[86:87], v[54:55], v[94:95] op_sel:[0,0,1] op_sel_hi:[1,1,0] neg_lo:[1,0,0] neg_hi:[1,0,0]
	v_mov_b32_e32 v95, v86
	v_mov_b32_e32 v86, v6
	;; [unrolled: 1-line block ×4, first 2 shown]
	v_pk_mul_f32 v[6:7], v[86:87], v[52:53]
	v_pk_fma_f32 v[52:53], v[4:5], v[48:49], v[6:7]
	v_pk_fma_f32 v[6:7], v[94:95], v[48:49], v[6:7] neg_lo:[0,0,1] neg_hi:[0,0,1]
	buffer_load_dword v94, off, s[0:3], 0 offset:12
	buffer_load_dword v95, off, s[0:3], 0 offset:16
	buffer_load_dword v6, off, s[0:3], 0
	v_mov_b32_e32 v48, v0
	v_mov_b32_e32 v49, v25
	v_pk_mul_f32 v[48:49], v[48:49], v[50:51]
	v_mov_b32_e32 v0, v1
	v_mov_b32_e32 v50, v1
	;; [unrolled: 1-line block ×3, first 2 shown]
	v_pk_fma_f32 v[86:87], v[0:1], v[44:45], v[48:49]
	v_pk_mul_f32 v[0:1], v[24:25], v[44:45]
	v_pk_fma_f32 v[48:49], v[50:51], v[44:45], v[48:49] neg_lo:[0,0,1] neg_hi:[0,0,1]
	v_pk_fma_f32 v[44:45], v[24:25], v[46:47], v[0:1] op_sel:[0,0,1] op_sel_hi:[1,1,0]
	v_pk_fma_f32 v[24:25], v[24:25], v[46:47], v[0:1] op_sel:[0,0,1] op_sel_hi:[1,1,0] neg_lo:[1,0,0] neg_hi:[1,0,0]
	v_pk_mul_f32 v[0:1], v[26:27], v[38:39]
	v_pk_fma_f32 v[46:47], v[26:27], v[98:99], v[0:1] op_sel:[0,0,1] op_sel_hi:[1,1,0]
	v_pk_fma_f32 v[50:51], v[26:27], v[98:99], v[0:1] op_sel:[0,0,1] op_sel_hi:[1,1,0] neg_lo:[1,0,0] neg_hi:[1,0,0]
	v_mov_b32_e32 v1, v27
	v_mov_b32_e32 v0, v2
	v_mov_b32_e32 v27, v26
	v_mov_b32_e32 v26, v3
	v_pk_mul_f32 v[0:1], v[0:1], v[96:97]
	v_mov_b32_e32 v2, v3
	v_pk_fma_f32 v[26:27], v[26:27], v[38:39], v[0:1] neg_lo:[0,0,1] neg_hi:[0,0,1]
	v_pk_fma_f32 v[96:97], v[2:3], v[38:39], v[0:1]
	buffer_load_dword v26, off, s[0:3], 0 offset:20
	buffer_load_dword v38, off, s[0:3], 0 offset:4
	;; [unrolled: 1-line block ×3, first 2 shown]
	v_mov_b32_e32 v121, v89
	v_pk_add_f32 v[0:1], v[28:29], v[120:121]
	v_mov_b32_e32 v41, v43
	v_pk_add_f32 v[0:1], v[0:1], v[40:41]
	;; [unrolled: 2-line block ×5, first 2 shown]
	ds_read2_b64 v[0:3], v81 offset0:224 offset1:240
	v_mov_b32_e32 v115, v85
	v_mov_b32_e32 v117, v55
	;; [unrolled: 1-line block ×4, first 2 shown]
	s_waitcnt lgkmcnt(0)
	v_pk_mul_f32 v[40:41], v[18:19], v[0:1] op_sel:[0,1]
	v_pk_fma_f32 v[42:43], v[18:19], v[0:1], v[40:41] op_sel:[0,0,1] op_sel_hi:[1,0,0] neg_lo:[0,0,1] neg_hi:[0,0,1]
	v_pk_fma_f32 v[40:41], v[18:19], v[0:1], v[40:41] op_sel:[0,0,1] op_sel_hi:[1,0,0]
	v_mov_b32_e32 v43, v41
	v_pk_add_f32 v[28:29], v[28:29], v[106:107]
	v_mov_b32_e32 v113, v93
	v_pk_add_f32 v[28:29], v[28:29], v[112:113]
	;; [unrolled: 2-line block ×3, first 2 shown]
	v_mov_b32_e32 v42, v9
	v_mov_b32_e32 v91, v5
	;; [unrolled: 1-line block ×7, first 2 shown]
	v_add_co_u32_e32 v34, vcc, s8, v34
	s_add_u32 s6, s6, 8
	s_addc_u32 s7, s7, 0
	s_waitcnt vmcnt(4)
	v_pk_add_f32 v[40:41], v[94:95], v[114:115]
	v_pk_add_f32 v[40:41], v[40:41], v[116:117]
	;; [unrolled: 1-line block ×3, first 2 shown]
	v_mov_b32_e32 v40, v8
	v_mov_b32_e32 v41, v21
	v_pk_mul_f32 v[40:41], v[40:41], v[68:69]
	v_pk_fma_f32 v[8:9], v[4:5], v[60:61], v[40:41]
	s_waitcnt vmcnt(3)
	v_add_f32_e32 v4, v6, v88
	v_add_f32_e32 v4, v4, v83
	;; [unrolled: 1-line block ×6, first 2 shown]
	v_mul_f32_e32 v5, v18, v2
	v_add_f32_e32 v4, v4, v92
	v_fma_f32 v5, -v19, v3, v5
	v_pk_fma_f32 v[40:41], v[42:43], v[60:61], v[40:41] neg_lo:[0,0,1] neg_hi:[0,0,1]
	v_pk_mul_f32 v[42:43], v[20:21], v[60:61]
	v_add_f32_e32 v4, v4, v5
	v_pk_fma_f32 v[44:45], v[20:21], v[62:63], v[42:43] op_sel:[0,0,1] op_sel_hi:[1,1,0]
	v_pk_fma_f32 v[20:21], v[20:21], v[62:63], v[42:43] op_sel:[0,0,1] op_sel_hi:[1,1,0] neg_lo:[1,0,0] neg_hi:[1,0,0]
	buffer_store_dword v4, off, s[0:3], 0
	s_waitcnt vmcnt(3)
	v_add_f32_e32 v4, v26, v118
	v_pk_add_f32 v[24:25], v[24:25], v[46:47]
	v_mov_b32_e32 v45, v21
	v_add_f32_e32 v4, v4, v122
	v_pk_add_f32 v[20:21], v[24:25], v[44:45]
	v_pk_mul_f32 v[24:25], v[22:23], v[70:71]
	v_add_f32_e32 v4, v4, v123
	v_pk_fma_f32 v[42:43], v[22:23], v[104:105], v[24:25] op_sel:[0,0,1] op_sel_hi:[1,1,0]
	v_pk_fma_f32 v[24:25], v[22:23], v[104:105], v[24:25] op_sel:[0,0,1] op_sel_hi:[1,1,0] neg_lo:[1,0,0] neg_hi:[1,0,0]
	v_add_f32_e32 v4, v4, v124
	v_mov_b32_e32 v43, v25
	v_pk_mul_f32 v[24:25], v[12:13], v[72:73]
	v_add_f32_e32 v4, v4, v125
	v_pk_add_f32 v[20:21], v[20:21], v[42:43]
	v_pk_fma_f32 v[42:43], v[12:13], v[110:111], v[24:25] op_sel:[0,0,1] op_sel_hi:[1,1,0]
	v_pk_fma_f32 v[24:25], v[12:13], v[110:111], v[24:25] op_sel:[0,0,1] op_sel_hi:[1,1,0] neg_lo:[1,0,0] neg_hi:[1,0,0]
	v_add_f32_e32 v4, v4, v126
	v_mov_b32_e32 v43, v25
	v_add_f32_e32 v25, v4, v127
	s_waitcnt vmcnt(1)
	v_pk_add_f32 v[4:5], v[38:39], v[90:91]
	v_pk_add_f32 v[4:5], v[4:5], v[52:53]
	;; [unrolled: 1-line block ×4, first 2 shown]
	v_mov_b32_e32 v9, v41
	v_pk_add_f32 v[4:5], v[4:5], v[8:9]
	v_mov_b32_e32 v8, v10
	v_mov_b32_e32 v9, v23
	;; [unrolled: 1-line block ×3, first 2 shown]
	v_pk_mul_f32 v[8:9], v[8:9], v[74:75]
	v_mov_b32_e32 v10, v11
	v_mov_b32_e32 v11, v22
	v_pk_fma_f32 v[6:7], v[6:7], v[70:71], v[8:9]
	v_pk_fma_f32 v[8:9], v[10:11], v[70:71], v[8:9] neg_lo:[0,0,1] neg_hi:[0,0,1]
	v_mov_b32_e32 v7, v9
	v_pk_add_f32 v[4:5], v[4:5], v[6:7]
	v_mov_b32_e32 v6, v16
	v_mov_b32_e32 v7, v13
	;; [unrolled: 1-line block ×3, first 2 shown]
	v_pk_mul_f32 v[6:7], v[6:7], v[76:77]
	v_mov_b32_e32 v8, v17
	v_mov_b32_e32 v9, v12
	v_pk_fma_f32 v[10:11], v[24:25], v[72:73], v[6:7]
	v_pk_fma_f32 v[6:7], v[8:9], v[72:73], v[6:7] neg_lo:[0,0,1] neg_hi:[0,0,1]
	v_mov_b32_e32 v38, v3
	v_mov_b32_e32 v39, v1
	;; [unrolled: 1-line block ×9, first 2 shown]
	v_pk_mul_f32 v[8:9], v[18:19], v[38:39]
	v_pk_add_f32 v[20:21], v[20:21], v[42:43]
	v_mov_b32_e32 v42, v1
	v_pk_fma_f32 v[0:1], v[0:1], v[44:45], v[8:9]
	v_pk_fma_f32 v[6:7], v[6:7], v[44:45], v[8:9] neg_lo:[0,0,1] neg_hi:[0,0,1]
	v_pk_add_f32 v[4:5], v[4:5], v[10:11]
	v_mov_b32_e32 v1, v7
	v_pk_add_f32 v[0:1], v[4:5], v[0:1]
	v_mov_b32_e32 v43, v3
	buffer_store_dword v1, off, s[0:3], 0 offset:8
	buffer_store_dword v0, off, s[0:3], 0 offset:4
	v_pk_mul_f32 v[0:1], v[14:15], v[44:45]
	v_pk_fma_f32 v[4:5], v[14:15], v[42:43], v[0:1] op_sel:[0,0,1] op_sel_hi:[1,1,0]
	v_pk_fma_f32 v[0:1], v[14:15], v[42:43], v[0:1] op_sel:[0,0,1] op_sel_hi:[1,1,0] neg_lo:[1,0,0] neg_hi:[1,0,0]
	v_mov_b32_e32 v5, v1
	v_mul_f32_e32 v2, v15, v2
	v_fmac_f32_e32 v2, v14, v3
	v_pk_add_f32 v[0:1], v[20:21], v[4:5]
	v_add_f32_e32 v2, v25, v2
	buffer_store_dword v0, off, s[0:3], 0 offset:12
	buffer_store_dword v1, off, s[0:3], 0 offset:16
	;; [unrolled: 1-line block ×3, first 2 shown]
	v_mov_b32_e32 v0, s9
	v_addc_co_u32_e32 v35, vcc, v35, v0, vcc
	v_add_co_u32_e32 v36, vcc, 64, v36
	v_addc_co_u32_e32 v37, vcc, 0, v37, vcc
	v_pk_mov_b32 v[0:1], s[16:17], s[16:17] op_sel:[0,1]
	v_cmp_lt_i64_e32 vcc, s[6:7], v[0:1]
	s_barrier
	s_cbranch_vccz .LBB260_10
.LBB260_3:                              ; =>This Inner Loop Header: Depth=1
	v_mov_b32_e32 v1, s7
	v_add_co_u32_e32 v0, vcc, s6, v30
	v_addc_co_u32_e32 v1, vcc, 0, v1, vcc
	v_cmp_gt_i64_e32 vcc, s[16:17], v[0:1]
	s_and_b64 s[22:23], s[4:5], vcc
	v_mov_b32_e32 v0, 0
	v_mov_b32_e32 v1, 0
	s_and_saveexec_b64 s[20:21], s[22:23]
	s_cbranch_execz .LBB260_5
; %bb.4:                                ;   in Loop: Header=BB260_3 Depth=1
	global_load_dwordx2 v[0:1], v[36:37], off
.LBB260_5:                              ;   in Loop: Header=BB260_3 Depth=1
	s_or_b64 exec, exec, s[20:21]
	s_waitcnt vmcnt(0)
	ds_write_b64 v79, v[0:1]
	v_mov_b32_e32 v1, s7
	v_add_co_u32_e32 v0, vcc, s6, v32
	v_addc_co_u32_e32 v1, vcc, 0, v1, vcc
	v_cmp_le_i64_e32 vcc, s[16:17], v[0:1]
	s_or_b64 s[20:21], vcc, s[10:11]
                                        ; implicit-def: $sgpr22
	s_and_saveexec_b64 s[24:25], s[20:21]
	s_xor_b64 s[20:21], exec, s[24:25]
	s_cbranch_execz .LBB260_7
; %bb.6:                                ;   in Loop: Header=BB260_3 Depth=1
	ds_write_b32 v80, v78
	s_mov_b32 s22, 0
.LBB260_7:                              ;   in Loop: Header=BB260_3 Depth=1
	s_or_saveexec_b64 s[20:21], s[20:21]
	v_mov_b32_e32 v0, s22
	s_xor_b64 exec, exec, s[20:21]
	s_cbranch_execz .LBB260_2
; %bb.8:                                ;   in Loop: Header=BB260_3 Depth=1
	global_load_dwordx2 v[2:3], v[34:35], off offset:-4
	s_waitcnt vmcnt(0)
	v_xor_b32_e32 v0, 0x80000000, v3
	ds_write_b32 v80, v2
	s_branch .LBB260_2
.LBB260_9:
	v_mov_b32_e32 v29, 0
	v_mov_b32_e32 v28, v78
.LBB260_10:
	s_lshl_b64 s[4:5], s[30:31], 3
	s_waitcnt lgkmcnt(0)
	s_add_u32 s20, s44, s4
	s_addc_u32 s21, s45, s5
	v_mov_b32_e32 v1, s47
	v_add_co_u32_e32 v0, vcc, s46, v33
	s_or_b32 s4, s34, s35
	v_addc_co_u32_e32 v1, vcc, 0, v1, vcc
	s_bitset0_b32 s4, 31
	s_cmp_lg_u32 s4, 0
	v_cmp_gt_i64_e64 s[4:5], s[14:15], v[0:1]
	s_mov_b64 s[6:7], -1
	s_cbranch_scc1 .LBB260_22
; %bb.11:
	s_and_saveexec_b64 s[10:11], s[4:5]
	s_cbranch_execz .LBB260_21
; %bb.12:
	v_mov_b32_e32 v2, s43
	v_add_co_u32_e32 v4, vcc, s42, v31
	v_addc_co_u32_e32 v5, vcc, 0, v2, vcc
	v_mul_lo_u32 v6, v1, s28
	v_mul_lo_u32 v7, v0, s29
	v_mad_u64_u32 v[2:3], s[6:7], v0, s28, 0
	v_add3_u32 v3, v3, v7, v6
	v_lshlrev_b64 v[2:3], 3, v[2:3]
	v_mov_b32_e32 v7, s21
	v_add_co_u32_e64 v6, s[6:7], s20, v2
	v_cmp_gt_i64_e32 vcc, s[12:13], v[4:5]
	v_addc_co_u32_e64 v7, s[6:7], v7, v3, s[6:7]
	v_lshlrev_b64 v[2:3], 3, v[4:5]
	s_and_saveexec_b64 s[8:9], vcc
	s_cbranch_execz .LBB260_14
; %bb.13:
	v_mul_f32_e32 v8, s19, v29
	v_mul_f32_e32 v9, s18, v29
	v_add_co_u32_e64 v10, s[6:7], v6, v2
	v_fma_f32 v8, v28, s18, -v8
	v_fmac_f32_e32 v9, s19, v28
	v_addc_co_u32_e64 v11, s[6:7], v7, v3, s[6:7]
	global_store_dwordx2 v[10:11], v[8:9], off
.LBB260_14:
	s_or_b64 exec, exec, s[8:9]
	v_add_co_u32_e64 v4, s[6:7], 16, v4
	v_addc_co_u32_e64 v5, s[6:7], 0, v5, s[6:7]
	v_cmp_gt_i64_e64 s[6:7], s[12:13], v[4:5]
	s_and_saveexec_b64 s[16:17], s[6:7]
	s_cbranch_execz .LBB260_16
; %bb.15:
	buffer_load_dword v4, off, s[0:3], 0 offset:4
	buffer_load_dword v8, off, s[0:3], 0
	s_waitcnt vmcnt(1)
	v_mul_f32_e32 v9, s19, v4
	v_mul_f32_e32 v5, s18, v4
	s_waitcnt vmcnt(0)
	v_fma_f32 v4, v8, s18, -v9
	v_fmac_f32_e32 v5, s19, v8
	v_add_co_u32_e64 v8, s[8:9], v6, v2
	v_addc_co_u32_e64 v9, s[8:9], v7, v3, s[8:9]
	global_store_dwordx2 v[8:9], v[4:5], off offset:128
.LBB260_16:
	s_or_b64 exec, exec, s[16:17]
	v_add_co_u32_e64 v4, s[8:9], 16, v0
	v_addc_co_u32_e64 v5, s[8:9], 0, v1, s[8:9]
	v_cmp_gt_i64_e64 s[8:9], s[14:15], v[4:5]
	s_and_b64 exec, exec, s[8:9]
	s_cbranch_execz .LBB260_21
; %bb.17:
	buffer_load_dword v4, off, s[0:3], 0 offset:16
	buffer_load_dword v5, off, s[0:3], 0 offset:20
	s_lshl_b64 s[8:9], s[28:29], 7
	v_mov_b32_e32 v8, s9
	v_add_co_u32_e64 v6, s[8:9], s8, v6
	v_addc_co_u32_e64 v7, s[8:9], v7, v8, s[8:9]
	v_add_co_u32_e64 v2, s[8:9], v6, v2
	v_addc_co_u32_e64 v3, s[8:9], v7, v3, s[8:9]
	s_and_saveexec_b64 s[8:9], vcc
	s_cbranch_execz .LBB260_19
; %bb.18:
	buffer_load_dword v6, off, s[0:3], 0 offset:12
	buffer_load_dword v8, off, s[0:3], 0 offset:8
	s_waitcnt vmcnt(1)
	v_mul_f32_e32 v9, s19, v6
	v_mul_f32_e32 v7, s18, v6
	s_waitcnt vmcnt(0)
	v_fma_f32 v6, v8, s18, -v9
	v_fmac_f32_e32 v7, s19, v8
	global_store_dwordx2 v[2:3], v[6:7], off
.LBB260_19:
	s_or_b64 exec, exec, s[8:9]
	s_and_b64 exec, exec, s[6:7]
	s_cbranch_execz .LBB260_21
; %bb.20:
	s_waitcnt vmcnt(0)
	v_mul_f32_e32 v6, s19, v5
	v_mul_f32_e32 v7, s18, v5
	v_fma_f32 v6, v4, s18, -v6
	v_fmac_f32_e32 v7, s19, v4
	global_store_dwordx2 v[2:3], v[6:7], off offset:128
.LBB260_21:
	s_or_b64 exec, exec, s[10:11]
	s_mov_b64 s[6:7], 0
.LBB260_22:
	s_andn2_b64 vcc, exec, s[6:7]
	s_cbranch_vccnz .LBB260_33
; %bb.23:
	s_and_saveexec_b64 s[6:7], s[4:5]
	s_cbranch_execz .LBB260_33
; %bb.24:
	s_lshl_b64 s[4:5], s[40:41], 3
	s_add_u32 s6, s36, s4
	v_mov_b32_e32 v2, s43
	s_waitcnt vmcnt(1)
	v_add_co_u32_e32 v4, vcc, s42, v31
	s_addc_u32 s7, s37, s5
	s_waitcnt vmcnt(0)
	v_addc_co_u32_e32 v5, vcc, 0, v2, vcc
	v_mul_lo_u32 v6, v1, s38
	v_mul_lo_u32 v7, v0, s39
	v_mad_u64_u32 v[2:3], s[4:5], v0, s38, 0
	v_add3_u32 v3, v3, v7, v6
	v_mul_lo_u32 v6, v1, s28
	v_mul_lo_u32 v7, v0, s29
	v_mad_u64_u32 v[8:9], s[4:5], v0, s28, 0
	v_lshlrev_b64 v[2:3], 3, v[2:3]
	v_add3_u32 v9, v9, v7, v6
	v_mov_b32_e32 v7, s7
	v_add_co_u32_e64 v6, s[4:5], s6, v2
	v_addc_co_u32_e64 v7, s[4:5], v7, v3, s[4:5]
	v_lshlrev_b64 v[2:3], 3, v[8:9]
	v_mov_b32_e32 v9, s21
	v_add_co_u32_e64 v8, s[4:5], s20, v2
	v_cmp_gt_i64_e32 vcc, s[12:13], v[4:5]
	v_addc_co_u32_e64 v9, s[4:5], v9, v3, s[4:5]
	v_lshlrev_b64 v[2:3], 3, v[4:5]
	s_and_saveexec_b64 s[6:7], vcc
	s_cbranch_execz .LBB260_26
; %bb.25:
	v_add_co_u32_e64 v10, s[4:5], v6, v2
	v_addc_co_u32_e64 v11, s[4:5], v7, v3, s[4:5]
	global_load_dwordx2 v[10:11], v[10:11], off
	v_mul_f32_e32 v12, s19, v29
	v_mul_f32_e32 v13, s18, v29
	v_fma_f32 v12, v28, s18, -v12
	v_fmac_f32_e32 v13, s19, v28
	s_waitcnt vmcnt(0)
	v_mul_f32_e32 v14, s35, v11
	v_mul_f32_e32 v11, s34, v11
	v_fma_f32 v14, v10, s34, -v14
	v_fmac_f32_e32 v11, s35, v10
	v_add_f32_e32 v10, v12, v14
	v_add_co_u32_e64 v12, s[4:5], v8, v2
	v_add_f32_e32 v11, v13, v11
	v_addc_co_u32_e64 v13, s[4:5], v9, v3, s[4:5]
	global_store_dwordx2 v[12:13], v[10:11], off
.LBB260_26:
	s_or_b64 exec, exec, s[6:7]
	v_add_co_u32_e64 v4, s[4:5], 16, v4
	v_addc_co_u32_e64 v5, s[4:5], 0, v5, s[4:5]
	v_cmp_gt_i64_e64 s[4:5], s[12:13], v[4:5]
	s_and_saveexec_b64 s[8:9], s[4:5]
	s_cbranch_execz .LBB260_28
; %bb.27:
	v_add_co_u32_e64 v4, s[6:7], v6, v2
	buffer_load_dword v10, off, s[0:3], 0
	buffer_load_dword v11, off, s[0:3], 0 offset:4
	v_addc_co_u32_e64 v5, s[6:7], v7, v3, s[6:7]
	global_load_dwordx2 v[4:5], v[4:5], off offset:128
	s_waitcnt vmcnt(1)
	v_mul_f32_e32 v12, s19, v11
	v_mul_f32_e32 v11, s18, v11
	v_fma_f32 v12, v10, s18, -v12
	v_fmac_f32_e32 v11, s19, v10
	s_waitcnt vmcnt(0)
	v_mul_f32_e32 v10, s35, v5
	v_mul_f32_e32 v5, s34, v5
	v_fma_f32 v10, v4, s34, -v10
	v_fmac_f32_e32 v5, s35, v4
	v_add_f32_e32 v4, v12, v10
	v_add_co_u32_e64 v10, s[6:7], v8, v2
	v_add_f32_e32 v5, v11, v5
	v_addc_co_u32_e64 v11, s[6:7], v9, v3, s[6:7]
	global_store_dwordx2 v[10:11], v[4:5], off offset:128
.LBB260_28:
	s_or_b64 exec, exec, s[8:9]
	v_add_co_u32_e64 v0, s[6:7], 16, v0
	v_addc_co_u32_e64 v1, s[6:7], 0, v1, s[6:7]
	v_cmp_gt_i64_e64 s[6:7], s[14:15], v[0:1]
	s_and_b64 exec, exec, s[6:7]
	s_cbranch_execz .LBB260_33
; %bb.29:
	buffer_load_dword v10, off, s[0:3], 0 offset:16
	buffer_load_dword v11, off, s[0:3], 0 offset:20
	s_lshl_b64 s[6:7], s[38:39], 7
	v_mov_b32_e32 v0, s7
	v_add_co_u32_e64 v1, s[6:7], s6, v6
	v_addc_co_u32_e64 v0, s[6:7], v7, v0, s[6:7]
	s_lshl_b64 s[6:7], s[28:29], 7
	v_mov_b32_e32 v4, s7
	v_add_co_u32_e64 v6, s[6:7], s6, v8
	v_addc_co_u32_e64 v7, s[6:7], v9, v4, s[6:7]
	v_add_co_u32_e64 v4, s[6:7], v1, v2
	v_addc_co_u32_e64 v5, s[6:7], v0, v3, s[6:7]
	;; [unrolled: 2-line block ×3, first 2 shown]
	s_and_saveexec_b64 s[6:7], vcc
	s_cbranch_execz .LBB260_31
; %bb.30:
	buffer_load_dword v6, off, s[0:3], 0 offset:12
	buffer_load_dword v7, off, s[0:3], 0 offset:8
	global_load_dwordx2 v[2:3], v[4:5], off
	s_waitcnt vmcnt(2)
	v_mul_f32_e32 v8, s19, v6
	v_mul_f32_e32 v6, s18, v6
	s_waitcnt vmcnt(0)
	v_mul_f32_e32 v9, s35, v3
	v_mul_f32_e32 v3, s34, v3
	v_fma_f32 v8, v7, s18, -v8
	v_fmac_f32_e32 v6, s19, v7
	v_fma_f32 v7, v2, s34, -v9
	v_fmac_f32_e32 v3, s35, v2
	v_add_f32_e32 v2, v8, v7
	v_add_f32_e32 v3, v6, v3
	global_store_dwordx2 v[0:1], v[2:3], off
.LBB260_31:
	s_or_b64 exec, exec, s[6:7]
	s_and_b64 exec, exec, s[4:5]
	s_cbranch_execz .LBB260_33
; %bb.32:
	global_load_dwordx2 v[2:3], v[4:5], off offset:128
	s_waitcnt vmcnt(1)
	v_mul_f32_e32 v4, s19, v11
	v_mul_f32_e32 v5, s18, v11
	v_fma_f32 v4, v10, s18, -v4
	v_fmac_f32_e32 v5, s19, v10
	s_waitcnt vmcnt(0)
	v_mul_f32_e32 v6, s35, v3
	v_mul_f32_e32 v3, s34, v3
	v_fma_f32 v6, v2, s34, -v6
	v_fmac_f32_e32 v3, s35, v2
	v_add_f32_e32 v2, v4, v6
	v_add_f32_e32 v3, v5, v3
	global_store_dwordx2 v[0:1], v[2:3], off offset:128
.LBB260_33:
	s_endpgm
	.section	.rodata,"a",@progbits
	.p2align	6, 0x0
	.amdhsa_kernel _ZN12_GLOBAL__N_135rocblas_gemm_batched_general_kernelI19rocblas_complex_numIfELi16ELi16ELi32ELi32ELi8ELi32ELi8ELi8ELi32ELc84ELc67EKPKS2_S5_KPS2_EEvlllT_PT11_llSA_llS8_PT12_llPT13_lli
		.amdhsa_group_segment_fixed_size 4096
		.amdhsa_private_segment_fixed_size 32
		.amdhsa_kernarg_size 140
		.amdhsa_user_sgpr_count 8
		.amdhsa_user_sgpr_private_segment_buffer 1
		.amdhsa_user_sgpr_dispatch_ptr 0
		.amdhsa_user_sgpr_queue_ptr 0
		.amdhsa_user_sgpr_kernarg_segment_ptr 1
		.amdhsa_user_sgpr_dispatch_id 0
		.amdhsa_user_sgpr_flat_scratch_init 1
		.amdhsa_user_sgpr_kernarg_preload_length 0
		.amdhsa_user_sgpr_kernarg_preload_offset 0
		.amdhsa_user_sgpr_private_segment_size 0
		.amdhsa_uses_dynamic_stack 0
		.amdhsa_system_sgpr_private_segment_wavefront_offset 1
		.amdhsa_system_sgpr_workgroup_id_x 1
		.amdhsa_system_sgpr_workgroup_id_y 1
		.amdhsa_system_sgpr_workgroup_id_z 1
		.amdhsa_system_sgpr_workgroup_info 0
		.amdhsa_system_vgpr_workitem_id 1
		.amdhsa_next_free_vgpr 128
		.amdhsa_next_free_sgpr 50
		.amdhsa_accum_offset 128
		.amdhsa_reserve_vcc 1
		.amdhsa_reserve_flat_scratch 0
		.amdhsa_float_round_mode_32 0
		.amdhsa_float_round_mode_16_64 0
		.amdhsa_float_denorm_mode_32 3
		.amdhsa_float_denorm_mode_16_64 3
		.amdhsa_dx10_clamp 1
		.amdhsa_ieee_mode 1
		.amdhsa_fp16_overflow 0
		.amdhsa_tg_split 0
		.amdhsa_exception_fp_ieee_invalid_op 0
		.amdhsa_exception_fp_denorm_src 0
		.amdhsa_exception_fp_ieee_div_zero 0
		.amdhsa_exception_fp_ieee_overflow 0
		.amdhsa_exception_fp_ieee_underflow 0
		.amdhsa_exception_fp_ieee_inexact 0
		.amdhsa_exception_int_div_zero 0
	.end_amdhsa_kernel
	.section	.text._ZN12_GLOBAL__N_135rocblas_gemm_batched_general_kernelI19rocblas_complex_numIfELi16ELi16ELi32ELi32ELi8ELi32ELi8ELi8ELi32ELc84ELc67EKPKS2_S5_KPS2_EEvlllT_PT11_llSA_llS8_PT12_llPT13_lli,"axG",@progbits,_ZN12_GLOBAL__N_135rocblas_gemm_batched_general_kernelI19rocblas_complex_numIfELi16ELi16ELi32ELi32ELi8ELi32ELi8ELi8ELi32ELc84ELc67EKPKS2_S5_KPS2_EEvlllT_PT11_llSA_llS8_PT12_llPT13_lli,comdat
.Lfunc_end260:
	.size	_ZN12_GLOBAL__N_135rocblas_gemm_batched_general_kernelI19rocblas_complex_numIfELi16ELi16ELi32ELi32ELi8ELi32ELi8ELi8ELi32ELc84ELc67EKPKS2_S5_KPS2_EEvlllT_PT11_llSA_llS8_PT12_llPT13_lli, .Lfunc_end260-_ZN12_GLOBAL__N_135rocblas_gemm_batched_general_kernelI19rocblas_complex_numIfELi16ELi16ELi32ELi32ELi8ELi32ELi8ELi8ELi32ELc84ELc67EKPKS2_S5_KPS2_EEvlllT_PT11_llSA_llS8_PT12_llPT13_lli
                                        ; -- End function
	.section	.AMDGPU.csdata,"",@progbits
; Kernel info:
; codeLenInByte = 3824
; NumSgprs: 54
; NumVgprs: 128
; NumAgprs: 0
; TotalNumVgprs: 128
; ScratchSize: 32
; MemoryBound: 0
; FloatMode: 240
; IeeeMode: 1
; LDSByteSize: 4096 bytes/workgroup (compile time only)
; SGPRBlocks: 6
; VGPRBlocks: 15
; NumSGPRsForWavesPerEU: 54
; NumVGPRsForWavesPerEU: 128
; AccumOffset: 128
; Occupancy: 4
; WaveLimiterHint : 1
; COMPUTE_PGM_RSRC2:SCRATCH_EN: 1
; COMPUTE_PGM_RSRC2:USER_SGPR: 8
; COMPUTE_PGM_RSRC2:TRAP_HANDLER: 0
; COMPUTE_PGM_RSRC2:TGID_X_EN: 1
; COMPUTE_PGM_RSRC2:TGID_Y_EN: 1
; COMPUTE_PGM_RSRC2:TGID_Z_EN: 1
; COMPUTE_PGM_RSRC2:TIDIG_COMP_CNT: 1
; COMPUTE_PGM_RSRC3_GFX90A:ACCUM_OFFSET: 31
; COMPUTE_PGM_RSRC3_GFX90A:TG_SPLIT: 0
	.section	.text._ZN12_GLOBAL__N_125rocblas_gemm_scale_kernelILi32ELi32E19rocblas_complex_numIdEPKPS2_EEviiT1_T2_llli,"axG",@progbits,_ZN12_GLOBAL__N_125rocblas_gemm_scale_kernelILi32ELi32E19rocblas_complex_numIdEPKPS2_EEviiT1_T2_llli,comdat
	.globl	_ZN12_GLOBAL__N_125rocblas_gemm_scale_kernelILi32ELi32E19rocblas_complex_numIdEPKPS2_EEviiT1_T2_llli ; -- Begin function _ZN12_GLOBAL__N_125rocblas_gemm_scale_kernelILi32ELi32E19rocblas_complex_numIdEPKPS2_EEviiT1_T2_llli
	.p2align	8
	.type	_ZN12_GLOBAL__N_125rocblas_gemm_scale_kernelILi32ELi32E19rocblas_complex_numIdEPKPS2_EEviiT1_T2_llli,@function
_ZN12_GLOBAL__N_125rocblas_gemm_scale_kernelILi32ELi32E19rocblas_complex_numIdEPKPS2_EEviiT1_T2_llli: ; @_ZN12_GLOBAL__N_125rocblas_gemm_scale_kernelILi32ELi32E19rocblas_complex_numIdEPKPS2_EEviiT1_T2_llli
; %bb.0:
	s_load_dwordx2 s[0:1], s[4:5], 0x0
	v_and_b32_e32 v1, 0x3ff, v0
	v_bfe_u32 v0, v0, 10, 10
	v_lshl_add_u32 v4, s6, 5, v1
	v_lshl_add_u32 v0, s7, 5, v0
	s_waitcnt lgkmcnt(0)
	v_cmp_gt_u32_e32 vcc, s0, v4
	v_cmp_gt_u32_e64 s[0:1], s1, v0
	s_and_b64 s[0:1], vcc, s[0:1]
	s_and_saveexec_b64 s[2:3], s[0:1]
	s_cbranch_execz .LBB261_4
; %bb.1:
	s_load_dwordx8 s[12:19], s[4:5], 0x8
	s_load_dwordx2 s[2:3], s[4:5], 0x28
	s_mov_b32 s9, 0
	s_lshl_b64 s[0:1], s[8:9], 3
	v_pk_mov_b32 v[2:3], 0, 0
	s_waitcnt lgkmcnt(0)
	s_add_u32 s0, s16, s0
	s_addc_u32 s1, s17, s1
	s_load_dwordx2 s[0:1], s[0:1], 0x0
	s_lshl_b64 s[8:9], s[18:19], 4
	v_cmp_neq_f64_e64 s[4:5], s[12:13], 0
	v_cmp_neq_f64_e64 s[6:7], s[14:15], 0
	v_mov_b32_e32 v5, 0
	s_waitcnt lgkmcnt(0)
	s_add_u32 s0, s0, s8
	s_addc_u32 s1, s1, s9
	v_mad_u64_u32 v[6:7], s[8:9], v0, s2, 0
	v_mov_b32_e32 v8, v7
	v_mad_u64_u32 v[0:1], s[2:3], v0, s3, v[8:9]
	v_mov_b32_e32 v7, v0
	s_or_b64 s[2:3], s[4:5], s[6:7]
	s_andn2_b64 vcc, exec, s[2:3]
	v_lshlrev_b64 v[6:7], 4, v[6:7]
	v_lshlrev_b64 v[4:5], 4, v[4:5]
	v_pk_mov_b32 v[0:1], v[2:3], v[2:3] op_sel:[0,1]
	s_cbranch_vccnz .LBB261_3
; %bb.2:
	v_mov_b32_e32 v0, s1
	v_add_co_u32_e32 v1, vcc, s0, v6
	v_addc_co_u32_e32 v2, vcc, v0, v7, vcc
	v_add_co_u32_e32 v0, vcc, v1, v4
	v_addc_co_u32_e32 v1, vcc, v2, v5, vcc
	global_load_dwordx4 v[8:11], v[0:1], off
	s_waitcnt vmcnt(0)
	v_mul_f64 v[0:1], s[14:15], v[10:11]
	v_mul_f64 v[2:3], s[12:13], v[10:11]
	v_fma_f64 v[0:1], s[12:13], v[8:9], -v[0:1]
	v_fmac_f64_e32 v[2:3], s[14:15], v[8:9]
.LBB261_3:
	v_mov_b32_e32 v8, s1
	v_add_co_u32_e32 v6, vcc, s0, v6
	v_addc_co_u32_e32 v7, vcc, v8, v7, vcc
	v_add_co_u32_e32 v4, vcc, v6, v4
	v_addc_co_u32_e32 v5, vcc, v7, v5, vcc
	global_store_dwordx4 v[4:5], v[0:3], off
.LBB261_4:
	s_endpgm
	.section	.rodata,"a",@progbits
	.p2align	6, 0x0
	.amdhsa_kernel _ZN12_GLOBAL__N_125rocblas_gemm_scale_kernelILi32ELi32E19rocblas_complex_numIdEPKPS2_EEviiT1_T2_llli
		.amdhsa_group_segment_fixed_size 0
		.amdhsa_private_segment_fixed_size 0
		.amdhsa_kernarg_size 60
		.amdhsa_user_sgpr_count 6
		.amdhsa_user_sgpr_private_segment_buffer 1
		.amdhsa_user_sgpr_dispatch_ptr 0
		.amdhsa_user_sgpr_queue_ptr 0
		.amdhsa_user_sgpr_kernarg_segment_ptr 1
		.amdhsa_user_sgpr_dispatch_id 0
		.amdhsa_user_sgpr_flat_scratch_init 0
		.amdhsa_user_sgpr_kernarg_preload_length 0
		.amdhsa_user_sgpr_kernarg_preload_offset 0
		.amdhsa_user_sgpr_private_segment_size 0
		.amdhsa_uses_dynamic_stack 0
		.amdhsa_system_sgpr_private_segment_wavefront_offset 0
		.amdhsa_system_sgpr_workgroup_id_x 1
		.amdhsa_system_sgpr_workgroup_id_y 1
		.amdhsa_system_sgpr_workgroup_id_z 1
		.amdhsa_system_sgpr_workgroup_info 0
		.amdhsa_system_vgpr_workitem_id 1
		.amdhsa_next_free_vgpr 12
		.amdhsa_next_free_sgpr 20
		.amdhsa_accum_offset 12
		.amdhsa_reserve_vcc 1
		.amdhsa_reserve_flat_scratch 0
		.amdhsa_float_round_mode_32 0
		.amdhsa_float_round_mode_16_64 0
		.amdhsa_float_denorm_mode_32 3
		.amdhsa_float_denorm_mode_16_64 3
		.amdhsa_dx10_clamp 1
		.amdhsa_ieee_mode 1
		.amdhsa_fp16_overflow 0
		.amdhsa_tg_split 0
		.amdhsa_exception_fp_ieee_invalid_op 0
		.amdhsa_exception_fp_denorm_src 0
		.amdhsa_exception_fp_ieee_div_zero 0
		.amdhsa_exception_fp_ieee_overflow 0
		.amdhsa_exception_fp_ieee_underflow 0
		.amdhsa_exception_fp_ieee_inexact 0
		.amdhsa_exception_int_div_zero 0
	.end_amdhsa_kernel
	.section	.text._ZN12_GLOBAL__N_125rocblas_gemm_scale_kernelILi32ELi32E19rocblas_complex_numIdEPKPS2_EEviiT1_T2_llli,"axG",@progbits,_ZN12_GLOBAL__N_125rocblas_gemm_scale_kernelILi32ELi32E19rocblas_complex_numIdEPKPS2_EEviiT1_T2_llli,comdat
.Lfunc_end261:
	.size	_ZN12_GLOBAL__N_125rocblas_gemm_scale_kernelILi32ELi32E19rocblas_complex_numIdEPKPS2_EEviiT1_T2_llli, .Lfunc_end261-_ZN12_GLOBAL__N_125rocblas_gemm_scale_kernelILi32ELi32E19rocblas_complex_numIdEPKPS2_EEviiT1_T2_llli
                                        ; -- End function
	.section	.AMDGPU.csdata,"",@progbits
; Kernel info:
; codeLenInByte = 308
; NumSgprs: 24
; NumVgprs: 12
; NumAgprs: 0
; TotalNumVgprs: 12
; ScratchSize: 0
; MemoryBound: 0
; FloatMode: 240
; IeeeMode: 1
; LDSByteSize: 0 bytes/workgroup (compile time only)
; SGPRBlocks: 2
; VGPRBlocks: 1
; NumSGPRsForWavesPerEU: 24
; NumVGPRsForWavesPerEU: 12
; AccumOffset: 12
; Occupancy: 8
; WaveLimiterHint : 1
; COMPUTE_PGM_RSRC2:SCRATCH_EN: 0
; COMPUTE_PGM_RSRC2:USER_SGPR: 6
; COMPUTE_PGM_RSRC2:TRAP_HANDLER: 0
; COMPUTE_PGM_RSRC2:TGID_X_EN: 1
; COMPUTE_PGM_RSRC2:TGID_Y_EN: 1
; COMPUTE_PGM_RSRC2:TGID_Z_EN: 1
; COMPUTE_PGM_RSRC2:TIDIG_COMP_CNT: 1
; COMPUTE_PGM_RSRC3_GFX90A:ACCUM_OFFSET: 2
; COMPUTE_PGM_RSRC3_GFX90A:TG_SPLIT: 0
	.section	.text._ZN12_GLOBAL__N_120gemm_ex_scale_kernelILi32ELi32E19rocblas_complex_numIdEPKPKS2_PKPS2_EEviiT1_T2_lllT3_llli,"axG",@progbits,_ZN12_GLOBAL__N_120gemm_ex_scale_kernelILi32ELi32E19rocblas_complex_numIdEPKPKS2_PKPS2_EEviiT1_T2_lllT3_llli,comdat
	.globl	_ZN12_GLOBAL__N_120gemm_ex_scale_kernelILi32ELi32E19rocblas_complex_numIdEPKPKS2_PKPS2_EEviiT1_T2_lllT3_llli ; -- Begin function _ZN12_GLOBAL__N_120gemm_ex_scale_kernelILi32ELi32E19rocblas_complex_numIdEPKPKS2_PKPS2_EEviiT1_T2_lllT3_llli
	.p2align	8
	.type	_ZN12_GLOBAL__N_120gemm_ex_scale_kernelILi32ELi32E19rocblas_complex_numIdEPKPKS2_PKPS2_EEviiT1_T2_lllT3_llli,@function
_ZN12_GLOBAL__N_120gemm_ex_scale_kernelILi32ELi32E19rocblas_complex_numIdEPKPKS2_PKPS2_EEviiT1_T2_lllT3_llli: ; @_ZN12_GLOBAL__N_120gemm_ex_scale_kernelILi32ELi32E19rocblas_complex_numIdEPKPKS2_PKPS2_EEviiT1_T2_lllT3_llli
; %bb.0:
	s_load_dwordx8 s[12:19], s[4:5], 0x8
	s_load_dwordx2 s[10:11], s[4:5], 0x28
	s_mov_b64 s[20:21], 0
	s_mov_b32 s9, 0
	s_waitcnt lgkmcnt(0)
	v_cmp_eq_f64_e64 s[0:1], s[12:13], 0
	v_cmp_eq_f64_e64 s[2:3], s[14:15], 0
	s_and_b64 s[22:23], s[0:1], s[2:3]
	s_and_b64 vcc, exec, s[22:23]
	s_cbranch_vccnz .LBB262_2
; %bb.1:
	s_lshl_b64 s[0:1], s[8:9], 3
	s_add_u32 s0, s16, s0
	s_addc_u32 s1, s17, s1
	s_load_dwordx2 s[0:1], s[0:1], 0x0
	s_lshl_b64 s[2:3], s[18:19], 4
	s_waitcnt lgkmcnt(0)
	s_add_u32 s20, s0, s2
	s_addc_u32 s21, s1, s3
.LBB262_2:
	s_load_dwordx2 s[0:1], s[4:5], 0x0
	v_and_b32_e32 v1, 0x3ff, v0
	v_bfe_u32 v0, v0, 10, 10
	v_lshl_add_u32 v4, s6, 5, v1
	v_lshl_add_u32 v6, s7, 5, v0
	s_waitcnt lgkmcnt(0)
	v_cmp_gt_u32_e32 vcc, s0, v4
	v_cmp_gt_u32_e64 s[0:1], s1, v6
	s_and_b64 s[0:1], vcc, s[0:1]
	s_and_saveexec_b64 s[2:3], s[0:1]
	s_cbranch_execz .LBB262_8
; %bb.3:
	s_load_dwordx4 s[0:3], s[4:5], 0x38
	s_load_dwordx2 s[6:7], s[4:5], 0x48
	s_lshl_b64 s[4:5], s[8:9], 3
	v_mov_b32_e32 v5, 0
	s_waitcnt lgkmcnt(0)
	s_add_u32 s0, s0, s4
	s_addc_u32 s1, s1, s5
	s_load_dwordx2 s[0:1], s[0:1], 0x0
	s_andn2_b64 vcc, exec, s[22:23]
	s_cbranch_vccnz .LBB262_5
; %bb.4:
	s_mov_b64 s[8:9], 0
	v_pk_mov_b32 v[2:3], s[8:9], s[8:9] op_sel:[0,1]
	v_pk_mov_b32 v[0:1], s[8:9], s[8:9] op_sel:[0,1]
	s_cbranch_execz .LBB262_6
	s_branch .LBB262_7
.LBB262_5:
                                        ; implicit-def: $sgpr8_sgpr9
	v_pk_mov_b32 v[2:3], s[8:9], s[8:9] op_sel:[0,1]
	v_pk_mov_b32 v[0:1], s[8:9], s[8:9] op_sel:[0,1]
.LBB262_6:
	v_mad_u64_u32 v[0:1], s[4:5], v6, s10, 0
	v_mov_b32_e32 v2, v1
	v_mad_u64_u32 v[2:3], s[4:5], v6, s11, v[2:3]
	v_mov_b32_e32 v1, v2
	v_lshlrev_b64 v[0:1], 4, v[0:1]
	v_mov_b32_e32 v5, 0
	v_mov_b32_e32 v2, s21
	v_add_co_u32_e32 v3, vcc, s20, v0
	v_addc_co_u32_e32 v2, vcc, v2, v1, vcc
	v_lshlrev_b64 v[0:1], 4, v[4:5]
	v_add_co_u32_e32 v0, vcc, v3, v0
	v_addc_co_u32_e32 v1, vcc, v2, v1, vcc
	flat_load_dwordx4 v[8:11], v[0:1]
	s_waitcnt vmcnt(0) lgkmcnt(0)
	v_mul_f64 v[0:1], s[14:15], v[10:11]
	v_mul_f64 v[2:3], s[12:13], v[10:11]
	v_fma_f64 v[0:1], s[12:13], v[8:9], -v[0:1]
	v_fmac_f64_e32 v[2:3], s[14:15], v[8:9]
.LBB262_7:
	s_lshl_b64 s[2:3], s[2:3], 4
	s_waitcnt lgkmcnt(0)
	s_add_u32 s2, s0, s2
	s_addc_u32 s3, s1, s3
	v_mad_u64_u32 v[8:9], s[0:1], v6, s6, 0
	v_mov_b32_e32 v10, v9
	v_mad_u64_u32 v[6:7], s[0:1], v6, s7, v[10:11]
	v_mov_b32_e32 v9, v6
	v_lshlrev_b64 v[6:7], 4, v[8:9]
	v_mov_b32_e32 v8, s3
	v_add_co_u32_e32 v6, vcc, s2, v6
	v_addc_co_u32_e32 v7, vcc, v8, v7, vcc
	v_lshlrev_b64 v[4:5], 4, v[4:5]
	v_add_co_u32_e32 v4, vcc, v6, v4
	v_addc_co_u32_e32 v5, vcc, v7, v5, vcc
	global_store_dwordx4 v[4:5], v[0:3], off
.LBB262_8:
	s_endpgm
	.section	.rodata,"a",@progbits
	.p2align	6, 0x0
	.amdhsa_kernel _ZN12_GLOBAL__N_120gemm_ex_scale_kernelILi32ELi32E19rocblas_complex_numIdEPKPKS2_PKPS2_EEviiT1_T2_lllT3_llli
		.amdhsa_group_segment_fixed_size 0
		.amdhsa_private_segment_fixed_size 0
		.amdhsa_kernarg_size 92
		.amdhsa_user_sgpr_count 6
		.amdhsa_user_sgpr_private_segment_buffer 1
		.amdhsa_user_sgpr_dispatch_ptr 0
		.amdhsa_user_sgpr_queue_ptr 0
		.amdhsa_user_sgpr_kernarg_segment_ptr 1
		.amdhsa_user_sgpr_dispatch_id 0
		.amdhsa_user_sgpr_flat_scratch_init 0
		.amdhsa_user_sgpr_kernarg_preload_length 0
		.amdhsa_user_sgpr_kernarg_preload_offset 0
		.amdhsa_user_sgpr_private_segment_size 0
		.amdhsa_uses_dynamic_stack 0
		.amdhsa_system_sgpr_private_segment_wavefront_offset 0
		.amdhsa_system_sgpr_workgroup_id_x 1
		.amdhsa_system_sgpr_workgroup_id_y 1
		.amdhsa_system_sgpr_workgroup_id_z 1
		.amdhsa_system_sgpr_workgroup_info 0
		.amdhsa_system_vgpr_workitem_id 1
		.amdhsa_next_free_vgpr 12
		.amdhsa_next_free_sgpr 24
		.amdhsa_accum_offset 12
		.amdhsa_reserve_vcc 1
		.amdhsa_reserve_flat_scratch 0
		.amdhsa_float_round_mode_32 0
		.amdhsa_float_round_mode_16_64 0
		.amdhsa_float_denorm_mode_32 3
		.amdhsa_float_denorm_mode_16_64 3
		.amdhsa_dx10_clamp 1
		.amdhsa_ieee_mode 1
		.amdhsa_fp16_overflow 0
		.amdhsa_tg_split 0
		.amdhsa_exception_fp_ieee_invalid_op 0
		.amdhsa_exception_fp_denorm_src 0
		.amdhsa_exception_fp_ieee_div_zero 0
		.amdhsa_exception_fp_ieee_overflow 0
		.amdhsa_exception_fp_ieee_underflow 0
		.amdhsa_exception_fp_ieee_inexact 0
		.amdhsa_exception_int_div_zero 0
	.end_amdhsa_kernel
	.section	.text._ZN12_GLOBAL__N_120gemm_ex_scale_kernelILi32ELi32E19rocblas_complex_numIdEPKPKS2_PKPS2_EEviiT1_T2_lllT3_llli,"axG",@progbits,_ZN12_GLOBAL__N_120gemm_ex_scale_kernelILi32ELi32E19rocblas_complex_numIdEPKPKS2_PKPS2_EEviiT1_T2_lllT3_llli,comdat
.Lfunc_end262:
	.size	_ZN12_GLOBAL__N_120gemm_ex_scale_kernelILi32ELi32E19rocblas_complex_numIdEPKPKS2_PKPS2_EEviiT1_T2_lllT3_llli, .Lfunc_end262-_ZN12_GLOBAL__N_120gemm_ex_scale_kernelILi32ELi32E19rocblas_complex_numIdEPKPKS2_PKPS2_EEviiT1_T2_lllT3_llli
                                        ; -- End function
	.section	.AMDGPU.csdata,"",@progbits
; Kernel info:
; codeLenInByte = 448
; NumSgprs: 28
; NumVgprs: 12
; NumAgprs: 0
; TotalNumVgprs: 12
; ScratchSize: 0
; MemoryBound: 0
; FloatMode: 240
; IeeeMode: 1
; LDSByteSize: 0 bytes/workgroup (compile time only)
; SGPRBlocks: 3
; VGPRBlocks: 1
; NumSGPRsForWavesPerEU: 28
; NumVGPRsForWavesPerEU: 12
; AccumOffset: 12
; Occupancy: 8
; WaveLimiterHint : 1
; COMPUTE_PGM_RSRC2:SCRATCH_EN: 0
; COMPUTE_PGM_RSRC2:USER_SGPR: 6
; COMPUTE_PGM_RSRC2:TRAP_HANDLER: 0
; COMPUTE_PGM_RSRC2:TGID_X_EN: 1
; COMPUTE_PGM_RSRC2:TGID_Y_EN: 1
; COMPUTE_PGM_RSRC2:TGID_Z_EN: 1
; COMPUTE_PGM_RSRC2:TIDIG_COMP_CNT: 1
; COMPUTE_PGM_RSRC3_GFX90A:ACCUM_OFFSET: 2
; COMPUTE_PGM_RSRC3_GFX90A:TG_SPLIT: 0
	.section	.text._ZN12_GLOBAL__N_127rocblas_gemm_batched_kernelI19rocblas_complex_numIdELi16ELi16ELi64ELi64ELi4ELi64ELi4ELi4ELi64ELc78ELc78EKPKS2_S5_KPS2_EEvlllT_PT11_llSA_llS8_PT12_llPT13_lli,"axG",@progbits,_ZN12_GLOBAL__N_127rocblas_gemm_batched_kernelI19rocblas_complex_numIdELi16ELi16ELi64ELi64ELi4ELi64ELi4ELi4ELi64ELc78ELc78EKPKS2_S5_KPS2_EEvlllT_PT11_llSA_llS8_PT12_llPT13_lli,comdat
	.globl	_ZN12_GLOBAL__N_127rocblas_gemm_batched_kernelI19rocblas_complex_numIdELi16ELi16ELi64ELi64ELi4ELi64ELi4ELi4ELi64ELc78ELc78EKPKS2_S5_KPS2_EEvlllT_PT11_llSA_llS8_PT12_llPT13_lli ; -- Begin function _ZN12_GLOBAL__N_127rocblas_gemm_batched_kernelI19rocblas_complex_numIdELi16ELi16ELi64ELi64ELi4ELi64ELi4ELi4ELi64ELc78ELc78EKPKS2_S5_KPS2_EEvlllT_PT11_llSA_llS8_PT12_llPT13_lli
	.p2align	8
	.type	_ZN12_GLOBAL__N_127rocblas_gemm_batched_kernelI19rocblas_complex_numIdELi16ELi16ELi64ELi64ELi4ELi64ELi4ELi4ELi64ELc78ELc78EKPKS2_S5_KPS2_EEvlllT_PT11_llSA_llS8_PT12_llPT13_lli,@function
_ZN12_GLOBAL__N_127rocblas_gemm_batched_kernelI19rocblas_complex_numIdELi16ELi16ELi64ELi64ELi4ELi64ELi4ELi4ELi64ELc78ELc78EKPKS2_S5_KPS2_EEvlllT_PT11_llSA_llS8_PT12_llPT13_lli: ; @_ZN12_GLOBAL__N_127rocblas_gemm_batched_kernelI19rocblas_complex_numIdELi16ELi16ELi64ELi64ELi4ELi64ELi4ELi4ELi64ELc78ELc78EKPKS2_S5_KPS2_EEvlllT_PT11_llSA_llS8_PT12_llPT13_lli
; %bb.0:
	s_load_dwordx16 s[36:51], s[4:5], 0x10
	s_load_dwordx16 s[12:27], s[4:5], 0x50
	s_mov_b32 s9, 0
	s_lshl_b64 s[28:29], s[8:9], 3
	s_mov_b32 s10, s7
	v_bfe_u32 v107, v0, 10, 10
	s_waitcnt lgkmcnt(0)
	s_add_u32 s0, s18, s28
	s_addc_u32 s1, s19, s29
	s_add_u32 s2, s24, s28
	s_addc_u32 s3, s25, s29
	s_load_dwordx2 s[0:1], s[0:1], 0x0
	s_ashr_i32 s7, s6, 31
	s_load_dwordx2 s[8:9], s[2:3], 0x0
	s_ashr_i32 s11, s10, 31
	v_cmp_lt_i64_e64 s[18:19], s[36:37], 1
	v_and_b32_e32 v106, 0x3ff, v0
	s_lshl_b64 s[2:3], s[6:7], 6
	s_lshl_b64 s[6:7], s[10:11], 6
	s_mov_b64 s[10:11], 0
	s_and_b64 vcc, exec, s[18:19]
	s_cbranch_vccnz .LBB263_3
; %bb.1:
	v_lshl_add_u32 v0, v107, 4, v106
	v_lshrrev_b32_e32 v1, 2, v0
	v_mov_b32_e32 v2, s7
	v_add_co_u32_e32 v4, vcc, s6, v1
	v_addc_co_u32_e32 v5, vcc, 0, v2, vcc
	v_and_b32_e32 v2, 3, v106
	v_and_b32_e32 v6, 63, v0
	v_lshrrev_b32_e32 v3, 6, v0
	v_lshlrev_b32_e32 v0, 4, v6
	v_lshlrev_b32_e32 v7, 4, v2
	s_add_u32 s18, s42, s28
	v_lshl_or_b32 v108, v3, 10, v0
	v_lshl_or_b32 v0, v1, 6, v7
	s_addc_u32 s19, s43, s29
	v_add_u32_e32 v109, 0x1000, v0
	v_mov_b32_e32 v0, 0x1000
	s_load_dwordx2 s[18:19], s[18:19], 0x0
	v_lshl_add_u32 v111, v107, 6, v0
	v_pk_mov_b32 v[0:1], s[2:3], s[2:3] op_sel:[0,1]
	v_mad_u64_u32 v[0:1], s[30:31], v3, s44, v[0:1]
	v_mov_b32_e32 v2, v1
	s_add_u32 s24, s48, s28
	v_mad_u64_u32 v[2:3], s[30:31], v3, s45, v[2:3]
	s_addc_u32 s25, s49, s29
	s_lshl_b64 s[28:29], s[46:47], 4
	v_mov_b32_e32 v1, v2
	v_add_co_u32_e32 v0, vcc, v0, v6
	v_addc_co_u32_e32 v1, vcc, 0, v1, vcc
	s_waitcnt lgkmcnt(0)
	s_add_u32 s18, s18, s28
	v_lshlrev_b64 v[0:1], 4, v[0:1]
	s_addc_u32 s19, s19, s29
	v_mov_b32_e32 v2, s19
	v_add_co_u32_e32 v24, vcc, s18, v0
	v_addc_co_u32_e32 v25, vcc, v2, v1, vcc
	v_mul_lo_u32 v2, s51, v4
	v_mul_lo_u32 v3, s50, v5
	v_mad_u64_u32 v[0:1], s[28:29], s50, v4, 0
	v_add3_u32 v1, v1, v3, v2
	s_load_dwordx2 s[24:25], s[24:25], 0x0
	v_lshlrev_b64 v[0:1], 4, v[0:1]
	s_lshl_b64 s[12:13], s[12:13], 4
	v_mov_b32_e32 v2, s13
	v_add_co_u32_e32 v0, vcc, s12, v0
	v_addc_co_u32_e32 v1, vcc, v1, v2, vcc
	v_add_co_u32_e32 v0, vcc, v0, v7
	v_addc_co_u32_e32 v1, vcc, 0, v1, vcc
	s_lshl_b64 s[18:19], s[44:45], 6
	s_waitcnt lgkmcnt(0)
	v_mov_b32_e32 v2, s25
	v_add_co_u32_e32 v26, vcc, s24, v0
	v_lshlrev_b32_e32 v110, 4, v106
	v_addc_co_u32_e32 v27, vcc, v2, v1, vcc
	v_pk_mov_b32 v[8:9], 0, 0
	v_mov_b32_e32 v112, s19
	v_pk_mov_b32 v[28:29], s[36:37], s[36:37] op_sel:[0,1]
	v_pk_mov_b32 v[10:11], 0, 0
	v_pk_mov_b32 v[14:15], 0, 0
	;; [unrolled: 1-line block ×31, first 2 shown]
.LBB263_2:                              ; =>This Inner Loop Header: Depth=1
	global_load_dwordx4 v[0:3], v[24:25], off
	v_add_co_u32_e32 v24, vcc, s18, v24
	v_addc_co_u32_e32 v25, vcc, v25, v112, vcc
	s_add_u32 s10, s10, 4
	s_addc_u32 s11, s11, 0
	s_waitcnt vmcnt(0)
	ds_write2_b64 v108, v[0:1], v[2:3] offset1:1
	global_load_dwordx4 v[0:3], v[26:27], off
	v_add_co_u32_e32 v26, vcc, 64, v26
	v_addc_co_u32_e32 v27, vcc, 0, v27, vcc
	v_cmp_lt_i64_e32 vcc, s[10:11], v[28:29]
	s_and_b64 vcc, exec, vcc
	s_waitcnt vmcnt(0)
	ds_write2_b64 v109, v[0:1], v[2:3] offset1:1
	s_waitcnt lgkmcnt(0)
	s_barrier
	ds_read_b128 v[78:81], v111
	ds_read_b128 v[114:117], v111 offset:16
	ds_read_b128 v[4:7], v111 offset:32
	;; [unrolled: 1-line block ×3, first 2 shown]
	ds_read_b128 v[118:121], v110
	s_waitcnt lgkmcnt(0)
	v_mul_f64 v[82:83], v[80:81], v[120:121]
	v_mul_f64 v[84:85], v[78:79], v[120:121]
	v_fma_f64 v[82:83], v[78:79], v[118:119], -v[82:83]
	v_fmac_f64_e32 v[84:85], v[80:81], v[118:119]
	v_add_f64 v[122:123], v[54:55], v[82:83]
	v_add_f64 v[124:125], v[56:57], v[84:85]
	ds_read_b128 v[54:57], v110 offset:256
	s_waitcnt lgkmcnt(0)
	v_mul_f64 v[82:83], v[80:81], v[56:57]
	v_mul_f64 v[84:85], v[78:79], v[56:57]
	v_fma_f64 v[82:83], v[78:79], v[54:55], -v[82:83]
	v_fmac_f64_e32 v[84:85], v[80:81], v[54:55]
	v_add_f64 v[126:127], v[34:35], v[82:83]
	v_add_f64 v[128:129], v[36:37], v[84:85]
	ds_read_b128 v[34:37], v110 offset:512
	;; [unrolled: 8-line block ×3, first 2 shown]
	s_waitcnt lgkmcnt(0)
	v_mul_f64 v[82:83], v[80:81], v[32:33]
	v_fma_f64 v[82:83], v[78:79], v[30:31], -v[82:83]
	v_mul_f64 v[78:79], v[78:79], v[32:33]
	v_fmac_f64_e32 v[78:79], v[80:81], v[30:31]
	v_add_f64 v[134:135], v[20:21], v[82:83]
	v_add_f64 v[136:137], v[22:23], v[78:79]
	ds_read_b128 v[20:23], v111 offset:1024
	s_waitcnt lgkmcnt(0)
	v_mul_f64 v[78:79], v[22:23], v[120:121]
	v_fma_f64 v[78:79], v[20:21], v[118:119], -v[78:79]
	v_add_f64 v[70:71], v[70:71], v[78:79]
	v_mul_f64 v[78:79], v[22:23], v[56:57]
	v_mul_f64 v[80:81], v[20:21], v[120:121]
	v_fma_f64 v[78:79], v[20:21], v[54:55], -v[78:79]
	v_fmac_f64_e32 v[80:81], v[22:23], v[118:119]
	v_add_f64 v[94:95], v[60:61], v[78:79]
	v_mul_f64 v[60:61], v[22:23], v[36:37]
	v_add_f64 v[72:73], v[72:73], v[80:81]
	v_mul_f64 v[80:81], v[20:21], v[56:57]
	v_fma_f64 v[60:61], v[20:21], v[34:35], -v[60:61]
	v_fmac_f64_e32 v[80:81], v[22:23], v[54:55]
	v_add_f64 v[98:99], v[48:49], v[60:61]
	v_mul_f64 v[48:49], v[22:23], v[32:33]
	v_add_f64 v[96:97], v[64:65], v[80:81]
	v_mul_f64 v[64:65], v[20:21], v[36:37]
	v_fma_f64 v[48:49], v[20:21], v[30:31], -v[48:49]
	v_mul_f64 v[20:21], v[20:21], v[32:33]
	v_fmac_f64_e32 v[20:21], v[22:23], v[30:31]
	v_fmac_f64_e32 v[64:65], v[22:23], v[34:35]
	v_add_f64 v[104:105], v[44:45], v[20:21]
	ds_read_b128 v[20:23], v111 offset:2048
	v_add_f64 v[102:103], v[40:41], v[48:49]
	v_add_f64 v[100:101], v[52:53], v[64:65]
	s_waitcnt lgkmcnt(0)
	v_mul_f64 v[40:41], v[22:23], v[120:121]
	v_fma_f64 v[40:41], v[20:21], v[118:119], -v[40:41]
	v_add_f64 v[78:79], v[66:67], v[40:41]
	v_mul_f64 v[40:41], v[22:23], v[56:57]
	v_mul_f64 v[44:45], v[20:21], v[120:121]
	v_fma_f64 v[40:41], v[20:21], v[54:55], -v[40:41]
	v_fmac_f64_e32 v[44:45], v[22:23], v[118:119]
	v_add_f64 v[82:83], v[58:59], v[40:41]
	v_mul_f64 v[40:41], v[22:23], v[36:37]
	v_add_f64 v[80:81], v[68:69], v[44:45]
	v_mul_f64 v[44:45], v[20:21], v[56:57]
	v_fma_f64 v[40:41], v[20:21], v[34:35], -v[40:41]
	v_fmac_f64_e32 v[44:45], v[22:23], v[54:55]
	v_add_f64 v[86:87], v[46:47], v[40:41]
	v_mul_f64 v[40:41], v[22:23], v[32:33]
	v_add_f64 v[84:85], v[62:63], v[44:45]
	v_mul_f64 v[44:45], v[20:21], v[36:37]
	v_fma_f64 v[40:41], v[20:21], v[30:31], -v[40:41]
	v_mul_f64 v[20:21], v[20:21], v[32:33]
	v_fmac_f64_e32 v[20:21], v[22:23], v[30:31]
	v_fmac_f64_e32 v[44:45], v[22:23], v[34:35]
	v_add_f64 v[92:93], v[42:43], v[20:21]
	ds_read_b128 v[20:23], v111 offset:3072
	v_add_f64 v[90:91], v[38:39], v[40:41]
	v_add_f64 v[88:89], v[50:51], v[44:45]
	s_waitcnt lgkmcnt(0)
	v_mul_f64 v[38:39], v[22:23], v[120:121]
	v_mul_f64 v[40:41], v[20:21], v[120:121]
	v_fma_f64 v[38:39], v[20:21], v[118:119], -v[38:39]
	v_fmac_f64_e32 v[40:41], v[22:23], v[118:119]
	v_add_f64 v[58:59], v[74:75], v[38:39]
	v_add_f64 v[60:61], v[76:77], v[40:41]
	v_mul_f64 v[38:39], v[22:23], v[56:57]
	v_mul_f64 v[40:41], v[20:21], v[56:57]
	v_fma_f64 v[38:39], v[20:21], v[54:55], -v[38:39]
	v_fmac_f64_e32 v[40:41], v[22:23], v[54:55]
	v_add_f64 v[54:55], v[16:17], v[38:39]
	v_add_f64 v[56:57], v[18:19], v[40:41]
	v_mul_f64 v[16:17], v[22:23], v[36:37]
	v_mul_f64 v[18:19], v[20:21], v[36:37]
	v_fma_f64 v[16:17], v[20:21], v[34:35], -v[16:17]
	v_fmac_f64_e32 v[18:19], v[22:23], v[34:35]
	v_add_f64 v[50:51], v[12:13], v[16:17]
	v_add_f64 v[52:53], v[14:15], v[18:19]
	v_mul_f64 v[12:13], v[22:23], v[32:33]
	v_mul_f64 v[14:15], v[20:21], v[32:33]
	v_fma_f64 v[12:13], v[20:21], v[30:31], -v[12:13]
	v_fmac_f64_e32 v[14:15], v[22:23], v[30:31]
	ds_read_b128 v[20:23], v110 offset:1024
	ds_read_b128 v[16:19], v110 offset:1280
	v_add_f64 v[46:47], v[10:11], v[12:13]
	v_add_f64 v[48:49], v[8:9], v[14:15]
	ds_read_b128 v[12:15], v110 offset:1536
	ds_read_b128 v[74:77], v111 offset:1040
	s_waitcnt lgkmcnt(3)
	v_mul_f64 v[8:9], v[116:117], v[22:23]
	v_mul_f64 v[10:11], v[114:115], v[22:23]
	v_fma_f64 v[8:9], v[114:115], v[20:21], -v[8:9]
	v_fmac_f64_e32 v[10:11], v[116:117], v[20:21]
	v_add_f64 v[42:43], v[122:123], v[8:9]
	v_add_f64 v[44:45], v[124:125], v[10:11]
	s_waitcnt lgkmcnt(2)
	v_mul_f64 v[8:9], v[116:117], v[18:19]
	v_mul_f64 v[10:11], v[114:115], v[18:19]
	v_fma_f64 v[8:9], v[114:115], v[16:17], -v[8:9]
	v_fmac_f64_e32 v[10:11], v[116:117], v[16:17]
	v_add_f64 v[38:39], v[126:127], v[8:9]
	v_add_f64 v[40:41], v[128:129], v[10:11]
	;; [unrolled: 7-line block ×3, first 2 shown]
	ds_read_b128 v[8:11], v110 offset:1792
	s_waitcnt lgkmcnt(1)
	v_mul_f64 v[66:67], v[76:77], v[18:19]
	v_mul_f64 v[68:69], v[74:75], v[18:19]
	;; [unrolled: 1-line block ×4, first 2 shown]
	v_fma_f64 v[66:67], v[74:75], v[16:17], -v[66:67]
	v_fmac_f64_e32 v[68:69], v[76:77], v[16:17]
	v_fma_f64 v[62:63], v[74:75], v[20:21], -v[62:63]
	v_fmac_f64_e32 v[64:65], v[76:77], v[20:21]
	v_add_f64 v[66:67], v[94:95], v[66:67]
	v_add_f64 v[68:69], v[96:97], v[68:69]
	s_waitcnt lgkmcnt(0)
	v_mul_f64 v[94:95], v[76:77], v[10:11]
	v_mul_f64 v[96:97], v[74:75], v[10:11]
	v_add_f64 v[62:63], v[70:71], v[62:63]
	v_add_f64 v[64:65], v[72:73], v[64:65]
	v_mul_f64 v[70:71], v[76:77], v[14:15]
	v_mul_f64 v[72:73], v[74:75], v[14:15]
	v_fma_f64 v[94:95], v[74:75], v[8:9], -v[94:95]
	v_fmac_f64_e32 v[96:97], v[76:77], v[8:9]
	v_fma_f64 v[70:71], v[74:75], v[12:13], -v[70:71]
	v_fmac_f64_e32 v[72:73], v[76:77], v[12:13]
	v_add_f64 v[74:75], v[102:103], v[94:95]
	v_add_f64 v[76:77], v[104:105], v[96:97]
	ds_read_b128 v[94:97], v111 offset:2064
	v_add_f64 v[70:71], v[98:99], v[70:71]
	v_add_f64 v[72:73], v[100:101], v[72:73]
	v_mul_f64 v[30:31], v[116:117], v[10:11]
	v_mul_f64 v[32:33], v[114:115], v[10:11]
	s_waitcnt lgkmcnt(0)
	v_mul_f64 v[98:99], v[96:97], v[22:23]
	v_mul_f64 v[100:101], v[94:95], v[22:23]
	v_fma_f64 v[98:99], v[94:95], v[20:21], -v[98:99]
	v_fmac_f64_e32 v[100:101], v[96:97], v[20:21]
	v_add_f64 v[78:79], v[78:79], v[98:99]
	v_add_f64 v[80:81], v[80:81], v[100:101]
	v_mul_f64 v[98:99], v[96:97], v[18:19]
	v_mul_f64 v[100:101], v[94:95], v[18:19]
	v_fma_f64 v[98:99], v[94:95], v[16:17], -v[98:99]
	v_fmac_f64_e32 v[100:101], v[96:97], v[16:17]
	v_add_f64 v[82:83], v[82:83], v[98:99]
	v_add_f64 v[84:85], v[84:85], v[100:101]
	;; [unrolled: 6-line block ×4, first 2 shown]
	ds_read_b128 v[90:93], v111 offset:3088
	v_fma_f64 v[30:31], v[114:115], v[8:9], -v[30:31]
	v_fmac_f64_e32 v[32:33], v[116:117], v[8:9]
	v_add_f64 v[32:33], v[136:137], v[32:33]
	v_add_f64 v[30:31], v[134:135], v[30:31]
	s_waitcnt lgkmcnt(0)
	v_mul_f64 v[98:99], v[92:93], v[22:23]
	v_mul_f64 v[22:23], v[90:91], v[22:23]
	v_fma_f64 v[98:99], v[90:91], v[20:21], -v[98:99]
	v_fmac_f64_e32 v[22:23], v[92:93], v[20:21]
	v_mul_f64 v[20:21], v[92:93], v[18:19]
	v_mul_f64 v[18:19], v[90:91], v[18:19]
	v_fma_f64 v[20:21], v[90:91], v[16:17], -v[20:21]
	v_fmac_f64_e32 v[18:19], v[92:93], v[16:17]
	;; [unrolled: 4-line block ×3, first 2 shown]
	v_mul_f64 v[12:13], v[92:93], v[10:11]
	v_mul_f64 v[10:11], v[90:91], v[10:11]
	v_fmac_f64_e32 v[10:11], v[92:93], v[8:9]
	v_fma_f64 v[12:13], v[90:91], v[8:9], -v[12:13]
	v_add_f64 v[114:115], v[48:49], v[10:11]
	ds_read_b128 v[8:11], v110 offset:2048
	v_add_f64 v[102:103], v[52:53], v[14:15]
	v_add_f64 v[104:105], v[46:47], v[12:13]
	;; [unrolled: 1-line block ×4, first 2 shown]
	s_waitcnt lgkmcnt(0)
	v_mul_f64 v[12:13], v[6:7], v[10:11]
	v_mul_f64 v[14:15], v[4:5], v[10:11]
	v_fma_f64 v[12:13], v[4:5], v[8:9], -v[12:13]
	v_fmac_f64_e32 v[14:15], v[6:7], v[8:9]
	v_add_f64 v[116:117], v[42:43], v[12:13]
	v_add_f64 v[118:119], v[44:45], v[14:15]
	ds_read_b128 v[12:15], v110 offset:2304
	v_add_f64 v[60:61], v[60:61], v[22:23]
	v_add_f64 v[54:55], v[54:55], v[20:21]
	;; [unrolled: 1-line block ×3, first 2 shown]
	s_waitcnt lgkmcnt(0)
	v_mul_f64 v[16:17], v[6:7], v[14:15]
	v_mul_f64 v[18:19], v[4:5], v[14:15]
	v_fma_f64 v[16:17], v[4:5], v[12:13], -v[16:17]
	v_fmac_f64_e32 v[18:19], v[6:7], v[12:13]
	v_add_f64 v[120:121], v[38:39], v[16:17]
	v_add_f64 v[122:123], v[40:41], v[18:19]
	ds_read_b128 v[16:19], v110 offset:2560
	s_waitcnt lgkmcnt(0)
	v_mul_f64 v[20:21], v[6:7], v[18:19]
	v_mul_f64 v[22:23], v[4:5], v[18:19]
	v_fma_f64 v[20:21], v[4:5], v[16:17], -v[20:21]
	v_fmac_f64_e32 v[22:23], v[6:7], v[16:17]
	v_add_f64 v[124:125], v[34:35], v[20:21]
	v_add_f64 v[126:127], v[36:37], v[22:23]
	ds_read_b128 v[20:23], v110 offset:2816
	s_waitcnt lgkmcnt(0)
	v_mul_f64 v[34:35], v[6:7], v[22:23]
	v_fma_f64 v[34:35], v[4:5], v[20:21], -v[34:35]
	v_mul_f64 v[4:5], v[4:5], v[22:23]
	v_fmac_f64_e32 v[4:5], v[6:7], v[20:21]
	v_add_f64 v[130:131], v[32:33], v[4:5]
	ds_read_b128 v[4:7], v111 offset:1056
	v_add_f64 v[128:129], v[30:31], v[34:35]
	s_waitcnt lgkmcnt(0)
	v_mul_f64 v[30:31], v[6:7], v[10:11]
	v_fma_f64 v[30:31], v[4:5], v[8:9], -v[30:31]
	v_add_f64 v[40:41], v[62:63], v[30:31]
	v_mul_f64 v[30:31], v[6:7], v[14:15]
	v_mul_f64 v[32:33], v[4:5], v[10:11]
	v_fma_f64 v[30:31], v[4:5], v[12:13], -v[30:31]
	v_fmac_f64_e32 v[32:33], v[6:7], v[8:9]
	v_add_f64 v[48:49], v[66:67], v[30:31]
	v_mul_f64 v[30:31], v[6:7], v[18:19]
	v_add_f64 v[44:45], v[64:65], v[32:33]
	v_mul_f64 v[32:33], v[4:5], v[14:15]
	v_fma_f64 v[30:31], v[4:5], v[16:17], -v[30:31]
	v_fmac_f64_e32 v[32:33], v[6:7], v[12:13]
	v_add_f64 v[58:59], v[70:71], v[30:31]
	v_mul_f64 v[30:31], v[6:7], v[22:23]
	v_add_f64 v[52:53], v[68:69], v[32:33]
	v_mul_f64 v[32:33], v[4:5], v[18:19]
	v_fma_f64 v[30:31], v[4:5], v[20:21], -v[30:31]
	v_mul_f64 v[4:5], v[4:5], v[22:23]
	v_fmac_f64_e32 v[4:5], v[6:7], v[20:21]
	v_fmac_f64_e32 v[32:33], v[6:7], v[16:17]
	v_add_f64 v[68:69], v[76:77], v[4:5]
	ds_read_b128 v[4:7], v111 offset:2080
	v_add_f64 v[66:67], v[74:75], v[30:31]
	v_add_f64 v[62:63], v[72:73], v[32:33]
	s_waitcnt lgkmcnt(0)
	v_mul_f64 v[30:31], v[6:7], v[10:11]
	v_fma_f64 v[30:31], v[4:5], v[8:9], -v[30:31]
	v_add_f64 v[38:39], v[78:79], v[30:31]
	v_mul_f64 v[30:31], v[6:7], v[14:15]
	v_mul_f64 v[32:33], v[4:5], v[10:11]
	v_fma_f64 v[30:31], v[4:5], v[12:13], -v[30:31]
	v_fmac_f64_e32 v[32:33], v[6:7], v[8:9]
	v_add_f64 v[46:47], v[82:83], v[30:31]
	v_mul_f64 v[30:31], v[6:7], v[18:19]
	v_add_f64 v[42:43], v[80:81], v[32:33]
	v_mul_f64 v[32:33], v[4:5], v[14:15]
	v_fma_f64 v[30:31], v[4:5], v[16:17], -v[30:31]
	v_fmac_f64_e32 v[32:33], v[6:7], v[12:13]
	v_add_f64 v[90:91], v[86:87], v[30:31]
	v_mul_f64 v[30:31], v[6:7], v[22:23]
	v_add_f64 v[50:51], v[84:85], v[32:33]
	v_mul_f64 v[32:33], v[4:5], v[18:19]
	v_fma_f64 v[30:31], v[4:5], v[20:21], -v[30:31]
	v_mul_f64 v[4:5], v[4:5], v[22:23]
	v_fmac_f64_e32 v[4:5], v[6:7], v[20:21]
	v_fmac_f64_e32 v[32:33], v[6:7], v[16:17]
	v_add_f64 v[96:97], v[96:97], v[4:5]
	ds_read_b128 v[4:7], v111 offset:3104
	v_add_f64 v[94:95], v[94:95], v[30:31]
	v_add_f64 v[92:93], v[88:89], v[32:33]
	s_waitcnt lgkmcnt(0)
	v_mul_f64 v[30:31], v[6:7], v[10:11]
	v_mul_f64 v[10:11], v[4:5], v[10:11]
	v_fmac_f64_e32 v[10:11], v[6:7], v[8:9]
	v_fma_f64 v[30:31], v[4:5], v[8:9], -v[30:31]
	v_add_f64 v[76:77], v[60:61], v[10:11]
	v_mul_f64 v[8:9], v[6:7], v[14:15]
	v_mul_f64 v[10:11], v[4:5], v[14:15]
	v_fma_f64 v[8:9], v[4:5], v[12:13], -v[8:9]
	v_fmac_f64_e32 v[10:11], v[6:7], v[12:13]
	v_add_f64 v[86:87], v[54:55], v[8:9]
	v_add_f64 v[88:89], v[56:57], v[10:11]
	v_mul_f64 v[8:9], v[6:7], v[18:19]
	v_mul_f64 v[10:11], v[4:5], v[18:19]
	v_fma_f64 v[8:9], v[4:5], v[16:17], -v[8:9]
	v_fmac_f64_e32 v[10:11], v[6:7], v[16:17]
	ds_read_b128 v[16:19], v110 offset:3072
	ds_read_b128 v[12:15], v110 offset:3328
	v_add_f64 v[82:83], v[100:101], v[8:9]
	v_mul_f64 v[8:9], v[6:7], v[22:23]
	v_fma_f64 v[8:9], v[4:5], v[20:21], -v[8:9]
	v_mul_f64 v[4:5], v[4:5], v[22:23]
	v_add_f64 v[84:85], v[102:103], v[10:11]
	v_fmac_f64_e32 v[4:5], v[6:7], v[20:21]
	v_add_f64 v[78:79], v[104:105], v[8:9]
	ds_read_b128 v[8:11], v110 offset:3584
	v_add_f64 v[80:81], v[114:115], v[4:5]
	s_waitcnt lgkmcnt(2)
	v_mul_f64 v[4:5], v[2:3], v[18:19]
	v_mul_f64 v[6:7], v[0:1], v[18:19]
	v_fma_f64 v[4:5], v[0:1], v[16:17], -v[4:5]
	v_fmac_f64_e32 v[6:7], v[2:3], v[16:17]
	v_add_f64 v[54:55], v[116:117], v[4:5]
	v_add_f64 v[56:57], v[118:119], v[6:7]
	s_waitcnt lgkmcnt(1)
	v_mul_f64 v[4:5], v[2:3], v[14:15]
	v_mul_f64 v[6:7], v[0:1], v[14:15]
	v_fma_f64 v[4:5], v[0:1], v[12:13], -v[4:5]
	v_fmac_f64_e32 v[6:7], v[2:3], v[12:13]
	v_add_f64 v[34:35], v[120:121], v[4:5]
	;; [unrolled: 7-line block ×3, first 2 shown]
	v_add_f64 v[30:31], v[124:125], v[4:5]
	v_add_f64 v[32:33], v[126:127], v[6:7]
	ds_read_b128 v[4:7], v110 offset:3840
	s_waitcnt lgkmcnt(0)
	v_mul_f64 v[20:21], v[2:3], v[6:7]
	v_fma_f64 v[20:21], v[0:1], v[4:5], -v[20:21]
	v_mul_f64 v[0:1], v[0:1], v[6:7]
	v_fmac_f64_e32 v[0:1], v[2:3], v[4:5]
	v_add_f64 v[22:23], v[130:131], v[0:1]
	ds_read_b128 v[0:3], v111 offset:1072
	v_add_f64 v[20:21], v[128:129], v[20:21]
	s_waitcnt lgkmcnt(0)
	v_mul_f64 v[60:61], v[2:3], v[18:19]
	v_fma_f64 v[60:61], v[0:1], v[16:17], -v[60:61]
	v_add_f64 v[70:71], v[40:41], v[60:61]
	v_mul_f64 v[40:41], v[2:3], v[14:15]
	v_mul_f64 v[64:65], v[0:1], v[18:19]
	v_fma_f64 v[40:41], v[0:1], v[12:13], -v[40:41]
	v_fmac_f64_e32 v[64:65], v[2:3], v[16:17]
	v_add_f64 v[60:61], v[48:49], v[40:41]
	v_mul_f64 v[40:41], v[2:3], v[10:11]
	v_add_f64 v[72:73], v[44:45], v[64:65]
	v_mul_f64 v[44:45], v[0:1], v[14:15]
	v_fma_f64 v[40:41], v[0:1], v[8:9], -v[40:41]
	v_fmac_f64_e32 v[44:45], v[2:3], v[12:13]
	v_add_f64 v[48:49], v[58:59], v[40:41]
	v_mul_f64 v[40:41], v[2:3], v[6:7]
	v_add_f64 v[64:65], v[52:53], v[44:45]
	v_mul_f64 v[44:45], v[0:1], v[10:11]
	v_fma_f64 v[40:41], v[0:1], v[4:5], -v[40:41]
	v_mul_f64 v[0:1], v[0:1], v[6:7]
	v_fmac_f64_e32 v[44:45], v[2:3], v[8:9]
	v_fmac_f64_e32 v[0:1], v[2:3], v[4:5]
	v_add_f64 v[52:53], v[62:63], v[44:45]
	v_add_f64 v[44:45], v[68:69], v[0:1]
	ds_read_b128 v[0:3], v111 offset:2096
	v_add_f64 v[40:41], v[66:67], v[40:41]
	s_waitcnt lgkmcnt(0)
	v_mul_f64 v[58:59], v[2:3], v[18:19]
	v_fma_f64 v[58:59], v[0:1], v[16:17], -v[58:59]
	v_add_f64 v[66:67], v[38:39], v[58:59]
	v_mul_f64 v[38:39], v[2:3], v[14:15]
	v_mul_f64 v[62:63], v[0:1], v[18:19]
	v_fma_f64 v[38:39], v[0:1], v[12:13], -v[38:39]
	v_fmac_f64_e32 v[62:63], v[2:3], v[16:17]
	v_add_f64 v[58:59], v[46:47], v[38:39]
	v_mul_f64 v[38:39], v[2:3], v[10:11]
	v_add_f64 v[68:69], v[42:43], v[62:63]
	v_mul_f64 v[42:43], v[0:1], v[14:15]
	v_fma_f64 v[38:39], v[0:1], v[8:9], -v[38:39]
	v_fmac_f64_e32 v[42:43], v[2:3], v[12:13]
	v_add_f64 v[46:47], v[90:91], v[38:39]
	v_mul_f64 v[38:39], v[2:3], v[6:7]
	v_add_f64 v[62:63], v[50:51], v[42:43]
	v_mul_f64 v[42:43], v[0:1], v[10:11]
	v_fma_f64 v[38:39], v[0:1], v[4:5], -v[38:39]
	v_mul_f64 v[0:1], v[0:1], v[6:7]
	v_fmac_f64_e32 v[42:43], v[2:3], v[8:9]
	v_fmac_f64_e32 v[0:1], v[2:3], v[4:5]
	v_add_f64 v[50:51], v[92:93], v[42:43]
	v_add_f64 v[42:43], v[96:97], v[0:1]
	ds_read_b128 v[0:3], v111 offset:3120
	v_add_f64 v[38:39], v[94:95], v[38:39]
	s_waitcnt lgkmcnt(0)
	s_barrier
	v_mul_f64 v[90:91], v[2:3], v[18:19]
	v_mul_f64 v[18:19], v[0:1], v[18:19]
	v_fma_f64 v[90:91], v[0:1], v[16:17], -v[90:91]
	v_fmac_f64_e32 v[18:19], v[2:3], v[16:17]
	v_mul_f64 v[16:17], v[2:3], v[14:15]
	v_mul_f64 v[14:15], v[0:1], v[14:15]
	v_fma_f64 v[16:17], v[0:1], v[12:13], -v[16:17]
	v_fmac_f64_e32 v[14:15], v[2:3], v[12:13]
	;; [unrolled: 4-line block ×3, first 2 shown]
	v_mul_f64 v[8:9], v[2:3], v[6:7]
	v_fma_f64 v[8:9], v[0:1], v[4:5], -v[8:9]
	v_mul_f64 v[0:1], v[0:1], v[6:7]
	v_fmac_f64_e32 v[0:1], v[2:3], v[4:5]
	v_add_f64 v[74:75], v[74:75], v[90:91]
	v_add_f64 v[76:77], v[76:77], v[18:19]
	v_add_f64 v[16:17], v[86:87], v[16:17]
	v_add_f64 v[18:19], v[88:89], v[14:15]
	v_add_f64 v[12:13], v[82:83], v[12:13]
	v_add_f64 v[14:15], v[84:85], v[10:11]
	v_add_f64 v[10:11], v[78:79], v[8:9]
	v_add_f64 v[8:9], v[80:81], v[0:1]
	s_cbranch_vccnz .LBB263_2
	s_branch .LBB263_4
.LBB263_3:
	v_pk_mov_b32 v[54:55], 0, 0
	v_pk_mov_b32 v[56:57], 0, 0
	;; [unrolled: 1-line block ×32, first 2 shown]
.LBB263_4:
	s_load_dwordx2 s[4:5], s[4:5], 0x90
	v_mov_b32_e32 v0, s7
	v_add_co_u32_e32 v6, vcc, s6, v107
	v_addc_co_u32_e32 v7, vcc, 0, v0, vcc
	s_waitcnt lgkmcnt(0)
	s_lshl_b64 s[4:5], s[4:5], 4
	s_add_u32 s7, s8, s4
	v_cmp_neq_f64_e64 s[10:11], s[14:15], 0
	v_cmp_neq_f64_e64 s[12:13], s[16:17], 0
	v_mov_b32_e32 v1, s3
	v_add_co_u32_e32 v0, vcc, s2, v106
	s_addc_u32 s8, s9, s5
	s_or_b64 s[10:11], s[10:11], s[12:13]
	v_addc_co_u32_e32 v1, vcc, 0, v1, vcc
	s_mov_b64 s[4:5], 0
	s_and_b64 vcc, exec, s[10:11]
	s_cbranch_vccnz .LBB263_6
; %bb.5:
	v_mul_lo_u32 v4, v7, s26
	v_mul_lo_u32 v5, v6, s27
	v_mad_u64_u32 v[2:3], s[2:3], v6, s26, 0
	v_add3_u32 v3, v3, v5, v4
	v_lshlrev_b64 v[2:3], 4, v[2:3]
	v_mov_b32_e32 v4, s8
	v_add_co_u32_e32 v26, vcc, s7, v2
	v_addc_co_u32_e32 v27, vcc, v4, v3, vcc
	v_lshlrev_b64 v[24:25], 4, v[0:1]
	v_mul_f64 v[2:3], s[40:41], v[56:57]
	v_mul_f64 v[4:5], s[38:39], v[56:57]
	v_add_co_u32_e32 v24, vcc, v26, v24
	v_fma_f64 v[2:3], s[38:39], v[54:55], -v[2:3]
	v_fmac_f64_e32 v[4:5], s[40:41], v[54:55]
	v_addc_co_u32_e32 v25, vcc, v27, v25, vcc
	global_store_dwordx4 v[24:25], v[2:5], off
	s_lshl_b64 s[2:3], s[26:27], 8
	v_mul_f64 v[2:3], s[40:41], v[36:37]
	v_mul_f64 v[4:5], s[38:39], v[36:37]
	v_fma_f64 v[2:3], s[38:39], v[34:35], -v[2:3]
	v_fmac_f64_e32 v[4:5], s[40:41], v[34:35]
	global_store_dwordx4 v[24:25], v[2:5], off offset:256
	v_mov_b32_e32 v26, s3
	v_mul_f64 v[2:3], s[40:41], v[32:33]
	v_mul_f64 v[4:5], s[38:39], v[32:33]
	v_fma_f64 v[2:3], s[38:39], v[30:31], -v[2:3]
	v_fmac_f64_e32 v[4:5], s[40:41], v[30:31]
	global_store_dwordx4 v[24:25], v[2:5], off offset:512
	s_nop 0
	v_mul_f64 v[2:3], s[40:41], v[22:23]
	v_mul_f64 v[4:5], s[38:39], v[22:23]
	v_fma_f64 v[2:3], s[38:39], v[20:21], -v[2:3]
	v_fmac_f64_e32 v[4:5], s[40:41], v[20:21]
	global_store_dwordx4 v[24:25], v[2:5], off offset:768
	v_add_co_u32_e32 v24, vcc, s2, v24
	v_mul_f64 v[2:3], s[40:41], v[72:73]
	v_mul_f64 v[4:5], s[38:39], v[72:73]
	v_fma_f64 v[2:3], s[38:39], v[70:71], -v[2:3]
	v_fmac_f64_e32 v[4:5], s[40:41], v[70:71]
	v_addc_co_u32_e32 v25, vcc, v25, v26, vcc
	global_store_dwordx4 v[24:25], v[2:5], off
	s_nop 0
	v_mul_f64 v[2:3], s[40:41], v[64:65]
	v_mul_f64 v[4:5], s[38:39], v[64:65]
	v_fma_f64 v[2:3], s[38:39], v[60:61], -v[2:3]
	v_fmac_f64_e32 v[4:5], s[40:41], v[60:61]
	global_store_dwordx4 v[24:25], v[2:5], off offset:256
	s_nop 0
	v_mul_f64 v[2:3], s[40:41], v[52:53]
	v_mul_f64 v[4:5], s[38:39], v[52:53]
	v_fma_f64 v[2:3], s[38:39], v[48:49], -v[2:3]
	v_fmac_f64_e32 v[4:5], s[40:41], v[48:49]
	global_store_dwordx4 v[24:25], v[2:5], off offset:512
	s_nop 0
	v_mul_f64 v[2:3], s[40:41], v[44:45]
	v_mul_f64 v[4:5], s[38:39], v[44:45]
	v_fma_f64 v[2:3], s[38:39], v[40:41], -v[2:3]
	v_fmac_f64_e32 v[4:5], s[40:41], v[40:41]
	global_store_dwordx4 v[24:25], v[2:5], off offset:768
	v_add_co_u32_e32 v24, vcc, s2, v24
	v_mul_f64 v[2:3], s[40:41], v[68:69]
	v_mul_f64 v[4:5], s[38:39], v[68:69]
	v_fma_f64 v[2:3], s[38:39], v[66:67], -v[2:3]
	v_fmac_f64_e32 v[4:5], s[40:41], v[66:67]
	v_addc_co_u32_e32 v25, vcc, v25, v26, vcc
	global_store_dwordx4 v[24:25], v[2:5], off
	s_nop 0
	v_mul_f64 v[2:3], s[40:41], v[62:63]
	v_mul_f64 v[4:5], s[38:39], v[62:63]
	v_fma_f64 v[2:3], s[38:39], v[58:59], -v[2:3]
	v_fmac_f64_e32 v[4:5], s[40:41], v[58:59]
	global_store_dwordx4 v[24:25], v[2:5], off offset:256
	s_nop 0
	v_mul_f64 v[2:3], s[40:41], v[50:51]
	v_mul_f64 v[4:5], s[38:39], v[50:51]
	v_fma_f64 v[2:3], s[38:39], v[46:47], -v[2:3]
	v_fmac_f64_e32 v[4:5], s[40:41], v[46:47]
	global_store_dwordx4 v[24:25], v[2:5], off offset:512
	s_nop 0
	v_mul_f64 v[2:3], s[40:41], v[42:43]
	v_mul_f64 v[4:5], s[38:39], v[42:43]
	v_fma_f64 v[2:3], s[38:39], v[38:39], -v[2:3]
	v_fmac_f64_e32 v[4:5], s[40:41], v[38:39]
	global_store_dwordx4 v[24:25], v[2:5], off offset:768
	v_add_co_u32_e32 v24, vcc, s2, v24
	v_mul_f64 v[2:3], s[40:41], v[76:77]
	v_mul_f64 v[4:5], s[38:39], v[76:77]
	v_fma_f64 v[2:3], s[38:39], v[74:75], -v[2:3]
	v_fmac_f64_e32 v[4:5], s[40:41], v[74:75]
	v_addc_co_u32_e32 v25, vcc, v25, v26, vcc
	global_store_dwordx4 v[24:25], v[2:5], off
	s_nop 0
	v_mul_f64 v[2:3], s[40:41], v[18:19]
	v_mul_f64 v[4:5], s[38:39], v[18:19]
	v_fma_f64 v[2:3], s[38:39], v[16:17], -v[2:3]
	v_fmac_f64_e32 v[4:5], s[40:41], v[16:17]
	global_store_dwordx4 v[24:25], v[2:5], off offset:256
	s_nop 0
	v_mul_f64 v[2:3], s[40:41], v[14:15]
	v_mul_f64 v[4:5], s[38:39], v[14:15]
	v_fma_f64 v[2:3], s[38:39], v[12:13], -v[2:3]
	v_fmac_f64_e32 v[4:5], s[40:41], v[12:13]
	global_store_dwordx4 v[24:25], v[2:5], off offset:512
	s_nop 0
	v_mul_f64 v[2:3], s[40:41], v[8:9]
	v_fma_f64 v[26:27], s[38:39], v[10:11], -v[2:3]
	v_mul_f64 v[4:5], s[38:39], v[8:9]
	v_add_co_u32_e32 v2, vcc, 0x300, v24
	v_fmac_f64_e32 v[4:5], s[40:41], v[10:11]
	v_addc_co_u32_e32 v3, vcc, 0, v25, vcc
	global_store_dwordx2 v[24:25], v[26:27], off offset:768
	s_andn2_b64 vcc, exec, s[4:5]
	s_cbranch_vccz .LBB263_7
	s_branch .LBB263_8
.LBB263_6:
                                        ; implicit-def: $vgpr4_vgpr5
                                        ; implicit-def: $vgpr2_vgpr3
.LBB263_7:
	s_lshl_b64 s[2:3], s[22:23], 4
	s_add_u32 s2, s0, s2
	s_addc_u32 s3, s1, s3
	v_mul_lo_u32 v4, v7, s20
	v_mul_lo_u32 v5, v6, s21
	v_mad_u64_u32 v[2:3], s[0:1], v6, s20, 0
	v_add3_u32 v3, v3, v5, v4
	v_lshlrev_b64 v[2:3], 4, v[2:3]
	v_mov_b32_e32 v4, s3
	v_add_co_u32_e32 v2, vcc, s2, v2
	v_addc_co_u32_e32 v3, vcc, v4, v3, vcc
	v_lshlrev_b64 v[4:5], 4, v[0:1]
	v_add_co_u32_e32 v24, vcc, v2, v4
	v_addc_co_u32_e32 v25, vcc, v3, v5, vcc
	global_load_dwordx4 v[0:3], v[24:25], off
	v_mul_lo_u32 v78, v7, s26
	v_mul_lo_u32 v79, v6, s27
	v_mad_u64_u32 v[6:7], s[0:1], v6, s26, 0
	v_add3_u32 v7, v7, v79, v78
	v_lshlrev_b64 v[6:7], 4, v[6:7]
	v_mov_b32_e32 v80, s8
	v_add_co_u32_e32 v6, vcc, s7, v6
	v_addc_co_u32_e32 v7, vcc, v80, v7, vcc
	v_add_co_u32_e32 v4, vcc, v6, v4
	v_mul_f64 v[26:27], s[40:41], v[56:57]
	v_mul_f64 v[28:29], s[38:39], v[56:57]
	v_addc_co_u32_e32 v5, vcc, v7, v5, vcc
	v_fma_f64 v[26:27], s[38:39], v[54:55], -v[26:27]
	v_fmac_f64_e32 v[28:29], s[40:41], v[54:55]
	s_lshl_b64 s[0:1], s[20:21], 8
	s_lshl_b64 s[2:3], s[26:27], 8
	s_waitcnt vmcnt(0)
	v_mul_f64 v[6:7], s[16:17], v[2:3]
	v_mul_f64 v[2:3], s[14:15], v[2:3]
	v_fma_f64 v[6:7], s[14:15], v[0:1], -v[6:7]
	v_fmac_f64_e32 v[2:3], s[16:17], v[0:1]
	v_add_f64 v[0:1], v[26:27], v[6:7]
	v_add_f64 v[2:3], v[28:29], v[2:3]
	global_store_dwordx4 v[4:5], v[0:3], off
	global_load_dwordx4 v[0:3], v[24:25], off offset:256
	v_mul_f64 v[6:7], s[40:41], v[36:37]
	v_mul_f64 v[26:27], s[38:39], v[36:37]
	v_fma_f64 v[6:7], s[38:39], v[34:35], -v[6:7]
	v_fmac_f64_e32 v[26:27], s[40:41], v[34:35]
	s_waitcnt vmcnt(0)
	v_mul_f64 v[28:29], s[16:17], v[2:3]
	v_mul_f64 v[2:3], s[14:15], v[2:3]
	v_fma_f64 v[28:29], s[14:15], v[0:1], -v[28:29]
	v_fmac_f64_e32 v[2:3], s[16:17], v[0:1]
	v_add_f64 v[0:1], v[6:7], v[28:29]
	v_add_f64 v[2:3], v[26:27], v[2:3]
	global_store_dwordx4 v[4:5], v[0:3], off offset:256
	global_load_dwordx4 v[0:3], v[24:25], off offset:512
	v_mul_f64 v[6:7], s[40:41], v[32:33]
	v_mul_f64 v[26:27], s[38:39], v[32:33]
	v_fma_f64 v[6:7], s[38:39], v[30:31], -v[6:7]
	v_fmac_f64_e32 v[26:27], s[40:41], v[30:31]
	s_waitcnt vmcnt(0)
	v_mul_f64 v[28:29], s[16:17], v[2:3]
	v_mul_f64 v[2:3], s[14:15], v[2:3]
	v_fma_f64 v[28:29], s[14:15], v[0:1], -v[28:29]
	v_fmac_f64_e32 v[2:3], s[16:17], v[0:1]
	v_add_f64 v[0:1], v[6:7], v[28:29]
	v_add_f64 v[2:3], v[26:27], v[2:3]
	global_store_dwordx4 v[4:5], v[0:3], off offset:512
	global_load_dwordx4 v[0:3], v[24:25], off offset:768
	v_mul_f64 v[6:7], s[40:41], v[22:23]
	v_mul_f64 v[22:23], s[38:39], v[22:23]
	v_fma_f64 v[6:7], s[38:39], v[20:21], -v[6:7]
	v_fmac_f64_e32 v[22:23], s[40:41], v[20:21]
	v_mov_b32_e32 v26, s1
	v_add_co_u32_e32 v20, vcc, s0, v24
	v_addc_co_u32_e32 v21, vcc, v25, v26, vcc
	v_mov_b32_e32 v27, s3
	s_waitcnt vmcnt(0)
	v_mul_f64 v[24:25], s[16:17], v[2:3]
	v_mul_f64 v[2:3], s[14:15], v[2:3]
	v_fma_f64 v[24:25], s[14:15], v[0:1], -v[24:25]
	v_fmac_f64_e32 v[2:3], s[16:17], v[0:1]
	v_add_f64 v[0:1], v[6:7], v[24:25]
	v_add_f64 v[2:3], v[22:23], v[2:3]
	global_store_dwordx4 v[4:5], v[0:3], off offset:768
	global_load_dwordx4 v[0:3], v[20:21], off
	v_mul_f64 v[6:7], s[40:41], v[72:73]
	v_mul_f64 v[22:23], s[38:39], v[72:73]
	v_fma_f64 v[6:7], s[38:39], v[70:71], -v[6:7]
	v_fmac_f64_e32 v[22:23], s[40:41], v[70:71]
	v_add_co_u32_e32 v4, vcc, s2, v4
	v_addc_co_u32_e32 v5, vcc, v5, v27, vcc
	s_waitcnt vmcnt(0)
	v_mul_f64 v[24:25], s[16:17], v[2:3]
	v_mul_f64 v[2:3], s[14:15], v[2:3]
	v_fma_f64 v[24:25], s[14:15], v[0:1], -v[24:25]
	v_fmac_f64_e32 v[2:3], s[16:17], v[0:1]
	v_add_f64 v[0:1], v[6:7], v[24:25]
	v_add_f64 v[2:3], v[22:23], v[2:3]
	global_store_dwordx4 v[4:5], v[0:3], off
	global_load_dwordx4 v[0:3], v[20:21], off offset:256
	v_mul_f64 v[6:7], s[40:41], v[64:65]
	v_mul_f64 v[22:23], s[38:39], v[64:65]
	v_fma_f64 v[6:7], s[38:39], v[60:61], -v[6:7]
	v_fmac_f64_e32 v[22:23], s[40:41], v[60:61]
	s_waitcnt vmcnt(0)
	v_mul_f64 v[24:25], s[16:17], v[2:3]
	v_mul_f64 v[2:3], s[14:15], v[2:3]
	v_fma_f64 v[24:25], s[14:15], v[0:1], -v[24:25]
	v_fmac_f64_e32 v[2:3], s[16:17], v[0:1]
	v_add_f64 v[0:1], v[6:7], v[24:25]
	v_add_f64 v[2:3], v[22:23], v[2:3]
	global_store_dwordx4 v[4:5], v[0:3], off offset:256
	global_load_dwordx4 v[0:3], v[20:21], off offset:512
	v_mul_f64 v[6:7], s[40:41], v[52:53]
	v_mul_f64 v[22:23], s[38:39], v[52:53]
	v_fma_f64 v[6:7], s[38:39], v[48:49], -v[6:7]
	v_fmac_f64_e32 v[22:23], s[40:41], v[48:49]
	s_waitcnt vmcnt(0)
	v_mul_f64 v[24:25], s[16:17], v[2:3]
	v_mul_f64 v[2:3], s[14:15], v[2:3]
	v_fma_f64 v[24:25], s[14:15], v[0:1], -v[24:25]
	v_fmac_f64_e32 v[2:3], s[16:17], v[0:1]
	v_add_f64 v[0:1], v[6:7], v[24:25]
	v_add_f64 v[2:3], v[22:23], v[2:3]
	global_store_dwordx4 v[4:5], v[0:3], off offset:512
	global_load_dwordx4 v[0:3], v[20:21], off offset:768
	v_mul_f64 v[6:7], s[40:41], v[44:45]
	v_mul_f64 v[22:23], s[38:39], v[44:45]
	v_fma_f64 v[6:7], s[38:39], v[40:41], -v[6:7]
	v_fmac_f64_e32 v[22:23], s[40:41], v[40:41]
	v_add_co_u32_e32 v20, vcc, s0, v20
	v_addc_co_u32_e32 v21, vcc, v21, v26, vcc
	s_waitcnt vmcnt(0)
	v_mul_f64 v[24:25], s[16:17], v[2:3]
	v_mul_f64 v[2:3], s[14:15], v[2:3]
	v_fma_f64 v[24:25], s[14:15], v[0:1], -v[24:25]
	v_fmac_f64_e32 v[2:3], s[16:17], v[0:1]
	v_add_f64 v[0:1], v[6:7], v[24:25]
	v_add_f64 v[2:3], v[22:23], v[2:3]
	global_store_dwordx4 v[4:5], v[0:3], off offset:768
	global_load_dwordx4 v[0:3], v[20:21], off
	v_mul_f64 v[6:7], s[40:41], v[68:69]
	v_mul_f64 v[22:23], s[38:39], v[68:69]
	v_fma_f64 v[6:7], s[38:39], v[66:67], -v[6:7]
	v_fmac_f64_e32 v[22:23], s[40:41], v[66:67]
	v_add_co_u32_e32 v4, vcc, s2, v4
	v_addc_co_u32_e32 v5, vcc, v5, v27, vcc
	s_waitcnt vmcnt(0)
	v_mul_f64 v[24:25], s[16:17], v[2:3]
	v_mul_f64 v[2:3], s[14:15], v[2:3]
	v_fma_f64 v[24:25], s[14:15], v[0:1], -v[24:25]
	v_fmac_f64_e32 v[2:3], s[16:17], v[0:1]
	v_add_f64 v[0:1], v[6:7], v[24:25]
	v_add_f64 v[2:3], v[22:23], v[2:3]
	global_store_dwordx4 v[4:5], v[0:3], off
	global_load_dwordx4 v[0:3], v[20:21], off offset:256
	v_mul_f64 v[6:7], s[40:41], v[62:63]
	v_mul_f64 v[22:23], s[38:39], v[62:63]
	v_fma_f64 v[6:7], s[38:39], v[58:59], -v[6:7]
	v_fmac_f64_e32 v[22:23], s[40:41], v[58:59]
	s_waitcnt vmcnt(0)
	v_mul_f64 v[24:25], s[16:17], v[2:3]
	v_mul_f64 v[2:3], s[14:15], v[2:3]
	v_fma_f64 v[24:25], s[14:15], v[0:1], -v[24:25]
	v_fmac_f64_e32 v[2:3], s[16:17], v[0:1]
	v_add_f64 v[0:1], v[6:7], v[24:25]
	v_add_f64 v[2:3], v[22:23], v[2:3]
	global_store_dwordx4 v[4:5], v[0:3], off offset:256
	global_load_dwordx4 v[0:3], v[20:21], off offset:512
	v_mul_f64 v[6:7], s[40:41], v[50:51]
	v_mul_f64 v[22:23], s[38:39], v[50:51]
	v_fma_f64 v[6:7], s[38:39], v[46:47], -v[6:7]
	v_fmac_f64_e32 v[22:23], s[40:41], v[46:47]
	s_waitcnt vmcnt(0)
	v_mul_f64 v[24:25], s[16:17], v[2:3]
	v_mul_f64 v[2:3], s[14:15], v[2:3]
	v_fma_f64 v[24:25], s[14:15], v[0:1], -v[24:25]
	v_fmac_f64_e32 v[2:3], s[16:17], v[0:1]
	v_add_f64 v[0:1], v[6:7], v[24:25]
	v_add_f64 v[2:3], v[22:23], v[2:3]
	global_store_dwordx4 v[4:5], v[0:3], off offset:512
	global_load_dwordx4 v[0:3], v[20:21], off offset:768
	v_mul_f64 v[6:7], s[40:41], v[42:43]
	v_mul_f64 v[22:23], s[38:39], v[42:43]
	v_fma_f64 v[6:7], s[38:39], v[38:39], -v[6:7]
	v_fmac_f64_e32 v[22:23], s[40:41], v[38:39]
	v_add_co_u32_e32 v20, vcc, s0, v20
	v_addc_co_u32_e32 v21, vcc, v21, v26, vcc
	s_waitcnt vmcnt(0)
	v_mul_f64 v[24:25], s[16:17], v[2:3]
	v_mul_f64 v[2:3], s[14:15], v[2:3]
	v_fma_f64 v[24:25], s[14:15], v[0:1], -v[24:25]
	v_fmac_f64_e32 v[2:3], s[16:17], v[0:1]
	v_add_f64 v[0:1], v[6:7], v[24:25]
	v_add_f64 v[2:3], v[22:23], v[2:3]
	global_store_dwordx4 v[4:5], v[0:3], off offset:768
	global_load_dwordx4 v[0:3], v[20:21], off
	v_add_co_u32_e32 v24, vcc, s2, v4
	v_mul_f64 v[6:7], s[40:41], v[76:77]
	v_mul_f64 v[22:23], s[38:39], v[76:77]
	v_addc_co_u32_e32 v25, vcc, v5, v27, vcc
	v_fma_f64 v[6:7], s[38:39], v[74:75], -v[6:7]
	v_fmac_f64_e32 v[22:23], s[40:41], v[74:75]
	s_waitcnt vmcnt(0)
	v_mul_f64 v[4:5], s[16:17], v[2:3]
	v_mul_f64 v[2:3], s[14:15], v[2:3]
	v_fma_f64 v[4:5], s[14:15], v[0:1], -v[4:5]
	v_fmac_f64_e32 v[2:3], s[16:17], v[0:1]
	v_add_f64 v[0:1], v[6:7], v[4:5]
	v_add_f64 v[2:3], v[22:23], v[2:3]
	global_store_dwordx4 v[24:25], v[0:3], off
	global_load_dwordx4 v[0:3], v[20:21], off offset:256
	v_mul_f64 v[4:5], s[40:41], v[18:19]
	v_mul_f64 v[6:7], s[38:39], v[18:19]
	v_fma_f64 v[4:5], s[38:39], v[16:17], -v[4:5]
	v_fmac_f64_e32 v[6:7], s[40:41], v[16:17]
	s_waitcnt vmcnt(0)
	v_mul_f64 v[16:17], s[16:17], v[2:3]
	v_mul_f64 v[2:3], s[14:15], v[2:3]
	v_fma_f64 v[16:17], s[14:15], v[0:1], -v[16:17]
	v_fmac_f64_e32 v[2:3], s[16:17], v[0:1]
	v_add_f64 v[0:1], v[4:5], v[16:17]
	v_add_f64 v[2:3], v[6:7], v[2:3]
	global_store_dwordx4 v[24:25], v[0:3], off offset:256
	global_load_dwordx4 v[0:3], v[20:21], off offset:512
	v_mul_f64 v[4:5], s[40:41], v[14:15]
	v_mul_f64 v[6:7], s[38:39], v[14:15]
	v_fma_f64 v[4:5], s[38:39], v[12:13], -v[4:5]
	v_fmac_f64_e32 v[6:7], s[40:41], v[12:13]
	s_waitcnt vmcnt(0)
	v_mul_f64 v[12:13], s[16:17], v[2:3]
	v_mul_f64 v[2:3], s[14:15], v[2:3]
	v_fma_f64 v[12:13], s[14:15], v[0:1], -v[12:13]
	v_fmac_f64_e32 v[2:3], s[16:17], v[0:1]
	v_add_f64 v[0:1], v[4:5], v[12:13]
	v_add_f64 v[2:3], v[6:7], v[2:3]
	global_store_dwordx4 v[24:25], v[0:3], off offset:512
	global_load_dwordx4 v[4:7], v[20:21], off offset:768
	v_mul_f64 v[0:1], s[40:41], v[8:9]
	v_mul_f64 v[8:9], s[38:39], v[8:9]
	v_fma_f64 v[0:1], s[38:39], v[10:11], -v[0:1]
	v_fmac_f64_e32 v[8:9], s[40:41], v[10:11]
	v_add_co_u32_e32 v2, vcc, 0x300, v24
	v_addc_co_u32_e32 v3, vcc, 0, v25, vcc
	s_waitcnt vmcnt(0)
	v_mul_f64 v[10:11], s[16:17], v[6:7]
	v_mul_f64 v[6:7], s[14:15], v[6:7]
	v_fma_f64 v[10:11], s[14:15], v[4:5], -v[10:11]
	v_fmac_f64_e32 v[6:7], s[16:17], v[4:5]
	v_add_f64 v[0:1], v[0:1], v[10:11]
	v_add_f64 v[4:5], v[8:9], v[6:7]
	global_store_dwordx2 v[24:25], v[0:1], off offset:768
.LBB263_8:
	global_store_dwordx2 v[2:3], v[4:5], off offset:8
	s_endpgm
	.section	.rodata,"a",@progbits
	.p2align	6, 0x0
	.amdhsa_kernel _ZN12_GLOBAL__N_127rocblas_gemm_batched_kernelI19rocblas_complex_numIdELi16ELi16ELi64ELi64ELi4ELi64ELi4ELi4ELi64ELc78ELc78EKPKS2_S5_KPS2_EEvlllT_PT11_llSA_llS8_PT12_llPT13_lli
		.amdhsa_group_segment_fixed_size 8192
		.amdhsa_private_segment_fixed_size 0
		.amdhsa_kernarg_size 156
		.amdhsa_user_sgpr_count 6
		.amdhsa_user_sgpr_private_segment_buffer 1
		.amdhsa_user_sgpr_dispatch_ptr 0
		.amdhsa_user_sgpr_queue_ptr 0
		.amdhsa_user_sgpr_kernarg_segment_ptr 1
		.amdhsa_user_sgpr_dispatch_id 0
		.amdhsa_user_sgpr_flat_scratch_init 0
		.amdhsa_user_sgpr_kernarg_preload_length 0
		.amdhsa_user_sgpr_kernarg_preload_offset 0
		.amdhsa_user_sgpr_private_segment_size 0
		.amdhsa_uses_dynamic_stack 0
		.amdhsa_system_sgpr_private_segment_wavefront_offset 0
		.amdhsa_system_sgpr_workgroup_id_x 1
		.amdhsa_system_sgpr_workgroup_id_y 1
		.amdhsa_system_sgpr_workgroup_id_z 1
		.amdhsa_system_sgpr_workgroup_info 0
		.amdhsa_system_vgpr_workitem_id 1
		.amdhsa_next_free_vgpr 138
		.amdhsa_next_free_sgpr 52
		.amdhsa_accum_offset 140
		.amdhsa_reserve_vcc 1
		.amdhsa_reserve_flat_scratch 0
		.amdhsa_float_round_mode_32 0
		.amdhsa_float_round_mode_16_64 0
		.amdhsa_float_denorm_mode_32 3
		.amdhsa_float_denorm_mode_16_64 3
		.amdhsa_dx10_clamp 1
		.amdhsa_ieee_mode 1
		.amdhsa_fp16_overflow 0
		.amdhsa_tg_split 0
		.amdhsa_exception_fp_ieee_invalid_op 0
		.amdhsa_exception_fp_denorm_src 0
		.amdhsa_exception_fp_ieee_div_zero 0
		.amdhsa_exception_fp_ieee_overflow 0
		.amdhsa_exception_fp_ieee_underflow 0
		.amdhsa_exception_fp_ieee_inexact 0
		.amdhsa_exception_int_div_zero 0
	.end_amdhsa_kernel
	.section	.text._ZN12_GLOBAL__N_127rocblas_gemm_batched_kernelI19rocblas_complex_numIdELi16ELi16ELi64ELi64ELi4ELi64ELi4ELi4ELi64ELc78ELc78EKPKS2_S5_KPS2_EEvlllT_PT11_llSA_llS8_PT12_llPT13_lli,"axG",@progbits,_ZN12_GLOBAL__N_127rocblas_gemm_batched_kernelI19rocblas_complex_numIdELi16ELi16ELi64ELi64ELi4ELi64ELi4ELi4ELi64ELc78ELc78EKPKS2_S5_KPS2_EEvlllT_PT11_llSA_llS8_PT12_llPT13_lli,comdat
.Lfunc_end263:
	.size	_ZN12_GLOBAL__N_127rocblas_gemm_batched_kernelI19rocblas_complex_numIdELi16ELi16ELi64ELi64ELi4ELi64ELi4ELi4ELi64ELc78ELc78EKPKS2_S5_KPS2_EEvlllT_PT11_llSA_llS8_PT12_llPT13_lli, .Lfunc_end263-_ZN12_GLOBAL__N_127rocblas_gemm_batched_kernelI19rocblas_complex_numIdELi16ELi16ELi64ELi64ELi4ELi64ELi4ELi4ELi64ELc78ELc78EKPKS2_S5_KPS2_EEvlllT_PT11_llSA_llS8_PT12_llPT13_lli
                                        ; -- End function
	.section	.AMDGPU.csdata,"",@progbits
; Kernel info:
; codeLenInByte = 6716
; NumSgprs: 56
; NumVgprs: 138
; NumAgprs: 0
; TotalNumVgprs: 138
; ScratchSize: 0
; MemoryBound: 0
; FloatMode: 240
; IeeeMode: 1
; LDSByteSize: 8192 bytes/workgroup (compile time only)
; SGPRBlocks: 6
; VGPRBlocks: 17
; NumSGPRsForWavesPerEU: 56
; NumVGPRsForWavesPerEU: 138
; AccumOffset: 140
; Occupancy: 3
; WaveLimiterHint : 1
; COMPUTE_PGM_RSRC2:SCRATCH_EN: 0
; COMPUTE_PGM_RSRC2:USER_SGPR: 6
; COMPUTE_PGM_RSRC2:TRAP_HANDLER: 0
; COMPUTE_PGM_RSRC2:TGID_X_EN: 1
; COMPUTE_PGM_RSRC2:TGID_Y_EN: 1
; COMPUTE_PGM_RSRC2:TGID_Z_EN: 1
; COMPUTE_PGM_RSRC2:TIDIG_COMP_CNT: 1
; COMPUTE_PGM_RSRC3_GFX90A:ACCUM_OFFSET: 34
; COMPUTE_PGM_RSRC3_GFX90A:TG_SPLIT: 0
	.section	.text._ZN12_GLOBAL__N_127rocblas_gemm_batched_kernelI19rocblas_complex_numIdELi16ELi16ELi64ELi64ELi4ELi64ELi4ELi4ELi64ELc84ELc78EKPKS2_S5_KPS2_EEvlllT_PT11_llSA_llS8_PT12_llPT13_lli,"axG",@progbits,_ZN12_GLOBAL__N_127rocblas_gemm_batched_kernelI19rocblas_complex_numIdELi16ELi16ELi64ELi64ELi4ELi64ELi4ELi4ELi64ELc84ELc78EKPKS2_S5_KPS2_EEvlllT_PT11_llSA_llS8_PT12_llPT13_lli,comdat
	.globl	_ZN12_GLOBAL__N_127rocblas_gemm_batched_kernelI19rocblas_complex_numIdELi16ELi16ELi64ELi64ELi4ELi64ELi4ELi4ELi64ELc84ELc78EKPKS2_S5_KPS2_EEvlllT_PT11_llSA_llS8_PT12_llPT13_lli ; -- Begin function _ZN12_GLOBAL__N_127rocblas_gemm_batched_kernelI19rocblas_complex_numIdELi16ELi16ELi64ELi64ELi4ELi64ELi4ELi4ELi64ELc84ELc78EKPKS2_S5_KPS2_EEvlllT_PT11_llSA_llS8_PT12_llPT13_lli
	.p2align	8
	.type	_ZN12_GLOBAL__N_127rocblas_gemm_batched_kernelI19rocblas_complex_numIdELi16ELi16ELi64ELi64ELi4ELi64ELi4ELi4ELi64ELc84ELc78EKPKS2_S5_KPS2_EEvlllT_PT11_llSA_llS8_PT12_llPT13_lli,@function
_ZN12_GLOBAL__N_127rocblas_gemm_batched_kernelI19rocblas_complex_numIdELi16ELi16ELi64ELi64ELi4ELi64ELi4ELi4ELi64ELc84ELc78EKPKS2_S5_KPS2_EEvlllT_PT11_llSA_llS8_PT12_llPT13_lli: ; @_ZN12_GLOBAL__N_127rocblas_gemm_batched_kernelI19rocblas_complex_numIdELi16ELi16ELi64ELi64ELi4ELi64ELi4ELi4ELi64ELc84ELc78EKPKS2_S5_KPS2_EEvlllT_PT11_llSA_llS8_PT12_llPT13_lli
; %bb.0:
	s_load_dwordx16 s[36:51], s[4:5], 0x10
	s_load_dwordx16 s[12:27], s[4:5], 0x50
	s_mov_b32 s9, 0
	s_lshl_b64 s[28:29], s[8:9], 3
	s_mov_b32 s10, s7
	v_bfe_u32 v107, v0, 10, 10
	s_waitcnt lgkmcnt(0)
	s_add_u32 s0, s18, s28
	s_addc_u32 s1, s19, s29
	s_add_u32 s2, s24, s28
	s_addc_u32 s3, s25, s29
	s_load_dwordx2 s[0:1], s[0:1], 0x0
	s_ashr_i32 s7, s6, 31
	s_load_dwordx2 s[8:9], s[2:3], 0x0
	s_ashr_i32 s11, s10, 31
	v_cmp_lt_i64_e64 s[18:19], s[36:37], 1
	v_and_b32_e32 v106, 0x3ff, v0
	s_lshl_b64 s[2:3], s[6:7], 6
	s_lshl_b64 s[6:7], s[10:11], 6
	s_mov_b64 s[10:11], 0
	s_and_b64 vcc, exec, s[18:19]
	s_cbranch_vccnz .LBB264_3
; %bb.1:
	v_lshl_add_u32 v0, v107, 4, v106
	v_and_b32_e32 v4, 3, v106
	v_and_b32_e32 v5, 63, v0
	v_lshrrev_b32_e32 v1, 2, v0
	v_lshrrev_b32_e32 v6, 6, v0
	v_lshlrev_b32_e32 v0, 4, v5
	v_lshlrev_b32_e32 v4, 4, v4
	v_mov_b32_e32 v2, s7
	v_add_co_u32_e32 v3, vcc, s6, v1
	v_lshl_or_b32 v108, v6, 10, v0
	v_lshl_or_b32 v0, v1, 6, v4
	s_add_u32 s18, s42, s28
	v_addc_co_u32_e32 v2, vcc, 0, v2, vcc
	v_add_u32_e32 v109, 0x1000, v0
	v_mov_b32_e32 v0, 0x1000
	s_addc_u32 s19, s43, s29
	v_lshl_add_u32 v111, v107, 6, v0
	v_mov_b32_e32 v0, s3
	v_add_co_u32_e32 v1, vcc, s2, v5
	s_add_u32 s24, s48, s28
	v_addc_co_u32_e32 v0, vcc, 0, v0, vcc
	s_addc_u32 s25, s49, s29
	v_mul_lo_u32 v5, s45, v1
	v_mul_lo_u32 v7, s44, v0
	v_mad_u64_u32 v[0:1], s[28:29], s44, v1, 0
	v_add3_u32 v1, v1, v7, v5
	s_load_dwordx2 s[18:19], s[18:19], 0x0
	v_lshlrev_b64 v[0:1], 4, v[0:1]
	s_lshl_b64 s[28:29], s[46:47], 4
	v_mov_b32_e32 v5, s29
	v_add_co_u32_e32 v0, vcc, s28, v0
	v_addc_co_u32_e32 v1, vcc, v1, v5, vcc
	v_lshlrev_b32_e32 v5, 4, v6
	v_add_co_u32_e32 v0, vcc, v0, v5
	v_addc_co_u32_e32 v1, vcc, 0, v1, vcc
	s_waitcnt lgkmcnt(0)
	v_mov_b32_e32 v5, s19
	v_add_co_u32_e32 v24, vcc, s18, v0
	v_addc_co_u32_e32 v25, vcc, v5, v1, vcc
	v_mul_lo_u32 v5, s51, v3
	v_mul_lo_u32 v2, s50, v2
	v_mad_u64_u32 v[0:1], s[18:19], s50, v3, 0
	v_add3_u32 v1, v1, v2, v5
	s_load_dwordx2 s[24:25], s[24:25], 0x0
	v_lshlrev_b64 v[0:1], 4, v[0:1]
	s_lshl_b64 s[12:13], s[12:13], 4
	v_mov_b32_e32 v2, s13
	v_add_co_u32_e32 v0, vcc, s12, v0
	v_addc_co_u32_e32 v1, vcc, v1, v2, vcc
	v_add_co_u32_e32 v0, vcc, v0, v4
	v_addc_co_u32_e32 v1, vcc, 0, v1, vcc
	s_waitcnt lgkmcnt(0)
	v_mov_b32_e32 v2, s25
	v_add_co_u32_e32 v26, vcc, s24, v0
	v_lshlrev_b32_e32 v110, 4, v106
	v_addc_co_u32_e32 v27, vcc, v2, v1, vcc
	v_pk_mov_b32 v[8:9], 0, 0
	v_pk_mov_b32 v[28:29], s[36:37], s[36:37] op_sel:[0,1]
	v_pk_mov_b32 v[10:11], 0, 0
	v_pk_mov_b32 v[14:15], 0, 0
	;; [unrolled: 1-line block ×31, first 2 shown]
.LBB264_2:                              ; =>This Inner Loop Header: Depth=1
	global_load_dwordx4 v[0:3], v[24:25], off
	v_add_co_u32_e32 v24, vcc, 64, v24
	v_addc_co_u32_e32 v25, vcc, 0, v25, vcc
	s_add_u32 s10, s10, 4
	s_addc_u32 s11, s11, 0
	s_waitcnt vmcnt(0)
	ds_write2_b64 v108, v[0:1], v[2:3] offset1:1
	global_load_dwordx4 v[0:3], v[26:27], off
	v_add_co_u32_e32 v26, vcc, 64, v26
	v_addc_co_u32_e32 v27, vcc, 0, v27, vcc
	v_cmp_lt_i64_e32 vcc, s[10:11], v[28:29]
	s_and_b64 vcc, exec, vcc
	s_waitcnt vmcnt(0)
	ds_write2_b64 v109, v[0:1], v[2:3] offset1:1
	s_waitcnt lgkmcnt(0)
	s_barrier
	ds_read_b128 v[78:81], v111
	ds_read_b128 v[112:115], v111 offset:16
	ds_read_b128 v[4:7], v111 offset:32
	;; [unrolled: 1-line block ×3, first 2 shown]
	ds_read_b128 v[116:119], v110
	s_waitcnt lgkmcnt(0)
	v_mul_f64 v[82:83], v[80:81], v[118:119]
	v_mul_f64 v[84:85], v[78:79], v[118:119]
	v_fma_f64 v[82:83], v[78:79], v[116:117], -v[82:83]
	v_fmac_f64_e32 v[84:85], v[80:81], v[116:117]
	v_add_f64 v[120:121], v[54:55], v[82:83]
	v_add_f64 v[122:123], v[56:57], v[84:85]
	ds_read_b128 v[54:57], v110 offset:256
	s_waitcnt lgkmcnt(0)
	v_mul_f64 v[82:83], v[80:81], v[56:57]
	v_mul_f64 v[84:85], v[78:79], v[56:57]
	v_fma_f64 v[82:83], v[78:79], v[54:55], -v[82:83]
	v_fmac_f64_e32 v[84:85], v[80:81], v[54:55]
	v_add_f64 v[124:125], v[34:35], v[82:83]
	v_add_f64 v[126:127], v[36:37], v[84:85]
	ds_read_b128 v[34:37], v110 offset:512
	;; [unrolled: 8-line block ×3, first 2 shown]
	s_waitcnt lgkmcnt(0)
	v_mul_f64 v[82:83], v[80:81], v[32:33]
	v_fma_f64 v[82:83], v[78:79], v[30:31], -v[82:83]
	v_mul_f64 v[78:79], v[78:79], v[32:33]
	v_fmac_f64_e32 v[78:79], v[80:81], v[30:31]
	v_add_f64 v[132:133], v[20:21], v[82:83]
	v_add_f64 v[134:135], v[22:23], v[78:79]
	ds_read_b128 v[20:23], v111 offset:1024
	s_waitcnt lgkmcnt(0)
	v_mul_f64 v[78:79], v[22:23], v[118:119]
	v_fma_f64 v[78:79], v[20:21], v[116:117], -v[78:79]
	v_add_f64 v[70:71], v[70:71], v[78:79]
	v_mul_f64 v[78:79], v[22:23], v[56:57]
	v_mul_f64 v[80:81], v[20:21], v[118:119]
	v_fma_f64 v[78:79], v[20:21], v[54:55], -v[78:79]
	v_fmac_f64_e32 v[80:81], v[22:23], v[116:117]
	v_add_f64 v[94:95], v[60:61], v[78:79]
	v_mul_f64 v[60:61], v[22:23], v[36:37]
	v_add_f64 v[72:73], v[72:73], v[80:81]
	v_mul_f64 v[80:81], v[20:21], v[56:57]
	v_fma_f64 v[60:61], v[20:21], v[34:35], -v[60:61]
	v_fmac_f64_e32 v[80:81], v[22:23], v[54:55]
	v_add_f64 v[98:99], v[48:49], v[60:61]
	v_mul_f64 v[48:49], v[22:23], v[32:33]
	v_add_f64 v[96:97], v[64:65], v[80:81]
	v_mul_f64 v[64:65], v[20:21], v[36:37]
	v_fma_f64 v[48:49], v[20:21], v[30:31], -v[48:49]
	v_mul_f64 v[20:21], v[20:21], v[32:33]
	v_fmac_f64_e32 v[20:21], v[22:23], v[30:31]
	v_fmac_f64_e32 v[64:65], v[22:23], v[34:35]
	v_add_f64 v[104:105], v[44:45], v[20:21]
	ds_read_b128 v[20:23], v111 offset:2048
	v_add_f64 v[102:103], v[40:41], v[48:49]
	v_add_f64 v[100:101], v[52:53], v[64:65]
	s_waitcnt lgkmcnt(0)
	v_mul_f64 v[40:41], v[22:23], v[118:119]
	v_fma_f64 v[40:41], v[20:21], v[116:117], -v[40:41]
	v_add_f64 v[78:79], v[66:67], v[40:41]
	v_mul_f64 v[40:41], v[22:23], v[56:57]
	v_mul_f64 v[44:45], v[20:21], v[118:119]
	v_fma_f64 v[40:41], v[20:21], v[54:55], -v[40:41]
	v_fmac_f64_e32 v[44:45], v[22:23], v[116:117]
	v_add_f64 v[82:83], v[58:59], v[40:41]
	v_mul_f64 v[40:41], v[22:23], v[36:37]
	v_add_f64 v[80:81], v[68:69], v[44:45]
	v_mul_f64 v[44:45], v[20:21], v[56:57]
	v_fma_f64 v[40:41], v[20:21], v[34:35], -v[40:41]
	v_fmac_f64_e32 v[44:45], v[22:23], v[54:55]
	v_add_f64 v[86:87], v[46:47], v[40:41]
	v_mul_f64 v[40:41], v[22:23], v[32:33]
	v_add_f64 v[84:85], v[62:63], v[44:45]
	v_mul_f64 v[44:45], v[20:21], v[36:37]
	v_fma_f64 v[40:41], v[20:21], v[30:31], -v[40:41]
	v_mul_f64 v[20:21], v[20:21], v[32:33]
	v_fmac_f64_e32 v[20:21], v[22:23], v[30:31]
	v_fmac_f64_e32 v[44:45], v[22:23], v[34:35]
	v_add_f64 v[92:93], v[42:43], v[20:21]
	ds_read_b128 v[20:23], v111 offset:3072
	v_add_f64 v[90:91], v[38:39], v[40:41]
	v_add_f64 v[88:89], v[50:51], v[44:45]
	s_waitcnt lgkmcnt(0)
	v_mul_f64 v[38:39], v[22:23], v[118:119]
	v_mul_f64 v[40:41], v[20:21], v[118:119]
	v_fma_f64 v[38:39], v[20:21], v[116:117], -v[38:39]
	v_fmac_f64_e32 v[40:41], v[22:23], v[116:117]
	v_add_f64 v[58:59], v[74:75], v[38:39]
	v_add_f64 v[60:61], v[76:77], v[40:41]
	v_mul_f64 v[38:39], v[22:23], v[56:57]
	v_mul_f64 v[40:41], v[20:21], v[56:57]
	v_fma_f64 v[38:39], v[20:21], v[54:55], -v[38:39]
	v_fmac_f64_e32 v[40:41], v[22:23], v[54:55]
	v_add_f64 v[54:55], v[16:17], v[38:39]
	v_add_f64 v[56:57], v[18:19], v[40:41]
	;; [unrolled: 6-line block ×3, first 2 shown]
	v_mul_f64 v[12:13], v[22:23], v[32:33]
	v_mul_f64 v[14:15], v[20:21], v[32:33]
	v_fma_f64 v[12:13], v[20:21], v[30:31], -v[12:13]
	v_fmac_f64_e32 v[14:15], v[22:23], v[30:31]
	ds_read_b128 v[20:23], v110 offset:1024
	ds_read_b128 v[16:19], v110 offset:1280
	v_add_f64 v[46:47], v[10:11], v[12:13]
	v_add_f64 v[48:49], v[8:9], v[14:15]
	ds_read_b128 v[12:15], v110 offset:1536
	ds_read_b128 v[74:77], v111 offset:1040
	s_waitcnt lgkmcnt(3)
	v_mul_f64 v[8:9], v[114:115], v[22:23]
	v_mul_f64 v[10:11], v[112:113], v[22:23]
	v_fma_f64 v[8:9], v[112:113], v[20:21], -v[8:9]
	v_fmac_f64_e32 v[10:11], v[114:115], v[20:21]
	v_add_f64 v[42:43], v[120:121], v[8:9]
	v_add_f64 v[44:45], v[122:123], v[10:11]
	s_waitcnt lgkmcnt(2)
	v_mul_f64 v[8:9], v[114:115], v[18:19]
	v_mul_f64 v[10:11], v[112:113], v[18:19]
	v_fma_f64 v[8:9], v[112:113], v[16:17], -v[8:9]
	v_fmac_f64_e32 v[10:11], v[114:115], v[16:17]
	v_add_f64 v[38:39], v[124:125], v[8:9]
	v_add_f64 v[40:41], v[126:127], v[10:11]
	;; [unrolled: 7-line block ×3, first 2 shown]
	ds_read_b128 v[8:11], v110 offset:1792
	s_waitcnt lgkmcnt(1)
	v_mul_f64 v[66:67], v[76:77], v[18:19]
	v_mul_f64 v[68:69], v[74:75], v[18:19]
	;; [unrolled: 1-line block ×4, first 2 shown]
	v_fma_f64 v[66:67], v[74:75], v[16:17], -v[66:67]
	v_fmac_f64_e32 v[68:69], v[76:77], v[16:17]
	v_fma_f64 v[62:63], v[74:75], v[20:21], -v[62:63]
	v_fmac_f64_e32 v[64:65], v[76:77], v[20:21]
	v_add_f64 v[66:67], v[94:95], v[66:67]
	v_add_f64 v[68:69], v[96:97], v[68:69]
	s_waitcnt lgkmcnt(0)
	v_mul_f64 v[94:95], v[76:77], v[10:11]
	v_mul_f64 v[96:97], v[74:75], v[10:11]
	v_add_f64 v[62:63], v[70:71], v[62:63]
	v_add_f64 v[64:65], v[72:73], v[64:65]
	v_mul_f64 v[70:71], v[76:77], v[14:15]
	v_mul_f64 v[72:73], v[74:75], v[14:15]
	v_fma_f64 v[94:95], v[74:75], v[8:9], -v[94:95]
	v_fmac_f64_e32 v[96:97], v[76:77], v[8:9]
	v_fma_f64 v[70:71], v[74:75], v[12:13], -v[70:71]
	v_fmac_f64_e32 v[72:73], v[76:77], v[12:13]
	v_add_f64 v[74:75], v[102:103], v[94:95]
	v_add_f64 v[76:77], v[104:105], v[96:97]
	ds_read_b128 v[94:97], v111 offset:2064
	v_add_f64 v[70:71], v[98:99], v[70:71]
	v_add_f64 v[72:73], v[100:101], v[72:73]
	v_mul_f64 v[30:31], v[114:115], v[10:11]
	v_mul_f64 v[32:33], v[112:113], v[10:11]
	s_waitcnt lgkmcnt(0)
	v_mul_f64 v[98:99], v[96:97], v[22:23]
	v_mul_f64 v[100:101], v[94:95], v[22:23]
	v_fma_f64 v[98:99], v[94:95], v[20:21], -v[98:99]
	v_fmac_f64_e32 v[100:101], v[96:97], v[20:21]
	v_add_f64 v[78:79], v[78:79], v[98:99]
	v_add_f64 v[80:81], v[80:81], v[100:101]
	v_mul_f64 v[98:99], v[96:97], v[18:19]
	v_mul_f64 v[100:101], v[94:95], v[18:19]
	v_fma_f64 v[98:99], v[94:95], v[16:17], -v[98:99]
	v_fmac_f64_e32 v[100:101], v[96:97], v[16:17]
	v_add_f64 v[82:83], v[82:83], v[98:99]
	v_add_f64 v[84:85], v[84:85], v[100:101]
	;; [unrolled: 6-line block ×4, first 2 shown]
	ds_read_b128 v[90:93], v111 offset:3088
	v_fma_f64 v[30:31], v[112:113], v[8:9], -v[30:31]
	v_fmac_f64_e32 v[32:33], v[114:115], v[8:9]
	v_add_f64 v[32:33], v[134:135], v[32:33]
	v_add_f64 v[30:31], v[132:133], v[30:31]
	s_waitcnt lgkmcnt(0)
	v_mul_f64 v[98:99], v[92:93], v[22:23]
	v_mul_f64 v[22:23], v[90:91], v[22:23]
	v_fma_f64 v[98:99], v[90:91], v[20:21], -v[98:99]
	v_fmac_f64_e32 v[22:23], v[92:93], v[20:21]
	v_mul_f64 v[20:21], v[92:93], v[18:19]
	v_mul_f64 v[18:19], v[90:91], v[18:19]
	v_fma_f64 v[20:21], v[90:91], v[16:17], -v[20:21]
	v_fmac_f64_e32 v[18:19], v[92:93], v[16:17]
	;; [unrolled: 4-line block ×3, first 2 shown]
	v_mul_f64 v[12:13], v[92:93], v[10:11]
	v_mul_f64 v[10:11], v[90:91], v[10:11]
	v_fmac_f64_e32 v[10:11], v[92:93], v[8:9]
	v_fma_f64 v[12:13], v[90:91], v[8:9], -v[12:13]
	v_add_f64 v[112:113], v[48:49], v[10:11]
	ds_read_b128 v[8:11], v110 offset:2048
	v_add_f64 v[102:103], v[52:53], v[14:15]
	v_add_f64 v[104:105], v[46:47], v[12:13]
	v_add_f64 v[56:57], v[56:57], v[18:19]
	v_add_f64 v[100:101], v[50:51], v[16:17]
	s_waitcnt lgkmcnt(0)
	v_mul_f64 v[12:13], v[6:7], v[10:11]
	v_mul_f64 v[14:15], v[4:5], v[10:11]
	v_fma_f64 v[12:13], v[4:5], v[8:9], -v[12:13]
	v_fmac_f64_e32 v[14:15], v[6:7], v[8:9]
	v_add_f64 v[114:115], v[42:43], v[12:13]
	v_add_f64 v[116:117], v[44:45], v[14:15]
	ds_read_b128 v[12:15], v110 offset:2304
	v_add_f64 v[60:61], v[60:61], v[22:23]
	v_add_f64 v[54:55], v[54:55], v[20:21]
	;; [unrolled: 1-line block ×3, first 2 shown]
	s_waitcnt lgkmcnt(0)
	v_mul_f64 v[16:17], v[6:7], v[14:15]
	v_mul_f64 v[18:19], v[4:5], v[14:15]
	v_fma_f64 v[16:17], v[4:5], v[12:13], -v[16:17]
	v_fmac_f64_e32 v[18:19], v[6:7], v[12:13]
	v_add_f64 v[118:119], v[38:39], v[16:17]
	v_add_f64 v[120:121], v[40:41], v[18:19]
	ds_read_b128 v[16:19], v110 offset:2560
	s_waitcnt lgkmcnt(0)
	v_mul_f64 v[20:21], v[6:7], v[18:19]
	v_mul_f64 v[22:23], v[4:5], v[18:19]
	v_fma_f64 v[20:21], v[4:5], v[16:17], -v[20:21]
	v_fmac_f64_e32 v[22:23], v[6:7], v[16:17]
	v_add_f64 v[122:123], v[34:35], v[20:21]
	v_add_f64 v[124:125], v[36:37], v[22:23]
	ds_read_b128 v[20:23], v110 offset:2816
	s_waitcnt lgkmcnt(0)
	v_mul_f64 v[34:35], v[6:7], v[22:23]
	v_fma_f64 v[34:35], v[4:5], v[20:21], -v[34:35]
	v_mul_f64 v[4:5], v[4:5], v[22:23]
	v_fmac_f64_e32 v[4:5], v[6:7], v[20:21]
	v_add_f64 v[128:129], v[32:33], v[4:5]
	ds_read_b128 v[4:7], v111 offset:1056
	v_add_f64 v[126:127], v[30:31], v[34:35]
	s_waitcnt lgkmcnt(0)
	v_mul_f64 v[30:31], v[6:7], v[10:11]
	v_fma_f64 v[30:31], v[4:5], v[8:9], -v[30:31]
	v_add_f64 v[40:41], v[62:63], v[30:31]
	v_mul_f64 v[30:31], v[6:7], v[14:15]
	v_mul_f64 v[32:33], v[4:5], v[10:11]
	v_fma_f64 v[30:31], v[4:5], v[12:13], -v[30:31]
	v_fmac_f64_e32 v[32:33], v[6:7], v[8:9]
	v_add_f64 v[48:49], v[66:67], v[30:31]
	v_mul_f64 v[30:31], v[6:7], v[18:19]
	v_add_f64 v[44:45], v[64:65], v[32:33]
	v_mul_f64 v[32:33], v[4:5], v[14:15]
	v_fma_f64 v[30:31], v[4:5], v[16:17], -v[30:31]
	v_fmac_f64_e32 v[32:33], v[6:7], v[12:13]
	v_add_f64 v[58:59], v[70:71], v[30:31]
	v_mul_f64 v[30:31], v[6:7], v[22:23]
	v_add_f64 v[52:53], v[68:69], v[32:33]
	v_mul_f64 v[32:33], v[4:5], v[18:19]
	v_fma_f64 v[30:31], v[4:5], v[20:21], -v[30:31]
	v_mul_f64 v[4:5], v[4:5], v[22:23]
	v_fmac_f64_e32 v[4:5], v[6:7], v[20:21]
	v_fmac_f64_e32 v[32:33], v[6:7], v[16:17]
	v_add_f64 v[68:69], v[76:77], v[4:5]
	ds_read_b128 v[4:7], v111 offset:2080
	v_add_f64 v[66:67], v[74:75], v[30:31]
	v_add_f64 v[62:63], v[72:73], v[32:33]
	s_waitcnt lgkmcnt(0)
	v_mul_f64 v[30:31], v[6:7], v[10:11]
	v_fma_f64 v[30:31], v[4:5], v[8:9], -v[30:31]
	v_add_f64 v[38:39], v[78:79], v[30:31]
	v_mul_f64 v[30:31], v[6:7], v[14:15]
	v_mul_f64 v[32:33], v[4:5], v[10:11]
	v_fma_f64 v[30:31], v[4:5], v[12:13], -v[30:31]
	v_fmac_f64_e32 v[32:33], v[6:7], v[8:9]
	v_add_f64 v[46:47], v[82:83], v[30:31]
	v_mul_f64 v[30:31], v[6:7], v[18:19]
	v_add_f64 v[42:43], v[80:81], v[32:33]
	v_mul_f64 v[32:33], v[4:5], v[14:15]
	v_fma_f64 v[30:31], v[4:5], v[16:17], -v[30:31]
	v_fmac_f64_e32 v[32:33], v[6:7], v[12:13]
	v_add_f64 v[90:91], v[86:87], v[30:31]
	v_mul_f64 v[30:31], v[6:7], v[22:23]
	v_add_f64 v[50:51], v[84:85], v[32:33]
	v_mul_f64 v[32:33], v[4:5], v[18:19]
	v_fma_f64 v[30:31], v[4:5], v[20:21], -v[30:31]
	v_mul_f64 v[4:5], v[4:5], v[22:23]
	v_fmac_f64_e32 v[4:5], v[6:7], v[20:21]
	v_fmac_f64_e32 v[32:33], v[6:7], v[16:17]
	v_add_f64 v[96:97], v[96:97], v[4:5]
	ds_read_b128 v[4:7], v111 offset:3104
	v_add_f64 v[94:95], v[94:95], v[30:31]
	v_add_f64 v[92:93], v[88:89], v[32:33]
	s_waitcnt lgkmcnt(0)
	v_mul_f64 v[30:31], v[6:7], v[10:11]
	v_mul_f64 v[10:11], v[4:5], v[10:11]
	v_fmac_f64_e32 v[10:11], v[6:7], v[8:9]
	v_fma_f64 v[30:31], v[4:5], v[8:9], -v[30:31]
	v_add_f64 v[76:77], v[60:61], v[10:11]
	v_mul_f64 v[8:9], v[6:7], v[14:15]
	v_mul_f64 v[10:11], v[4:5], v[14:15]
	v_fma_f64 v[8:9], v[4:5], v[12:13], -v[8:9]
	v_fmac_f64_e32 v[10:11], v[6:7], v[12:13]
	v_add_f64 v[86:87], v[54:55], v[8:9]
	v_add_f64 v[88:89], v[56:57], v[10:11]
	v_mul_f64 v[8:9], v[6:7], v[18:19]
	v_mul_f64 v[10:11], v[4:5], v[18:19]
	v_fma_f64 v[8:9], v[4:5], v[16:17], -v[8:9]
	v_fmac_f64_e32 v[10:11], v[6:7], v[16:17]
	ds_read_b128 v[16:19], v110 offset:3072
	ds_read_b128 v[12:15], v110 offset:3328
	v_add_f64 v[82:83], v[100:101], v[8:9]
	v_mul_f64 v[8:9], v[6:7], v[22:23]
	v_fma_f64 v[8:9], v[4:5], v[20:21], -v[8:9]
	v_mul_f64 v[4:5], v[4:5], v[22:23]
	v_add_f64 v[84:85], v[102:103], v[10:11]
	v_fmac_f64_e32 v[4:5], v[6:7], v[20:21]
	v_add_f64 v[78:79], v[104:105], v[8:9]
	ds_read_b128 v[8:11], v110 offset:3584
	v_add_f64 v[80:81], v[112:113], v[4:5]
	s_waitcnt lgkmcnt(2)
	v_mul_f64 v[4:5], v[2:3], v[18:19]
	v_mul_f64 v[6:7], v[0:1], v[18:19]
	v_fma_f64 v[4:5], v[0:1], v[16:17], -v[4:5]
	v_fmac_f64_e32 v[6:7], v[2:3], v[16:17]
	v_add_f64 v[54:55], v[114:115], v[4:5]
	v_add_f64 v[56:57], v[116:117], v[6:7]
	s_waitcnt lgkmcnt(1)
	v_mul_f64 v[4:5], v[2:3], v[14:15]
	v_mul_f64 v[6:7], v[0:1], v[14:15]
	v_fma_f64 v[4:5], v[0:1], v[12:13], -v[4:5]
	v_fmac_f64_e32 v[6:7], v[2:3], v[12:13]
	v_add_f64 v[34:35], v[118:119], v[4:5]
	;; [unrolled: 7-line block ×3, first 2 shown]
	v_add_f64 v[30:31], v[122:123], v[4:5]
	v_add_f64 v[32:33], v[124:125], v[6:7]
	ds_read_b128 v[4:7], v110 offset:3840
	s_waitcnt lgkmcnt(0)
	v_mul_f64 v[20:21], v[2:3], v[6:7]
	v_fma_f64 v[20:21], v[0:1], v[4:5], -v[20:21]
	v_mul_f64 v[0:1], v[0:1], v[6:7]
	v_fmac_f64_e32 v[0:1], v[2:3], v[4:5]
	v_add_f64 v[22:23], v[128:129], v[0:1]
	ds_read_b128 v[0:3], v111 offset:1072
	v_add_f64 v[20:21], v[126:127], v[20:21]
	s_waitcnt lgkmcnt(0)
	v_mul_f64 v[60:61], v[2:3], v[18:19]
	v_fma_f64 v[60:61], v[0:1], v[16:17], -v[60:61]
	v_add_f64 v[70:71], v[40:41], v[60:61]
	v_mul_f64 v[40:41], v[2:3], v[14:15]
	v_mul_f64 v[64:65], v[0:1], v[18:19]
	v_fma_f64 v[40:41], v[0:1], v[12:13], -v[40:41]
	v_fmac_f64_e32 v[64:65], v[2:3], v[16:17]
	v_add_f64 v[60:61], v[48:49], v[40:41]
	v_mul_f64 v[40:41], v[2:3], v[10:11]
	v_add_f64 v[72:73], v[44:45], v[64:65]
	v_mul_f64 v[44:45], v[0:1], v[14:15]
	v_fma_f64 v[40:41], v[0:1], v[8:9], -v[40:41]
	v_fmac_f64_e32 v[44:45], v[2:3], v[12:13]
	v_add_f64 v[48:49], v[58:59], v[40:41]
	v_mul_f64 v[40:41], v[2:3], v[6:7]
	v_add_f64 v[64:65], v[52:53], v[44:45]
	v_mul_f64 v[44:45], v[0:1], v[10:11]
	v_fma_f64 v[40:41], v[0:1], v[4:5], -v[40:41]
	v_mul_f64 v[0:1], v[0:1], v[6:7]
	v_fmac_f64_e32 v[44:45], v[2:3], v[8:9]
	v_fmac_f64_e32 v[0:1], v[2:3], v[4:5]
	v_add_f64 v[52:53], v[62:63], v[44:45]
	v_add_f64 v[44:45], v[68:69], v[0:1]
	ds_read_b128 v[0:3], v111 offset:2096
	v_add_f64 v[40:41], v[66:67], v[40:41]
	s_waitcnt lgkmcnt(0)
	v_mul_f64 v[58:59], v[2:3], v[18:19]
	v_fma_f64 v[58:59], v[0:1], v[16:17], -v[58:59]
	v_add_f64 v[66:67], v[38:39], v[58:59]
	v_mul_f64 v[38:39], v[2:3], v[14:15]
	v_mul_f64 v[62:63], v[0:1], v[18:19]
	v_fma_f64 v[38:39], v[0:1], v[12:13], -v[38:39]
	v_fmac_f64_e32 v[62:63], v[2:3], v[16:17]
	v_add_f64 v[58:59], v[46:47], v[38:39]
	v_mul_f64 v[38:39], v[2:3], v[10:11]
	v_add_f64 v[68:69], v[42:43], v[62:63]
	v_mul_f64 v[42:43], v[0:1], v[14:15]
	v_fma_f64 v[38:39], v[0:1], v[8:9], -v[38:39]
	v_fmac_f64_e32 v[42:43], v[2:3], v[12:13]
	v_add_f64 v[46:47], v[90:91], v[38:39]
	v_mul_f64 v[38:39], v[2:3], v[6:7]
	v_add_f64 v[62:63], v[50:51], v[42:43]
	v_mul_f64 v[42:43], v[0:1], v[10:11]
	v_fma_f64 v[38:39], v[0:1], v[4:5], -v[38:39]
	v_mul_f64 v[0:1], v[0:1], v[6:7]
	v_fmac_f64_e32 v[42:43], v[2:3], v[8:9]
	v_fmac_f64_e32 v[0:1], v[2:3], v[4:5]
	v_add_f64 v[50:51], v[92:93], v[42:43]
	v_add_f64 v[42:43], v[96:97], v[0:1]
	ds_read_b128 v[0:3], v111 offset:3120
	v_add_f64 v[38:39], v[94:95], v[38:39]
	s_waitcnt lgkmcnt(0)
	s_barrier
	v_mul_f64 v[90:91], v[2:3], v[18:19]
	v_mul_f64 v[18:19], v[0:1], v[18:19]
	v_fma_f64 v[90:91], v[0:1], v[16:17], -v[90:91]
	v_fmac_f64_e32 v[18:19], v[2:3], v[16:17]
	v_mul_f64 v[16:17], v[2:3], v[14:15]
	v_mul_f64 v[14:15], v[0:1], v[14:15]
	v_fma_f64 v[16:17], v[0:1], v[12:13], -v[16:17]
	v_fmac_f64_e32 v[14:15], v[2:3], v[12:13]
	;; [unrolled: 4-line block ×3, first 2 shown]
	v_mul_f64 v[8:9], v[2:3], v[6:7]
	v_fma_f64 v[8:9], v[0:1], v[4:5], -v[8:9]
	v_mul_f64 v[0:1], v[0:1], v[6:7]
	v_fmac_f64_e32 v[0:1], v[2:3], v[4:5]
	v_add_f64 v[74:75], v[74:75], v[90:91]
	v_add_f64 v[76:77], v[76:77], v[18:19]
	;; [unrolled: 1-line block ×8, first 2 shown]
	s_cbranch_vccnz .LBB264_2
	s_branch .LBB264_4
.LBB264_3:
	v_pk_mov_b32 v[54:55], 0, 0
	v_pk_mov_b32 v[56:57], 0, 0
	;; [unrolled: 1-line block ×32, first 2 shown]
.LBB264_4:
	s_load_dwordx2 s[4:5], s[4:5], 0x90
	v_mov_b32_e32 v0, s7
	v_add_co_u32_e32 v6, vcc, s6, v107
	v_addc_co_u32_e32 v7, vcc, 0, v0, vcc
	s_waitcnt lgkmcnt(0)
	s_lshl_b64 s[4:5], s[4:5], 4
	s_add_u32 s7, s8, s4
	v_cmp_neq_f64_e64 s[10:11], s[14:15], 0
	v_cmp_neq_f64_e64 s[12:13], s[16:17], 0
	v_mov_b32_e32 v1, s3
	v_add_co_u32_e32 v0, vcc, s2, v106
	s_addc_u32 s8, s9, s5
	s_or_b64 s[10:11], s[10:11], s[12:13]
	v_addc_co_u32_e32 v1, vcc, 0, v1, vcc
	s_mov_b64 s[4:5], 0
	s_and_b64 vcc, exec, s[10:11]
	s_cbranch_vccnz .LBB264_6
; %bb.5:
	v_mul_lo_u32 v4, v7, s26
	v_mul_lo_u32 v5, v6, s27
	v_mad_u64_u32 v[2:3], s[2:3], v6, s26, 0
	v_add3_u32 v3, v3, v5, v4
	v_lshlrev_b64 v[2:3], 4, v[2:3]
	v_mov_b32_e32 v4, s8
	v_add_co_u32_e32 v26, vcc, s7, v2
	v_addc_co_u32_e32 v27, vcc, v4, v3, vcc
	v_lshlrev_b64 v[24:25], 4, v[0:1]
	v_mul_f64 v[2:3], s[40:41], v[56:57]
	v_mul_f64 v[4:5], s[38:39], v[56:57]
	v_add_co_u32_e32 v24, vcc, v26, v24
	v_fma_f64 v[2:3], s[38:39], v[54:55], -v[2:3]
	v_fmac_f64_e32 v[4:5], s[40:41], v[54:55]
	v_addc_co_u32_e32 v25, vcc, v27, v25, vcc
	global_store_dwordx4 v[24:25], v[2:5], off
	s_lshl_b64 s[2:3], s[26:27], 8
	v_mul_f64 v[2:3], s[40:41], v[36:37]
	v_mul_f64 v[4:5], s[38:39], v[36:37]
	v_fma_f64 v[2:3], s[38:39], v[34:35], -v[2:3]
	v_fmac_f64_e32 v[4:5], s[40:41], v[34:35]
	global_store_dwordx4 v[24:25], v[2:5], off offset:256
	v_mov_b32_e32 v26, s3
	v_mul_f64 v[2:3], s[40:41], v[32:33]
	v_mul_f64 v[4:5], s[38:39], v[32:33]
	v_fma_f64 v[2:3], s[38:39], v[30:31], -v[2:3]
	v_fmac_f64_e32 v[4:5], s[40:41], v[30:31]
	global_store_dwordx4 v[24:25], v[2:5], off offset:512
	s_nop 0
	v_mul_f64 v[2:3], s[40:41], v[22:23]
	v_mul_f64 v[4:5], s[38:39], v[22:23]
	v_fma_f64 v[2:3], s[38:39], v[20:21], -v[2:3]
	v_fmac_f64_e32 v[4:5], s[40:41], v[20:21]
	global_store_dwordx4 v[24:25], v[2:5], off offset:768
	v_add_co_u32_e32 v24, vcc, s2, v24
	v_mul_f64 v[2:3], s[40:41], v[72:73]
	v_mul_f64 v[4:5], s[38:39], v[72:73]
	v_fma_f64 v[2:3], s[38:39], v[70:71], -v[2:3]
	v_fmac_f64_e32 v[4:5], s[40:41], v[70:71]
	v_addc_co_u32_e32 v25, vcc, v25, v26, vcc
	global_store_dwordx4 v[24:25], v[2:5], off
	s_nop 0
	v_mul_f64 v[2:3], s[40:41], v[64:65]
	v_mul_f64 v[4:5], s[38:39], v[64:65]
	v_fma_f64 v[2:3], s[38:39], v[60:61], -v[2:3]
	v_fmac_f64_e32 v[4:5], s[40:41], v[60:61]
	global_store_dwordx4 v[24:25], v[2:5], off offset:256
	s_nop 0
	v_mul_f64 v[2:3], s[40:41], v[52:53]
	v_mul_f64 v[4:5], s[38:39], v[52:53]
	v_fma_f64 v[2:3], s[38:39], v[48:49], -v[2:3]
	v_fmac_f64_e32 v[4:5], s[40:41], v[48:49]
	global_store_dwordx4 v[24:25], v[2:5], off offset:512
	s_nop 0
	v_mul_f64 v[2:3], s[40:41], v[44:45]
	v_mul_f64 v[4:5], s[38:39], v[44:45]
	v_fma_f64 v[2:3], s[38:39], v[40:41], -v[2:3]
	v_fmac_f64_e32 v[4:5], s[40:41], v[40:41]
	global_store_dwordx4 v[24:25], v[2:5], off offset:768
	v_add_co_u32_e32 v24, vcc, s2, v24
	v_mul_f64 v[2:3], s[40:41], v[68:69]
	v_mul_f64 v[4:5], s[38:39], v[68:69]
	v_fma_f64 v[2:3], s[38:39], v[66:67], -v[2:3]
	v_fmac_f64_e32 v[4:5], s[40:41], v[66:67]
	v_addc_co_u32_e32 v25, vcc, v25, v26, vcc
	global_store_dwordx4 v[24:25], v[2:5], off
	s_nop 0
	v_mul_f64 v[2:3], s[40:41], v[62:63]
	v_mul_f64 v[4:5], s[38:39], v[62:63]
	v_fma_f64 v[2:3], s[38:39], v[58:59], -v[2:3]
	v_fmac_f64_e32 v[4:5], s[40:41], v[58:59]
	global_store_dwordx4 v[24:25], v[2:5], off offset:256
	s_nop 0
	;; [unrolled: 25-line block ×3, first 2 shown]
	v_mul_f64 v[2:3], s[40:41], v[14:15]
	v_mul_f64 v[4:5], s[38:39], v[14:15]
	v_fma_f64 v[2:3], s[38:39], v[12:13], -v[2:3]
	v_fmac_f64_e32 v[4:5], s[40:41], v[12:13]
	global_store_dwordx4 v[24:25], v[2:5], off offset:512
	s_nop 0
	v_mul_f64 v[2:3], s[40:41], v[8:9]
	v_fma_f64 v[26:27], s[38:39], v[10:11], -v[2:3]
	v_mul_f64 v[4:5], s[38:39], v[8:9]
	v_add_co_u32_e32 v2, vcc, 0x300, v24
	v_fmac_f64_e32 v[4:5], s[40:41], v[10:11]
	v_addc_co_u32_e32 v3, vcc, 0, v25, vcc
	global_store_dwordx2 v[24:25], v[26:27], off offset:768
	s_andn2_b64 vcc, exec, s[4:5]
	s_cbranch_vccz .LBB264_7
	s_branch .LBB264_8
.LBB264_6:
                                        ; implicit-def: $vgpr4_vgpr5
                                        ; implicit-def: $vgpr2_vgpr3
.LBB264_7:
	s_lshl_b64 s[2:3], s[22:23], 4
	s_add_u32 s2, s0, s2
	s_addc_u32 s3, s1, s3
	v_mul_lo_u32 v4, v7, s20
	v_mul_lo_u32 v5, v6, s21
	v_mad_u64_u32 v[2:3], s[0:1], v6, s20, 0
	v_add3_u32 v3, v3, v5, v4
	v_lshlrev_b64 v[2:3], 4, v[2:3]
	v_mov_b32_e32 v4, s3
	v_add_co_u32_e32 v2, vcc, s2, v2
	v_addc_co_u32_e32 v3, vcc, v4, v3, vcc
	v_lshlrev_b64 v[4:5], 4, v[0:1]
	v_add_co_u32_e32 v24, vcc, v2, v4
	v_addc_co_u32_e32 v25, vcc, v3, v5, vcc
	global_load_dwordx4 v[0:3], v[24:25], off
	v_mul_lo_u32 v78, v7, s26
	v_mul_lo_u32 v79, v6, s27
	v_mad_u64_u32 v[6:7], s[0:1], v6, s26, 0
	v_add3_u32 v7, v7, v79, v78
	v_lshlrev_b64 v[6:7], 4, v[6:7]
	v_mov_b32_e32 v80, s8
	v_add_co_u32_e32 v6, vcc, s7, v6
	v_addc_co_u32_e32 v7, vcc, v80, v7, vcc
	v_add_co_u32_e32 v4, vcc, v6, v4
	v_mul_f64 v[26:27], s[40:41], v[56:57]
	v_mul_f64 v[28:29], s[38:39], v[56:57]
	v_addc_co_u32_e32 v5, vcc, v7, v5, vcc
	v_fma_f64 v[26:27], s[38:39], v[54:55], -v[26:27]
	v_fmac_f64_e32 v[28:29], s[40:41], v[54:55]
	s_lshl_b64 s[0:1], s[20:21], 8
	s_lshl_b64 s[2:3], s[26:27], 8
	s_waitcnt vmcnt(0)
	v_mul_f64 v[6:7], s[16:17], v[2:3]
	v_mul_f64 v[2:3], s[14:15], v[2:3]
	v_fma_f64 v[6:7], s[14:15], v[0:1], -v[6:7]
	v_fmac_f64_e32 v[2:3], s[16:17], v[0:1]
	v_add_f64 v[0:1], v[26:27], v[6:7]
	v_add_f64 v[2:3], v[28:29], v[2:3]
	global_store_dwordx4 v[4:5], v[0:3], off
	global_load_dwordx4 v[0:3], v[24:25], off offset:256
	v_mul_f64 v[6:7], s[40:41], v[36:37]
	v_mul_f64 v[26:27], s[38:39], v[36:37]
	v_fma_f64 v[6:7], s[38:39], v[34:35], -v[6:7]
	v_fmac_f64_e32 v[26:27], s[40:41], v[34:35]
	s_waitcnt vmcnt(0)
	v_mul_f64 v[28:29], s[16:17], v[2:3]
	v_mul_f64 v[2:3], s[14:15], v[2:3]
	v_fma_f64 v[28:29], s[14:15], v[0:1], -v[28:29]
	v_fmac_f64_e32 v[2:3], s[16:17], v[0:1]
	v_add_f64 v[0:1], v[6:7], v[28:29]
	v_add_f64 v[2:3], v[26:27], v[2:3]
	global_store_dwordx4 v[4:5], v[0:3], off offset:256
	global_load_dwordx4 v[0:3], v[24:25], off offset:512
	v_mul_f64 v[6:7], s[40:41], v[32:33]
	v_mul_f64 v[26:27], s[38:39], v[32:33]
	v_fma_f64 v[6:7], s[38:39], v[30:31], -v[6:7]
	v_fmac_f64_e32 v[26:27], s[40:41], v[30:31]
	s_waitcnt vmcnt(0)
	v_mul_f64 v[28:29], s[16:17], v[2:3]
	v_mul_f64 v[2:3], s[14:15], v[2:3]
	v_fma_f64 v[28:29], s[14:15], v[0:1], -v[28:29]
	v_fmac_f64_e32 v[2:3], s[16:17], v[0:1]
	v_add_f64 v[0:1], v[6:7], v[28:29]
	v_add_f64 v[2:3], v[26:27], v[2:3]
	global_store_dwordx4 v[4:5], v[0:3], off offset:512
	global_load_dwordx4 v[0:3], v[24:25], off offset:768
	v_mul_f64 v[6:7], s[40:41], v[22:23]
	v_mul_f64 v[22:23], s[38:39], v[22:23]
	v_fma_f64 v[6:7], s[38:39], v[20:21], -v[6:7]
	v_fmac_f64_e32 v[22:23], s[40:41], v[20:21]
	v_mov_b32_e32 v26, s1
	v_add_co_u32_e32 v20, vcc, s0, v24
	v_addc_co_u32_e32 v21, vcc, v25, v26, vcc
	v_mov_b32_e32 v27, s3
	s_waitcnt vmcnt(0)
	v_mul_f64 v[24:25], s[16:17], v[2:3]
	v_mul_f64 v[2:3], s[14:15], v[2:3]
	v_fma_f64 v[24:25], s[14:15], v[0:1], -v[24:25]
	v_fmac_f64_e32 v[2:3], s[16:17], v[0:1]
	v_add_f64 v[0:1], v[6:7], v[24:25]
	v_add_f64 v[2:3], v[22:23], v[2:3]
	global_store_dwordx4 v[4:5], v[0:3], off offset:768
	global_load_dwordx4 v[0:3], v[20:21], off
	v_mul_f64 v[6:7], s[40:41], v[72:73]
	v_mul_f64 v[22:23], s[38:39], v[72:73]
	v_fma_f64 v[6:7], s[38:39], v[70:71], -v[6:7]
	v_fmac_f64_e32 v[22:23], s[40:41], v[70:71]
	v_add_co_u32_e32 v4, vcc, s2, v4
	v_addc_co_u32_e32 v5, vcc, v5, v27, vcc
	s_waitcnt vmcnt(0)
	v_mul_f64 v[24:25], s[16:17], v[2:3]
	v_mul_f64 v[2:3], s[14:15], v[2:3]
	v_fma_f64 v[24:25], s[14:15], v[0:1], -v[24:25]
	v_fmac_f64_e32 v[2:3], s[16:17], v[0:1]
	v_add_f64 v[0:1], v[6:7], v[24:25]
	v_add_f64 v[2:3], v[22:23], v[2:3]
	global_store_dwordx4 v[4:5], v[0:3], off
	global_load_dwordx4 v[0:3], v[20:21], off offset:256
	v_mul_f64 v[6:7], s[40:41], v[64:65]
	v_mul_f64 v[22:23], s[38:39], v[64:65]
	v_fma_f64 v[6:7], s[38:39], v[60:61], -v[6:7]
	v_fmac_f64_e32 v[22:23], s[40:41], v[60:61]
	s_waitcnt vmcnt(0)
	v_mul_f64 v[24:25], s[16:17], v[2:3]
	v_mul_f64 v[2:3], s[14:15], v[2:3]
	v_fma_f64 v[24:25], s[14:15], v[0:1], -v[24:25]
	v_fmac_f64_e32 v[2:3], s[16:17], v[0:1]
	v_add_f64 v[0:1], v[6:7], v[24:25]
	v_add_f64 v[2:3], v[22:23], v[2:3]
	global_store_dwordx4 v[4:5], v[0:3], off offset:256
	global_load_dwordx4 v[0:3], v[20:21], off offset:512
	v_mul_f64 v[6:7], s[40:41], v[52:53]
	v_mul_f64 v[22:23], s[38:39], v[52:53]
	v_fma_f64 v[6:7], s[38:39], v[48:49], -v[6:7]
	v_fmac_f64_e32 v[22:23], s[40:41], v[48:49]
	s_waitcnt vmcnt(0)
	v_mul_f64 v[24:25], s[16:17], v[2:3]
	v_mul_f64 v[2:3], s[14:15], v[2:3]
	v_fma_f64 v[24:25], s[14:15], v[0:1], -v[24:25]
	v_fmac_f64_e32 v[2:3], s[16:17], v[0:1]
	v_add_f64 v[0:1], v[6:7], v[24:25]
	v_add_f64 v[2:3], v[22:23], v[2:3]
	global_store_dwordx4 v[4:5], v[0:3], off offset:512
	global_load_dwordx4 v[0:3], v[20:21], off offset:768
	v_mul_f64 v[6:7], s[40:41], v[44:45]
	v_mul_f64 v[22:23], s[38:39], v[44:45]
	v_fma_f64 v[6:7], s[38:39], v[40:41], -v[6:7]
	v_fmac_f64_e32 v[22:23], s[40:41], v[40:41]
	v_add_co_u32_e32 v20, vcc, s0, v20
	v_addc_co_u32_e32 v21, vcc, v21, v26, vcc
	s_waitcnt vmcnt(0)
	v_mul_f64 v[24:25], s[16:17], v[2:3]
	v_mul_f64 v[2:3], s[14:15], v[2:3]
	v_fma_f64 v[24:25], s[14:15], v[0:1], -v[24:25]
	v_fmac_f64_e32 v[2:3], s[16:17], v[0:1]
	v_add_f64 v[0:1], v[6:7], v[24:25]
	v_add_f64 v[2:3], v[22:23], v[2:3]
	global_store_dwordx4 v[4:5], v[0:3], off offset:768
	global_load_dwordx4 v[0:3], v[20:21], off
	v_mul_f64 v[6:7], s[40:41], v[68:69]
	v_mul_f64 v[22:23], s[38:39], v[68:69]
	v_fma_f64 v[6:7], s[38:39], v[66:67], -v[6:7]
	v_fmac_f64_e32 v[22:23], s[40:41], v[66:67]
	v_add_co_u32_e32 v4, vcc, s2, v4
	v_addc_co_u32_e32 v5, vcc, v5, v27, vcc
	s_waitcnt vmcnt(0)
	v_mul_f64 v[24:25], s[16:17], v[2:3]
	v_mul_f64 v[2:3], s[14:15], v[2:3]
	v_fma_f64 v[24:25], s[14:15], v[0:1], -v[24:25]
	v_fmac_f64_e32 v[2:3], s[16:17], v[0:1]
	v_add_f64 v[0:1], v[6:7], v[24:25]
	v_add_f64 v[2:3], v[22:23], v[2:3]
	global_store_dwordx4 v[4:5], v[0:3], off
	global_load_dwordx4 v[0:3], v[20:21], off offset:256
	v_mul_f64 v[6:7], s[40:41], v[62:63]
	v_mul_f64 v[22:23], s[38:39], v[62:63]
	v_fma_f64 v[6:7], s[38:39], v[58:59], -v[6:7]
	v_fmac_f64_e32 v[22:23], s[40:41], v[58:59]
	s_waitcnt vmcnt(0)
	v_mul_f64 v[24:25], s[16:17], v[2:3]
	v_mul_f64 v[2:3], s[14:15], v[2:3]
	v_fma_f64 v[24:25], s[14:15], v[0:1], -v[24:25]
	v_fmac_f64_e32 v[2:3], s[16:17], v[0:1]
	v_add_f64 v[0:1], v[6:7], v[24:25]
	v_add_f64 v[2:3], v[22:23], v[2:3]
	global_store_dwordx4 v[4:5], v[0:3], off offset:256
	global_load_dwordx4 v[0:3], v[20:21], off offset:512
	v_mul_f64 v[6:7], s[40:41], v[50:51]
	v_mul_f64 v[22:23], s[38:39], v[50:51]
	v_fma_f64 v[6:7], s[38:39], v[46:47], -v[6:7]
	v_fmac_f64_e32 v[22:23], s[40:41], v[46:47]
	s_waitcnt vmcnt(0)
	v_mul_f64 v[24:25], s[16:17], v[2:3]
	v_mul_f64 v[2:3], s[14:15], v[2:3]
	v_fma_f64 v[24:25], s[14:15], v[0:1], -v[24:25]
	v_fmac_f64_e32 v[2:3], s[16:17], v[0:1]
	v_add_f64 v[0:1], v[6:7], v[24:25]
	v_add_f64 v[2:3], v[22:23], v[2:3]
	global_store_dwordx4 v[4:5], v[0:3], off offset:512
	global_load_dwordx4 v[0:3], v[20:21], off offset:768
	v_mul_f64 v[6:7], s[40:41], v[42:43]
	v_mul_f64 v[22:23], s[38:39], v[42:43]
	v_fma_f64 v[6:7], s[38:39], v[38:39], -v[6:7]
	v_fmac_f64_e32 v[22:23], s[40:41], v[38:39]
	v_add_co_u32_e32 v20, vcc, s0, v20
	v_addc_co_u32_e32 v21, vcc, v21, v26, vcc
	s_waitcnt vmcnt(0)
	v_mul_f64 v[24:25], s[16:17], v[2:3]
	v_mul_f64 v[2:3], s[14:15], v[2:3]
	v_fma_f64 v[24:25], s[14:15], v[0:1], -v[24:25]
	v_fmac_f64_e32 v[2:3], s[16:17], v[0:1]
	v_add_f64 v[0:1], v[6:7], v[24:25]
	v_add_f64 v[2:3], v[22:23], v[2:3]
	global_store_dwordx4 v[4:5], v[0:3], off offset:768
	global_load_dwordx4 v[0:3], v[20:21], off
	v_add_co_u32_e32 v24, vcc, s2, v4
	v_mul_f64 v[6:7], s[40:41], v[76:77]
	v_mul_f64 v[22:23], s[38:39], v[76:77]
	v_addc_co_u32_e32 v25, vcc, v5, v27, vcc
	v_fma_f64 v[6:7], s[38:39], v[74:75], -v[6:7]
	v_fmac_f64_e32 v[22:23], s[40:41], v[74:75]
	s_waitcnt vmcnt(0)
	v_mul_f64 v[4:5], s[16:17], v[2:3]
	v_mul_f64 v[2:3], s[14:15], v[2:3]
	v_fma_f64 v[4:5], s[14:15], v[0:1], -v[4:5]
	v_fmac_f64_e32 v[2:3], s[16:17], v[0:1]
	v_add_f64 v[0:1], v[6:7], v[4:5]
	v_add_f64 v[2:3], v[22:23], v[2:3]
	global_store_dwordx4 v[24:25], v[0:3], off
	global_load_dwordx4 v[0:3], v[20:21], off offset:256
	v_mul_f64 v[4:5], s[40:41], v[18:19]
	v_mul_f64 v[6:7], s[38:39], v[18:19]
	v_fma_f64 v[4:5], s[38:39], v[16:17], -v[4:5]
	v_fmac_f64_e32 v[6:7], s[40:41], v[16:17]
	s_waitcnt vmcnt(0)
	v_mul_f64 v[16:17], s[16:17], v[2:3]
	v_mul_f64 v[2:3], s[14:15], v[2:3]
	v_fma_f64 v[16:17], s[14:15], v[0:1], -v[16:17]
	v_fmac_f64_e32 v[2:3], s[16:17], v[0:1]
	v_add_f64 v[0:1], v[4:5], v[16:17]
	v_add_f64 v[2:3], v[6:7], v[2:3]
	global_store_dwordx4 v[24:25], v[0:3], off offset:256
	global_load_dwordx4 v[0:3], v[20:21], off offset:512
	v_mul_f64 v[4:5], s[40:41], v[14:15]
	v_mul_f64 v[6:7], s[38:39], v[14:15]
	v_fma_f64 v[4:5], s[38:39], v[12:13], -v[4:5]
	v_fmac_f64_e32 v[6:7], s[40:41], v[12:13]
	s_waitcnt vmcnt(0)
	v_mul_f64 v[12:13], s[16:17], v[2:3]
	v_mul_f64 v[2:3], s[14:15], v[2:3]
	v_fma_f64 v[12:13], s[14:15], v[0:1], -v[12:13]
	v_fmac_f64_e32 v[2:3], s[16:17], v[0:1]
	v_add_f64 v[0:1], v[4:5], v[12:13]
	v_add_f64 v[2:3], v[6:7], v[2:3]
	global_store_dwordx4 v[24:25], v[0:3], off offset:512
	global_load_dwordx4 v[4:7], v[20:21], off offset:768
	v_mul_f64 v[0:1], s[40:41], v[8:9]
	v_mul_f64 v[8:9], s[38:39], v[8:9]
	v_fma_f64 v[0:1], s[38:39], v[10:11], -v[0:1]
	v_fmac_f64_e32 v[8:9], s[40:41], v[10:11]
	v_add_co_u32_e32 v2, vcc, 0x300, v24
	v_addc_co_u32_e32 v3, vcc, 0, v25, vcc
	s_waitcnt vmcnt(0)
	v_mul_f64 v[10:11], s[16:17], v[6:7]
	v_mul_f64 v[6:7], s[14:15], v[6:7]
	v_fma_f64 v[10:11], s[14:15], v[4:5], -v[10:11]
	v_fmac_f64_e32 v[6:7], s[16:17], v[4:5]
	v_add_f64 v[0:1], v[0:1], v[10:11]
	v_add_f64 v[4:5], v[8:9], v[6:7]
	global_store_dwordx2 v[24:25], v[0:1], off offset:768
.LBB264_8:
	global_store_dwordx2 v[2:3], v[4:5], off offset:8
	s_endpgm
	.section	.rodata,"a",@progbits
	.p2align	6, 0x0
	.amdhsa_kernel _ZN12_GLOBAL__N_127rocblas_gemm_batched_kernelI19rocblas_complex_numIdELi16ELi16ELi64ELi64ELi4ELi64ELi4ELi4ELi64ELc84ELc78EKPKS2_S5_KPS2_EEvlllT_PT11_llSA_llS8_PT12_llPT13_lli
		.amdhsa_group_segment_fixed_size 8192
		.amdhsa_private_segment_fixed_size 0
		.amdhsa_kernarg_size 156
		.amdhsa_user_sgpr_count 6
		.amdhsa_user_sgpr_private_segment_buffer 1
		.amdhsa_user_sgpr_dispatch_ptr 0
		.amdhsa_user_sgpr_queue_ptr 0
		.amdhsa_user_sgpr_kernarg_segment_ptr 1
		.amdhsa_user_sgpr_dispatch_id 0
		.amdhsa_user_sgpr_flat_scratch_init 0
		.amdhsa_user_sgpr_kernarg_preload_length 0
		.amdhsa_user_sgpr_kernarg_preload_offset 0
		.amdhsa_user_sgpr_private_segment_size 0
		.amdhsa_uses_dynamic_stack 0
		.amdhsa_system_sgpr_private_segment_wavefront_offset 0
		.amdhsa_system_sgpr_workgroup_id_x 1
		.amdhsa_system_sgpr_workgroup_id_y 1
		.amdhsa_system_sgpr_workgroup_id_z 1
		.amdhsa_system_sgpr_workgroup_info 0
		.amdhsa_system_vgpr_workitem_id 1
		.amdhsa_next_free_vgpr 136
		.amdhsa_next_free_sgpr 52
		.amdhsa_accum_offset 136
		.amdhsa_reserve_vcc 1
		.amdhsa_reserve_flat_scratch 0
		.amdhsa_float_round_mode_32 0
		.amdhsa_float_round_mode_16_64 0
		.amdhsa_float_denorm_mode_32 3
		.amdhsa_float_denorm_mode_16_64 3
		.amdhsa_dx10_clamp 1
		.amdhsa_ieee_mode 1
		.amdhsa_fp16_overflow 0
		.amdhsa_tg_split 0
		.amdhsa_exception_fp_ieee_invalid_op 0
		.amdhsa_exception_fp_denorm_src 0
		.amdhsa_exception_fp_ieee_div_zero 0
		.amdhsa_exception_fp_ieee_overflow 0
		.amdhsa_exception_fp_ieee_underflow 0
		.amdhsa_exception_fp_ieee_inexact 0
		.amdhsa_exception_int_div_zero 0
	.end_amdhsa_kernel
	.section	.text._ZN12_GLOBAL__N_127rocblas_gemm_batched_kernelI19rocblas_complex_numIdELi16ELi16ELi64ELi64ELi4ELi64ELi4ELi4ELi64ELc84ELc78EKPKS2_S5_KPS2_EEvlllT_PT11_llSA_llS8_PT12_llPT13_lli,"axG",@progbits,_ZN12_GLOBAL__N_127rocblas_gemm_batched_kernelI19rocblas_complex_numIdELi16ELi16ELi64ELi64ELi4ELi64ELi4ELi4ELi64ELc84ELc78EKPKS2_S5_KPS2_EEvlllT_PT11_llSA_llS8_PT12_llPT13_lli,comdat
.Lfunc_end264:
	.size	_ZN12_GLOBAL__N_127rocblas_gemm_batched_kernelI19rocblas_complex_numIdELi16ELi16ELi64ELi64ELi4ELi64ELi4ELi4ELi64ELc84ELc78EKPKS2_S5_KPS2_EEvlllT_PT11_llSA_llS8_PT12_llPT13_lli, .Lfunc_end264-_ZN12_GLOBAL__N_127rocblas_gemm_batched_kernelI19rocblas_complex_numIdELi16ELi16ELi64ELi64ELi4ELi64ELi4ELi4ELi64ELc84ELc78EKPKS2_S5_KPS2_EEvlllT_PT11_llSA_llS8_PT12_llPT13_lli
                                        ; -- End function
	.section	.AMDGPU.csdata,"",@progbits
; Kernel info:
; codeLenInByte = 6728
; NumSgprs: 56
; NumVgprs: 136
; NumAgprs: 0
; TotalNumVgprs: 136
; ScratchSize: 0
; MemoryBound: 0
; FloatMode: 240
; IeeeMode: 1
; LDSByteSize: 8192 bytes/workgroup (compile time only)
; SGPRBlocks: 6
; VGPRBlocks: 16
; NumSGPRsForWavesPerEU: 56
; NumVGPRsForWavesPerEU: 136
; AccumOffset: 136
; Occupancy: 3
; WaveLimiterHint : 1
; COMPUTE_PGM_RSRC2:SCRATCH_EN: 0
; COMPUTE_PGM_RSRC2:USER_SGPR: 6
; COMPUTE_PGM_RSRC2:TRAP_HANDLER: 0
; COMPUTE_PGM_RSRC2:TGID_X_EN: 1
; COMPUTE_PGM_RSRC2:TGID_Y_EN: 1
; COMPUTE_PGM_RSRC2:TGID_Z_EN: 1
; COMPUTE_PGM_RSRC2:TIDIG_COMP_CNT: 1
; COMPUTE_PGM_RSRC3_GFX90A:ACCUM_OFFSET: 33
; COMPUTE_PGM_RSRC3_GFX90A:TG_SPLIT: 0
	.section	.text._ZN12_GLOBAL__N_127rocblas_gemm_batched_kernelI19rocblas_complex_numIdELi16ELi16ELi64ELi64ELi4ELi64ELi4ELi4ELi64ELc78ELc84EKPKS2_S5_KPS2_EEvlllT_PT11_llSA_llS8_PT12_llPT13_lli,"axG",@progbits,_ZN12_GLOBAL__N_127rocblas_gemm_batched_kernelI19rocblas_complex_numIdELi16ELi16ELi64ELi64ELi4ELi64ELi4ELi4ELi64ELc78ELc84EKPKS2_S5_KPS2_EEvlllT_PT11_llSA_llS8_PT12_llPT13_lli,comdat
	.globl	_ZN12_GLOBAL__N_127rocblas_gemm_batched_kernelI19rocblas_complex_numIdELi16ELi16ELi64ELi64ELi4ELi64ELi4ELi4ELi64ELc78ELc84EKPKS2_S5_KPS2_EEvlllT_PT11_llSA_llS8_PT12_llPT13_lli ; -- Begin function _ZN12_GLOBAL__N_127rocblas_gemm_batched_kernelI19rocblas_complex_numIdELi16ELi16ELi64ELi64ELi4ELi64ELi4ELi4ELi64ELc78ELc84EKPKS2_S5_KPS2_EEvlllT_PT11_llSA_llS8_PT12_llPT13_lli
	.p2align	8
	.type	_ZN12_GLOBAL__N_127rocblas_gemm_batched_kernelI19rocblas_complex_numIdELi16ELi16ELi64ELi64ELi4ELi64ELi4ELi4ELi64ELc78ELc84EKPKS2_S5_KPS2_EEvlllT_PT11_llSA_llS8_PT12_llPT13_lli,@function
_ZN12_GLOBAL__N_127rocblas_gemm_batched_kernelI19rocblas_complex_numIdELi16ELi16ELi64ELi64ELi4ELi64ELi4ELi4ELi64ELc78ELc84EKPKS2_S5_KPS2_EEvlllT_PT11_llSA_llS8_PT12_llPT13_lli: ; @_ZN12_GLOBAL__N_127rocblas_gemm_batched_kernelI19rocblas_complex_numIdELi16ELi16ELi64ELi64ELi4ELi64ELi4ELi4ELi64ELc78ELc84EKPKS2_S5_KPS2_EEvlllT_PT11_llSA_llS8_PT12_llPT13_lli
; %bb.0:
	s_load_dwordx16 s[36:51], s[4:5], 0x10
	s_load_dwordx16 s[12:27], s[4:5], 0x50
	s_mov_b32 s9, 0
	s_lshl_b64 s[28:29], s[8:9], 3
	s_mov_b32 s10, s7
	v_bfe_u32 v107, v0, 10, 10
	s_waitcnt lgkmcnt(0)
	s_add_u32 s0, s18, s28
	s_addc_u32 s1, s19, s29
	s_add_u32 s2, s24, s28
	s_addc_u32 s3, s25, s29
	s_load_dwordx2 s[0:1], s[0:1], 0x0
	s_ashr_i32 s7, s6, 31
	s_load_dwordx2 s[8:9], s[2:3], 0x0
	s_ashr_i32 s11, s10, 31
	v_cmp_lt_i64_e64 s[18:19], s[36:37], 1
	v_and_b32_e32 v106, 0x3ff, v0
	s_lshl_b64 s[2:3], s[6:7], 6
	s_lshl_b64 s[6:7], s[10:11], 6
	s_mov_b64 s[10:11], 0
	s_and_b64 vcc, exec, s[18:19]
	s_cbranch_vccnz .LBB265_3
; %bb.1:
	v_lshl_add_u32 v4, v107, 4, v106
	s_add_u32 s18, s42, s28
	v_lshrrev_b32_e32 v5, 2, v4
	s_addc_u32 s19, s43, s29
	v_mov_b32_e32 v1, s7
	v_add_co_u32_e32 v0, vcc, s6, v5
	s_add_u32 s24, s48, s28
	v_addc_co_u32_e32 v1, vcc, 0, v1, vcc
	v_and_b32_e32 v6, 3, v106
	s_addc_u32 s25, s49, s29
	v_mad_u64_u32 v[0:1], s[28:29], v6, s50, v[0:1]
	v_mov_b32_e32 v2, v1
	v_mad_u64_u32 v[2:3], s[28:29], v6, s51, v[2:3]
	v_and_b32_e32 v7, 63, v4
	v_mov_b32_e32 v1, v2
	v_lshrrev_b32_e32 v8, 6, v4
	v_lshlrev_b32_e32 v2, 4, v7
	v_lshl_or_b32 v108, v8, 10, v2
	v_lshlrev_b32_e32 v2, 4, v6
	v_lshl_or_b32 v2, v5, 6, v2
	v_add_u32_e32 v109, 0x1000, v2
	v_mov_b32_e32 v2, 0x1000
	s_load_dwordx2 s[18:19], s[18:19], 0x0
	v_lshl_add_u32 v111, v107, 6, v2
	v_pk_mov_b32 v[2:3], s[2:3], s[2:3] op_sel:[0,1]
	v_mad_u64_u32 v[2:3], s[30:31], v8, s44, v[2:3]
	v_mov_b32_e32 v4, v3
	s_load_dwordx2 s[24:25], s[24:25], 0x0
	v_mad_u64_u32 v[4:5], s[30:31], v8, s45, v[4:5]
	s_lshl_b64 s[28:29], s[46:47], 4
	v_mov_b32_e32 v3, v4
	v_add_co_u32_e32 v2, vcc, v2, v7
	v_addc_co_u32_e32 v3, vcc, 0, v3, vcc
	s_waitcnt lgkmcnt(0)
	s_add_u32 s18, s18, s28
	v_lshlrev_b64 v[2:3], 4, v[2:3]
	s_addc_u32 s19, s19, s29
	v_mov_b32_e32 v4, s19
	v_add_co_u32_e32 v24, vcc, s18, v2
	s_lshl_b64 s[18:19], s[44:45], 6
	s_lshl_b64 s[12:13], s[12:13], 4
	s_add_u32 s12, s24, s12
	v_addc_co_u32_e32 v25, vcc, v4, v3, vcc
	v_lshlrev_b64 v[0:1], 4, v[0:1]
	s_addc_u32 s13, s25, s13
	v_mov_b32_e32 v2, s13
	v_add_co_u32_e32 v26, vcc, s12, v0
	s_lshl_b64 s[12:13], s[50:51], 6
	v_lshlrev_b32_e32 v110, 4, v106
	v_addc_co_u32_e32 v27, vcc, v2, v1, vcc
	v_pk_mov_b32 v[8:9], 0, 0
	v_mov_b32_e32 v112, s19
	v_mov_b32_e32 v113, s13
	v_pk_mov_b32 v[28:29], s[36:37], s[36:37] op_sel:[0,1]
	v_pk_mov_b32 v[10:11], 0, 0
	v_pk_mov_b32 v[14:15], 0, 0
	;; [unrolled: 1-line block ×31, first 2 shown]
.LBB265_2:                              ; =>This Inner Loop Header: Depth=1
	global_load_dwordx4 v[0:3], v[24:25], off
	v_add_co_u32_e32 v24, vcc, s18, v24
	v_addc_co_u32_e32 v25, vcc, v25, v112, vcc
	s_add_u32 s10, s10, 4
	s_addc_u32 s11, s11, 0
	s_waitcnt vmcnt(0)
	ds_write2_b64 v108, v[0:1], v[2:3] offset1:1
	global_load_dwordx4 v[0:3], v[26:27], off
	v_add_co_u32_e32 v26, vcc, s12, v26
	v_addc_co_u32_e32 v27, vcc, v27, v113, vcc
	v_cmp_lt_i64_e32 vcc, s[10:11], v[28:29]
	s_and_b64 vcc, exec, vcc
	s_waitcnt vmcnt(0)
	ds_write2_b64 v109, v[0:1], v[2:3] offset1:1
	s_waitcnt lgkmcnt(0)
	s_barrier
	ds_read_b128 v[78:81], v111
	ds_read_b128 v[114:117], v111 offset:16
	ds_read_b128 v[4:7], v111 offset:32
	;; [unrolled: 1-line block ×3, first 2 shown]
	ds_read_b128 v[118:121], v110
	s_waitcnt lgkmcnt(0)
	v_mul_f64 v[82:83], v[80:81], v[120:121]
	v_mul_f64 v[84:85], v[78:79], v[120:121]
	v_fma_f64 v[82:83], v[78:79], v[118:119], -v[82:83]
	v_fmac_f64_e32 v[84:85], v[80:81], v[118:119]
	v_add_f64 v[122:123], v[54:55], v[82:83]
	v_add_f64 v[124:125], v[56:57], v[84:85]
	ds_read_b128 v[54:57], v110 offset:256
	s_waitcnt lgkmcnt(0)
	v_mul_f64 v[82:83], v[80:81], v[56:57]
	v_mul_f64 v[84:85], v[78:79], v[56:57]
	v_fma_f64 v[82:83], v[78:79], v[54:55], -v[82:83]
	v_fmac_f64_e32 v[84:85], v[80:81], v[54:55]
	v_add_f64 v[126:127], v[34:35], v[82:83]
	v_add_f64 v[128:129], v[36:37], v[84:85]
	ds_read_b128 v[34:37], v110 offset:512
	;; [unrolled: 8-line block ×3, first 2 shown]
	s_waitcnt lgkmcnt(0)
	v_mul_f64 v[82:83], v[80:81], v[32:33]
	v_fma_f64 v[82:83], v[78:79], v[30:31], -v[82:83]
	v_mul_f64 v[78:79], v[78:79], v[32:33]
	v_fmac_f64_e32 v[78:79], v[80:81], v[30:31]
	v_add_f64 v[134:135], v[20:21], v[82:83]
	v_add_f64 v[136:137], v[22:23], v[78:79]
	ds_read_b128 v[20:23], v111 offset:1024
	s_waitcnt lgkmcnt(0)
	v_mul_f64 v[78:79], v[22:23], v[120:121]
	v_fma_f64 v[78:79], v[20:21], v[118:119], -v[78:79]
	v_add_f64 v[70:71], v[70:71], v[78:79]
	v_mul_f64 v[78:79], v[22:23], v[56:57]
	v_mul_f64 v[80:81], v[20:21], v[120:121]
	v_fma_f64 v[78:79], v[20:21], v[54:55], -v[78:79]
	v_fmac_f64_e32 v[80:81], v[22:23], v[118:119]
	v_add_f64 v[94:95], v[60:61], v[78:79]
	v_mul_f64 v[60:61], v[22:23], v[36:37]
	v_add_f64 v[72:73], v[72:73], v[80:81]
	v_mul_f64 v[80:81], v[20:21], v[56:57]
	v_fma_f64 v[60:61], v[20:21], v[34:35], -v[60:61]
	v_fmac_f64_e32 v[80:81], v[22:23], v[54:55]
	v_add_f64 v[98:99], v[48:49], v[60:61]
	v_mul_f64 v[48:49], v[22:23], v[32:33]
	v_add_f64 v[96:97], v[64:65], v[80:81]
	v_mul_f64 v[64:65], v[20:21], v[36:37]
	v_fma_f64 v[48:49], v[20:21], v[30:31], -v[48:49]
	v_mul_f64 v[20:21], v[20:21], v[32:33]
	v_fmac_f64_e32 v[20:21], v[22:23], v[30:31]
	v_fmac_f64_e32 v[64:65], v[22:23], v[34:35]
	v_add_f64 v[104:105], v[44:45], v[20:21]
	ds_read_b128 v[20:23], v111 offset:2048
	v_add_f64 v[102:103], v[40:41], v[48:49]
	v_add_f64 v[100:101], v[52:53], v[64:65]
	s_waitcnt lgkmcnt(0)
	v_mul_f64 v[40:41], v[22:23], v[120:121]
	v_fma_f64 v[40:41], v[20:21], v[118:119], -v[40:41]
	v_add_f64 v[78:79], v[66:67], v[40:41]
	v_mul_f64 v[40:41], v[22:23], v[56:57]
	v_mul_f64 v[44:45], v[20:21], v[120:121]
	v_fma_f64 v[40:41], v[20:21], v[54:55], -v[40:41]
	v_fmac_f64_e32 v[44:45], v[22:23], v[118:119]
	v_add_f64 v[82:83], v[58:59], v[40:41]
	v_mul_f64 v[40:41], v[22:23], v[36:37]
	v_add_f64 v[80:81], v[68:69], v[44:45]
	v_mul_f64 v[44:45], v[20:21], v[56:57]
	v_fma_f64 v[40:41], v[20:21], v[34:35], -v[40:41]
	v_fmac_f64_e32 v[44:45], v[22:23], v[54:55]
	v_add_f64 v[86:87], v[46:47], v[40:41]
	v_mul_f64 v[40:41], v[22:23], v[32:33]
	v_add_f64 v[84:85], v[62:63], v[44:45]
	v_mul_f64 v[44:45], v[20:21], v[36:37]
	v_fma_f64 v[40:41], v[20:21], v[30:31], -v[40:41]
	v_mul_f64 v[20:21], v[20:21], v[32:33]
	v_fmac_f64_e32 v[20:21], v[22:23], v[30:31]
	v_fmac_f64_e32 v[44:45], v[22:23], v[34:35]
	v_add_f64 v[92:93], v[42:43], v[20:21]
	ds_read_b128 v[20:23], v111 offset:3072
	v_add_f64 v[90:91], v[38:39], v[40:41]
	v_add_f64 v[88:89], v[50:51], v[44:45]
	s_waitcnt lgkmcnt(0)
	v_mul_f64 v[38:39], v[22:23], v[120:121]
	v_mul_f64 v[40:41], v[20:21], v[120:121]
	v_fma_f64 v[38:39], v[20:21], v[118:119], -v[38:39]
	v_fmac_f64_e32 v[40:41], v[22:23], v[118:119]
	v_add_f64 v[58:59], v[74:75], v[38:39]
	v_add_f64 v[60:61], v[76:77], v[40:41]
	v_mul_f64 v[38:39], v[22:23], v[56:57]
	v_mul_f64 v[40:41], v[20:21], v[56:57]
	v_fma_f64 v[38:39], v[20:21], v[54:55], -v[38:39]
	v_fmac_f64_e32 v[40:41], v[22:23], v[54:55]
	v_add_f64 v[54:55], v[16:17], v[38:39]
	v_add_f64 v[56:57], v[18:19], v[40:41]
	;; [unrolled: 6-line block ×3, first 2 shown]
	v_mul_f64 v[12:13], v[22:23], v[32:33]
	v_mul_f64 v[14:15], v[20:21], v[32:33]
	v_fma_f64 v[12:13], v[20:21], v[30:31], -v[12:13]
	v_fmac_f64_e32 v[14:15], v[22:23], v[30:31]
	ds_read_b128 v[20:23], v110 offset:1024
	ds_read_b128 v[16:19], v110 offset:1280
	v_add_f64 v[46:47], v[10:11], v[12:13]
	v_add_f64 v[48:49], v[8:9], v[14:15]
	ds_read_b128 v[12:15], v110 offset:1536
	ds_read_b128 v[74:77], v111 offset:1040
	s_waitcnt lgkmcnt(3)
	v_mul_f64 v[8:9], v[116:117], v[22:23]
	v_mul_f64 v[10:11], v[114:115], v[22:23]
	v_fma_f64 v[8:9], v[114:115], v[20:21], -v[8:9]
	v_fmac_f64_e32 v[10:11], v[116:117], v[20:21]
	v_add_f64 v[42:43], v[122:123], v[8:9]
	v_add_f64 v[44:45], v[124:125], v[10:11]
	s_waitcnt lgkmcnt(2)
	v_mul_f64 v[8:9], v[116:117], v[18:19]
	v_mul_f64 v[10:11], v[114:115], v[18:19]
	v_fma_f64 v[8:9], v[114:115], v[16:17], -v[8:9]
	v_fmac_f64_e32 v[10:11], v[116:117], v[16:17]
	v_add_f64 v[38:39], v[126:127], v[8:9]
	v_add_f64 v[40:41], v[128:129], v[10:11]
	;; [unrolled: 7-line block ×3, first 2 shown]
	ds_read_b128 v[8:11], v110 offset:1792
	s_waitcnt lgkmcnt(1)
	v_mul_f64 v[66:67], v[76:77], v[18:19]
	v_mul_f64 v[68:69], v[74:75], v[18:19]
	;; [unrolled: 1-line block ×4, first 2 shown]
	v_fma_f64 v[66:67], v[74:75], v[16:17], -v[66:67]
	v_fmac_f64_e32 v[68:69], v[76:77], v[16:17]
	v_fma_f64 v[62:63], v[74:75], v[20:21], -v[62:63]
	v_fmac_f64_e32 v[64:65], v[76:77], v[20:21]
	v_add_f64 v[66:67], v[94:95], v[66:67]
	v_add_f64 v[68:69], v[96:97], v[68:69]
	s_waitcnt lgkmcnt(0)
	v_mul_f64 v[94:95], v[76:77], v[10:11]
	v_mul_f64 v[96:97], v[74:75], v[10:11]
	v_add_f64 v[62:63], v[70:71], v[62:63]
	v_add_f64 v[64:65], v[72:73], v[64:65]
	v_mul_f64 v[70:71], v[76:77], v[14:15]
	v_mul_f64 v[72:73], v[74:75], v[14:15]
	v_fma_f64 v[94:95], v[74:75], v[8:9], -v[94:95]
	v_fmac_f64_e32 v[96:97], v[76:77], v[8:9]
	v_fma_f64 v[70:71], v[74:75], v[12:13], -v[70:71]
	v_fmac_f64_e32 v[72:73], v[76:77], v[12:13]
	v_add_f64 v[74:75], v[102:103], v[94:95]
	v_add_f64 v[76:77], v[104:105], v[96:97]
	ds_read_b128 v[94:97], v111 offset:2064
	v_add_f64 v[70:71], v[98:99], v[70:71]
	v_add_f64 v[72:73], v[100:101], v[72:73]
	v_mul_f64 v[30:31], v[116:117], v[10:11]
	v_mul_f64 v[32:33], v[114:115], v[10:11]
	s_waitcnt lgkmcnt(0)
	v_mul_f64 v[98:99], v[96:97], v[22:23]
	v_mul_f64 v[100:101], v[94:95], v[22:23]
	v_fma_f64 v[98:99], v[94:95], v[20:21], -v[98:99]
	v_fmac_f64_e32 v[100:101], v[96:97], v[20:21]
	v_add_f64 v[78:79], v[78:79], v[98:99]
	v_add_f64 v[80:81], v[80:81], v[100:101]
	v_mul_f64 v[98:99], v[96:97], v[18:19]
	v_mul_f64 v[100:101], v[94:95], v[18:19]
	v_fma_f64 v[98:99], v[94:95], v[16:17], -v[98:99]
	v_fmac_f64_e32 v[100:101], v[96:97], v[16:17]
	v_add_f64 v[82:83], v[82:83], v[98:99]
	v_add_f64 v[84:85], v[84:85], v[100:101]
	;; [unrolled: 6-line block ×4, first 2 shown]
	ds_read_b128 v[90:93], v111 offset:3088
	v_fma_f64 v[30:31], v[114:115], v[8:9], -v[30:31]
	v_fmac_f64_e32 v[32:33], v[116:117], v[8:9]
	v_add_f64 v[32:33], v[136:137], v[32:33]
	v_add_f64 v[30:31], v[134:135], v[30:31]
	s_waitcnt lgkmcnt(0)
	v_mul_f64 v[98:99], v[92:93], v[22:23]
	v_mul_f64 v[22:23], v[90:91], v[22:23]
	v_fma_f64 v[98:99], v[90:91], v[20:21], -v[98:99]
	v_fmac_f64_e32 v[22:23], v[92:93], v[20:21]
	v_mul_f64 v[20:21], v[92:93], v[18:19]
	v_mul_f64 v[18:19], v[90:91], v[18:19]
	v_fma_f64 v[20:21], v[90:91], v[16:17], -v[20:21]
	v_fmac_f64_e32 v[18:19], v[92:93], v[16:17]
	;; [unrolled: 4-line block ×3, first 2 shown]
	v_mul_f64 v[12:13], v[92:93], v[10:11]
	v_mul_f64 v[10:11], v[90:91], v[10:11]
	v_fmac_f64_e32 v[10:11], v[92:93], v[8:9]
	v_fma_f64 v[12:13], v[90:91], v[8:9], -v[12:13]
	v_add_f64 v[114:115], v[48:49], v[10:11]
	ds_read_b128 v[8:11], v110 offset:2048
	v_add_f64 v[102:103], v[52:53], v[14:15]
	v_add_f64 v[104:105], v[46:47], v[12:13]
	v_add_f64 v[56:57], v[56:57], v[18:19]
	v_add_f64 v[100:101], v[50:51], v[16:17]
	s_waitcnt lgkmcnt(0)
	v_mul_f64 v[12:13], v[6:7], v[10:11]
	v_mul_f64 v[14:15], v[4:5], v[10:11]
	v_fma_f64 v[12:13], v[4:5], v[8:9], -v[12:13]
	v_fmac_f64_e32 v[14:15], v[6:7], v[8:9]
	v_add_f64 v[116:117], v[42:43], v[12:13]
	v_add_f64 v[118:119], v[44:45], v[14:15]
	ds_read_b128 v[12:15], v110 offset:2304
	v_add_f64 v[60:61], v[60:61], v[22:23]
	v_add_f64 v[54:55], v[54:55], v[20:21]
	;; [unrolled: 1-line block ×3, first 2 shown]
	s_waitcnt lgkmcnt(0)
	v_mul_f64 v[16:17], v[6:7], v[14:15]
	v_mul_f64 v[18:19], v[4:5], v[14:15]
	v_fma_f64 v[16:17], v[4:5], v[12:13], -v[16:17]
	v_fmac_f64_e32 v[18:19], v[6:7], v[12:13]
	v_add_f64 v[120:121], v[38:39], v[16:17]
	v_add_f64 v[122:123], v[40:41], v[18:19]
	ds_read_b128 v[16:19], v110 offset:2560
	s_waitcnt lgkmcnt(0)
	v_mul_f64 v[20:21], v[6:7], v[18:19]
	v_mul_f64 v[22:23], v[4:5], v[18:19]
	v_fma_f64 v[20:21], v[4:5], v[16:17], -v[20:21]
	v_fmac_f64_e32 v[22:23], v[6:7], v[16:17]
	v_add_f64 v[124:125], v[34:35], v[20:21]
	v_add_f64 v[126:127], v[36:37], v[22:23]
	ds_read_b128 v[20:23], v110 offset:2816
	s_waitcnt lgkmcnt(0)
	v_mul_f64 v[34:35], v[6:7], v[22:23]
	v_fma_f64 v[34:35], v[4:5], v[20:21], -v[34:35]
	v_mul_f64 v[4:5], v[4:5], v[22:23]
	v_fmac_f64_e32 v[4:5], v[6:7], v[20:21]
	v_add_f64 v[130:131], v[32:33], v[4:5]
	ds_read_b128 v[4:7], v111 offset:1056
	v_add_f64 v[128:129], v[30:31], v[34:35]
	s_waitcnt lgkmcnt(0)
	v_mul_f64 v[30:31], v[6:7], v[10:11]
	v_fma_f64 v[30:31], v[4:5], v[8:9], -v[30:31]
	v_add_f64 v[40:41], v[62:63], v[30:31]
	v_mul_f64 v[30:31], v[6:7], v[14:15]
	v_mul_f64 v[32:33], v[4:5], v[10:11]
	v_fma_f64 v[30:31], v[4:5], v[12:13], -v[30:31]
	v_fmac_f64_e32 v[32:33], v[6:7], v[8:9]
	v_add_f64 v[48:49], v[66:67], v[30:31]
	v_mul_f64 v[30:31], v[6:7], v[18:19]
	v_add_f64 v[44:45], v[64:65], v[32:33]
	v_mul_f64 v[32:33], v[4:5], v[14:15]
	v_fma_f64 v[30:31], v[4:5], v[16:17], -v[30:31]
	v_fmac_f64_e32 v[32:33], v[6:7], v[12:13]
	v_add_f64 v[58:59], v[70:71], v[30:31]
	v_mul_f64 v[30:31], v[6:7], v[22:23]
	v_add_f64 v[52:53], v[68:69], v[32:33]
	v_mul_f64 v[32:33], v[4:5], v[18:19]
	v_fma_f64 v[30:31], v[4:5], v[20:21], -v[30:31]
	v_mul_f64 v[4:5], v[4:5], v[22:23]
	v_fmac_f64_e32 v[4:5], v[6:7], v[20:21]
	v_fmac_f64_e32 v[32:33], v[6:7], v[16:17]
	v_add_f64 v[68:69], v[76:77], v[4:5]
	ds_read_b128 v[4:7], v111 offset:2080
	v_add_f64 v[66:67], v[74:75], v[30:31]
	v_add_f64 v[62:63], v[72:73], v[32:33]
	s_waitcnt lgkmcnt(0)
	v_mul_f64 v[30:31], v[6:7], v[10:11]
	v_fma_f64 v[30:31], v[4:5], v[8:9], -v[30:31]
	v_add_f64 v[38:39], v[78:79], v[30:31]
	v_mul_f64 v[30:31], v[6:7], v[14:15]
	v_mul_f64 v[32:33], v[4:5], v[10:11]
	v_fma_f64 v[30:31], v[4:5], v[12:13], -v[30:31]
	v_fmac_f64_e32 v[32:33], v[6:7], v[8:9]
	v_add_f64 v[46:47], v[82:83], v[30:31]
	v_mul_f64 v[30:31], v[6:7], v[18:19]
	v_add_f64 v[42:43], v[80:81], v[32:33]
	v_mul_f64 v[32:33], v[4:5], v[14:15]
	v_fma_f64 v[30:31], v[4:5], v[16:17], -v[30:31]
	v_fmac_f64_e32 v[32:33], v[6:7], v[12:13]
	v_add_f64 v[90:91], v[86:87], v[30:31]
	v_mul_f64 v[30:31], v[6:7], v[22:23]
	v_add_f64 v[50:51], v[84:85], v[32:33]
	v_mul_f64 v[32:33], v[4:5], v[18:19]
	v_fma_f64 v[30:31], v[4:5], v[20:21], -v[30:31]
	v_mul_f64 v[4:5], v[4:5], v[22:23]
	v_fmac_f64_e32 v[4:5], v[6:7], v[20:21]
	v_fmac_f64_e32 v[32:33], v[6:7], v[16:17]
	v_add_f64 v[96:97], v[96:97], v[4:5]
	ds_read_b128 v[4:7], v111 offset:3104
	v_add_f64 v[94:95], v[94:95], v[30:31]
	v_add_f64 v[92:93], v[88:89], v[32:33]
	s_waitcnt lgkmcnt(0)
	v_mul_f64 v[30:31], v[6:7], v[10:11]
	v_mul_f64 v[10:11], v[4:5], v[10:11]
	v_fmac_f64_e32 v[10:11], v[6:7], v[8:9]
	v_fma_f64 v[30:31], v[4:5], v[8:9], -v[30:31]
	v_add_f64 v[76:77], v[60:61], v[10:11]
	v_mul_f64 v[8:9], v[6:7], v[14:15]
	v_mul_f64 v[10:11], v[4:5], v[14:15]
	v_fma_f64 v[8:9], v[4:5], v[12:13], -v[8:9]
	v_fmac_f64_e32 v[10:11], v[6:7], v[12:13]
	v_add_f64 v[86:87], v[54:55], v[8:9]
	v_add_f64 v[88:89], v[56:57], v[10:11]
	v_mul_f64 v[8:9], v[6:7], v[18:19]
	v_mul_f64 v[10:11], v[4:5], v[18:19]
	v_fma_f64 v[8:9], v[4:5], v[16:17], -v[8:9]
	v_fmac_f64_e32 v[10:11], v[6:7], v[16:17]
	ds_read_b128 v[16:19], v110 offset:3072
	ds_read_b128 v[12:15], v110 offset:3328
	v_add_f64 v[82:83], v[100:101], v[8:9]
	v_mul_f64 v[8:9], v[6:7], v[22:23]
	v_fma_f64 v[8:9], v[4:5], v[20:21], -v[8:9]
	v_mul_f64 v[4:5], v[4:5], v[22:23]
	v_add_f64 v[84:85], v[102:103], v[10:11]
	v_fmac_f64_e32 v[4:5], v[6:7], v[20:21]
	v_add_f64 v[78:79], v[104:105], v[8:9]
	ds_read_b128 v[8:11], v110 offset:3584
	v_add_f64 v[80:81], v[114:115], v[4:5]
	s_waitcnt lgkmcnt(2)
	v_mul_f64 v[4:5], v[2:3], v[18:19]
	v_mul_f64 v[6:7], v[0:1], v[18:19]
	v_fma_f64 v[4:5], v[0:1], v[16:17], -v[4:5]
	v_fmac_f64_e32 v[6:7], v[2:3], v[16:17]
	v_add_f64 v[54:55], v[116:117], v[4:5]
	v_add_f64 v[56:57], v[118:119], v[6:7]
	s_waitcnt lgkmcnt(1)
	v_mul_f64 v[4:5], v[2:3], v[14:15]
	v_mul_f64 v[6:7], v[0:1], v[14:15]
	v_fma_f64 v[4:5], v[0:1], v[12:13], -v[4:5]
	v_fmac_f64_e32 v[6:7], v[2:3], v[12:13]
	v_add_f64 v[34:35], v[120:121], v[4:5]
	;; [unrolled: 7-line block ×3, first 2 shown]
	v_add_f64 v[30:31], v[124:125], v[4:5]
	v_add_f64 v[32:33], v[126:127], v[6:7]
	ds_read_b128 v[4:7], v110 offset:3840
	s_waitcnt lgkmcnt(0)
	v_mul_f64 v[20:21], v[2:3], v[6:7]
	v_fma_f64 v[20:21], v[0:1], v[4:5], -v[20:21]
	v_mul_f64 v[0:1], v[0:1], v[6:7]
	v_fmac_f64_e32 v[0:1], v[2:3], v[4:5]
	v_add_f64 v[22:23], v[130:131], v[0:1]
	ds_read_b128 v[0:3], v111 offset:1072
	v_add_f64 v[20:21], v[128:129], v[20:21]
	s_waitcnt lgkmcnt(0)
	v_mul_f64 v[60:61], v[2:3], v[18:19]
	v_fma_f64 v[60:61], v[0:1], v[16:17], -v[60:61]
	v_add_f64 v[70:71], v[40:41], v[60:61]
	v_mul_f64 v[40:41], v[2:3], v[14:15]
	v_mul_f64 v[64:65], v[0:1], v[18:19]
	v_fma_f64 v[40:41], v[0:1], v[12:13], -v[40:41]
	v_fmac_f64_e32 v[64:65], v[2:3], v[16:17]
	v_add_f64 v[60:61], v[48:49], v[40:41]
	v_mul_f64 v[40:41], v[2:3], v[10:11]
	v_add_f64 v[72:73], v[44:45], v[64:65]
	v_mul_f64 v[44:45], v[0:1], v[14:15]
	v_fma_f64 v[40:41], v[0:1], v[8:9], -v[40:41]
	v_fmac_f64_e32 v[44:45], v[2:3], v[12:13]
	v_add_f64 v[48:49], v[58:59], v[40:41]
	v_mul_f64 v[40:41], v[2:3], v[6:7]
	v_add_f64 v[64:65], v[52:53], v[44:45]
	v_mul_f64 v[44:45], v[0:1], v[10:11]
	v_fma_f64 v[40:41], v[0:1], v[4:5], -v[40:41]
	v_mul_f64 v[0:1], v[0:1], v[6:7]
	v_fmac_f64_e32 v[44:45], v[2:3], v[8:9]
	v_fmac_f64_e32 v[0:1], v[2:3], v[4:5]
	v_add_f64 v[52:53], v[62:63], v[44:45]
	v_add_f64 v[44:45], v[68:69], v[0:1]
	ds_read_b128 v[0:3], v111 offset:2096
	v_add_f64 v[40:41], v[66:67], v[40:41]
	s_waitcnt lgkmcnt(0)
	v_mul_f64 v[58:59], v[2:3], v[18:19]
	v_fma_f64 v[58:59], v[0:1], v[16:17], -v[58:59]
	v_add_f64 v[66:67], v[38:39], v[58:59]
	v_mul_f64 v[38:39], v[2:3], v[14:15]
	v_mul_f64 v[62:63], v[0:1], v[18:19]
	v_fma_f64 v[38:39], v[0:1], v[12:13], -v[38:39]
	v_fmac_f64_e32 v[62:63], v[2:3], v[16:17]
	v_add_f64 v[58:59], v[46:47], v[38:39]
	v_mul_f64 v[38:39], v[2:3], v[10:11]
	v_add_f64 v[68:69], v[42:43], v[62:63]
	v_mul_f64 v[42:43], v[0:1], v[14:15]
	v_fma_f64 v[38:39], v[0:1], v[8:9], -v[38:39]
	v_fmac_f64_e32 v[42:43], v[2:3], v[12:13]
	v_add_f64 v[46:47], v[90:91], v[38:39]
	v_mul_f64 v[38:39], v[2:3], v[6:7]
	v_add_f64 v[62:63], v[50:51], v[42:43]
	v_mul_f64 v[42:43], v[0:1], v[10:11]
	v_fma_f64 v[38:39], v[0:1], v[4:5], -v[38:39]
	v_mul_f64 v[0:1], v[0:1], v[6:7]
	v_fmac_f64_e32 v[42:43], v[2:3], v[8:9]
	v_fmac_f64_e32 v[0:1], v[2:3], v[4:5]
	v_add_f64 v[50:51], v[92:93], v[42:43]
	v_add_f64 v[42:43], v[96:97], v[0:1]
	ds_read_b128 v[0:3], v111 offset:3120
	v_add_f64 v[38:39], v[94:95], v[38:39]
	s_waitcnt lgkmcnt(0)
	s_barrier
	v_mul_f64 v[90:91], v[2:3], v[18:19]
	v_mul_f64 v[18:19], v[0:1], v[18:19]
	v_fma_f64 v[90:91], v[0:1], v[16:17], -v[90:91]
	v_fmac_f64_e32 v[18:19], v[2:3], v[16:17]
	v_mul_f64 v[16:17], v[2:3], v[14:15]
	v_mul_f64 v[14:15], v[0:1], v[14:15]
	v_fma_f64 v[16:17], v[0:1], v[12:13], -v[16:17]
	v_fmac_f64_e32 v[14:15], v[2:3], v[12:13]
	;; [unrolled: 4-line block ×3, first 2 shown]
	v_mul_f64 v[8:9], v[2:3], v[6:7]
	v_fma_f64 v[8:9], v[0:1], v[4:5], -v[8:9]
	v_mul_f64 v[0:1], v[0:1], v[6:7]
	v_fmac_f64_e32 v[0:1], v[2:3], v[4:5]
	v_add_f64 v[74:75], v[74:75], v[90:91]
	v_add_f64 v[76:77], v[76:77], v[18:19]
	v_add_f64 v[16:17], v[86:87], v[16:17]
	v_add_f64 v[18:19], v[88:89], v[14:15]
	v_add_f64 v[12:13], v[82:83], v[12:13]
	v_add_f64 v[14:15], v[84:85], v[10:11]
	v_add_f64 v[10:11], v[78:79], v[8:9]
	v_add_f64 v[8:9], v[80:81], v[0:1]
	s_cbranch_vccnz .LBB265_2
	s_branch .LBB265_4
.LBB265_3:
	v_pk_mov_b32 v[54:55], 0, 0
	v_pk_mov_b32 v[56:57], 0, 0
	v_pk_mov_b32 v[34:35], 0, 0
	v_pk_mov_b32 v[36:37], 0, 0
	v_pk_mov_b32 v[30:31], 0, 0
	v_pk_mov_b32 v[32:33], 0, 0
	v_pk_mov_b32 v[20:21], 0, 0
	v_pk_mov_b32 v[22:23], 0, 0
	v_pk_mov_b32 v[70:71], 0, 0
	v_pk_mov_b32 v[72:73], 0, 0
	v_pk_mov_b32 v[60:61], 0, 0
	v_pk_mov_b32 v[64:65], 0, 0
	v_pk_mov_b32 v[48:49], 0, 0
	v_pk_mov_b32 v[52:53], 0, 0
	v_pk_mov_b32 v[40:41], 0, 0
	v_pk_mov_b32 v[44:45], 0, 0
	v_pk_mov_b32 v[66:67], 0, 0
	v_pk_mov_b32 v[68:69], 0, 0
	v_pk_mov_b32 v[58:59], 0, 0
	v_pk_mov_b32 v[62:63], 0, 0
	v_pk_mov_b32 v[46:47], 0, 0
	v_pk_mov_b32 v[50:51], 0, 0
	v_pk_mov_b32 v[38:39], 0, 0
	v_pk_mov_b32 v[42:43], 0, 0
	v_pk_mov_b32 v[74:75], 0, 0
	v_pk_mov_b32 v[76:77], 0, 0
	v_pk_mov_b32 v[16:17], 0, 0
	v_pk_mov_b32 v[18:19], 0, 0
	v_pk_mov_b32 v[12:13], 0, 0
	v_pk_mov_b32 v[14:15], 0, 0
	v_pk_mov_b32 v[10:11], 0, 0
	v_pk_mov_b32 v[8:9], 0, 0
.LBB265_4:
	s_load_dwordx2 s[4:5], s[4:5], 0x90
	v_mov_b32_e32 v0, s7
	v_add_co_u32_e32 v6, vcc, s6, v107
	v_addc_co_u32_e32 v7, vcc, 0, v0, vcc
	s_waitcnt lgkmcnt(0)
	s_lshl_b64 s[4:5], s[4:5], 4
	s_add_u32 s7, s8, s4
	v_cmp_neq_f64_e64 s[10:11], s[14:15], 0
	v_cmp_neq_f64_e64 s[12:13], s[16:17], 0
	v_mov_b32_e32 v1, s3
	v_add_co_u32_e32 v0, vcc, s2, v106
	s_addc_u32 s8, s9, s5
	s_or_b64 s[10:11], s[10:11], s[12:13]
	v_addc_co_u32_e32 v1, vcc, 0, v1, vcc
	s_mov_b64 s[4:5], 0
	s_and_b64 vcc, exec, s[10:11]
	s_cbranch_vccnz .LBB265_6
; %bb.5:
	v_mul_lo_u32 v4, v7, s26
	v_mul_lo_u32 v5, v6, s27
	v_mad_u64_u32 v[2:3], s[2:3], v6, s26, 0
	v_add3_u32 v3, v3, v5, v4
	v_lshlrev_b64 v[2:3], 4, v[2:3]
	v_mov_b32_e32 v4, s8
	v_add_co_u32_e32 v26, vcc, s7, v2
	v_addc_co_u32_e32 v27, vcc, v4, v3, vcc
	v_lshlrev_b64 v[24:25], 4, v[0:1]
	v_mul_f64 v[2:3], s[40:41], v[56:57]
	v_mul_f64 v[4:5], s[38:39], v[56:57]
	v_add_co_u32_e32 v24, vcc, v26, v24
	v_fma_f64 v[2:3], s[38:39], v[54:55], -v[2:3]
	v_fmac_f64_e32 v[4:5], s[40:41], v[54:55]
	v_addc_co_u32_e32 v25, vcc, v27, v25, vcc
	global_store_dwordx4 v[24:25], v[2:5], off
	s_lshl_b64 s[2:3], s[26:27], 8
	v_mul_f64 v[2:3], s[40:41], v[36:37]
	v_mul_f64 v[4:5], s[38:39], v[36:37]
	v_fma_f64 v[2:3], s[38:39], v[34:35], -v[2:3]
	v_fmac_f64_e32 v[4:5], s[40:41], v[34:35]
	global_store_dwordx4 v[24:25], v[2:5], off offset:256
	v_mov_b32_e32 v26, s3
	v_mul_f64 v[2:3], s[40:41], v[32:33]
	v_mul_f64 v[4:5], s[38:39], v[32:33]
	v_fma_f64 v[2:3], s[38:39], v[30:31], -v[2:3]
	v_fmac_f64_e32 v[4:5], s[40:41], v[30:31]
	global_store_dwordx4 v[24:25], v[2:5], off offset:512
	s_nop 0
	v_mul_f64 v[2:3], s[40:41], v[22:23]
	v_mul_f64 v[4:5], s[38:39], v[22:23]
	v_fma_f64 v[2:3], s[38:39], v[20:21], -v[2:3]
	v_fmac_f64_e32 v[4:5], s[40:41], v[20:21]
	global_store_dwordx4 v[24:25], v[2:5], off offset:768
	v_add_co_u32_e32 v24, vcc, s2, v24
	v_mul_f64 v[2:3], s[40:41], v[72:73]
	v_mul_f64 v[4:5], s[38:39], v[72:73]
	v_fma_f64 v[2:3], s[38:39], v[70:71], -v[2:3]
	v_fmac_f64_e32 v[4:5], s[40:41], v[70:71]
	v_addc_co_u32_e32 v25, vcc, v25, v26, vcc
	global_store_dwordx4 v[24:25], v[2:5], off
	s_nop 0
	v_mul_f64 v[2:3], s[40:41], v[64:65]
	v_mul_f64 v[4:5], s[38:39], v[64:65]
	v_fma_f64 v[2:3], s[38:39], v[60:61], -v[2:3]
	v_fmac_f64_e32 v[4:5], s[40:41], v[60:61]
	global_store_dwordx4 v[24:25], v[2:5], off offset:256
	s_nop 0
	v_mul_f64 v[2:3], s[40:41], v[52:53]
	v_mul_f64 v[4:5], s[38:39], v[52:53]
	v_fma_f64 v[2:3], s[38:39], v[48:49], -v[2:3]
	v_fmac_f64_e32 v[4:5], s[40:41], v[48:49]
	global_store_dwordx4 v[24:25], v[2:5], off offset:512
	s_nop 0
	v_mul_f64 v[2:3], s[40:41], v[44:45]
	v_mul_f64 v[4:5], s[38:39], v[44:45]
	v_fma_f64 v[2:3], s[38:39], v[40:41], -v[2:3]
	v_fmac_f64_e32 v[4:5], s[40:41], v[40:41]
	global_store_dwordx4 v[24:25], v[2:5], off offset:768
	v_add_co_u32_e32 v24, vcc, s2, v24
	v_mul_f64 v[2:3], s[40:41], v[68:69]
	v_mul_f64 v[4:5], s[38:39], v[68:69]
	v_fma_f64 v[2:3], s[38:39], v[66:67], -v[2:3]
	v_fmac_f64_e32 v[4:5], s[40:41], v[66:67]
	v_addc_co_u32_e32 v25, vcc, v25, v26, vcc
	global_store_dwordx4 v[24:25], v[2:5], off
	s_nop 0
	v_mul_f64 v[2:3], s[40:41], v[62:63]
	v_mul_f64 v[4:5], s[38:39], v[62:63]
	v_fma_f64 v[2:3], s[38:39], v[58:59], -v[2:3]
	v_fmac_f64_e32 v[4:5], s[40:41], v[58:59]
	global_store_dwordx4 v[24:25], v[2:5], off offset:256
	s_nop 0
	;; [unrolled: 25-line block ×3, first 2 shown]
	v_mul_f64 v[2:3], s[40:41], v[14:15]
	v_mul_f64 v[4:5], s[38:39], v[14:15]
	v_fma_f64 v[2:3], s[38:39], v[12:13], -v[2:3]
	v_fmac_f64_e32 v[4:5], s[40:41], v[12:13]
	global_store_dwordx4 v[24:25], v[2:5], off offset:512
	s_nop 0
	v_mul_f64 v[2:3], s[40:41], v[8:9]
	v_fma_f64 v[26:27], s[38:39], v[10:11], -v[2:3]
	v_mul_f64 v[4:5], s[38:39], v[8:9]
	v_add_co_u32_e32 v2, vcc, 0x300, v24
	v_fmac_f64_e32 v[4:5], s[40:41], v[10:11]
	v_addc_co_u32_e32 v3, vcc, 0, v25, vcc
	global_store_dwordx2 v[24:25], v[26:27], off offset:768
	s_andn2_b64 vcc, exec, s[4:5]
	s_cbranch_vccz .LBB265_7
	s_branch .LBB265_8
.LBB265_6:
                                        ; implicit-def: $vgpr4_vgpr5
                                        ; implicit-def: $vgpr2_vgpr3
.LBB265_7:
	s_lshl_b64 s[2:3], s[22:23], 4
	s_add_u32 s2, s0, s2
	s_addc_u32 s3, s1, s3
	v_mul_lo_u32 v4, v7, s20
	v_mul_lo_u32 v5, v6, s21
	v_mad_u64_u32 v[2:3], s[0:1], v6, s20, 0
	v_add3_u32 v3, v3, v5, v4
	v_lshlrev_b64 v[2:3], 4, v[2:3]
	v_mov_b32_e32 v4, s3
	v_add_co_u32_e32 v2, vcc, s2, v2
	v_addc_co_u32_e32 v3, vcc, v4, v3, vcc
	v_lshlrev_b64 v[4:5], 4, v[0:1]
	v_add_co_u32_e32 v24, vcc, v2, v4
	v_addc_co_u32_e32 v25, vcc, v3, v5, vcc
	global_load_dwordx4 v[0:3], v[24:25], off
	v_mul_lo_u32 v78, v7, s26
	v_mul_lo_u32 v79, v6, s27
	v_mad_u64_u32 v[6:7], s[0:1], v6, s26, 0
	v_add3_u32 v7, v7, v79, v78
	v_lshlrev_b64 v[6:7], 4, v[6:7]
	v_mov_b32_e32 v80, s8
	v_add_co_u32_e32 v6, vcc, s7, v6
	v_addc_co_u32_e32 v7, vcc, v80, v7, vcc
	v_add_co_u32_e32 v4, vcc, v6, v4
	v_mul_f64 v[26:27], s[40:41], v[56:57]
	v_mul_f64 v[28:29], s[38:39], v[56:57]
	v_addc_co_u32_e32 v5, vcc, v7, v5, vcc
	v_fma_f64 v[26:27], s[38:39], v[54:55], -v[26:27]
	v_fmac_f64_e32 v[28:29], s[40:41], v[54:55]
	s_lshl_b64 s[0:1], s[20:21], 8
	s_lshl_b64 s[2:3], s[26:27], 8
	s_waitcnt vmcnt(0)
	v_mul_f64 v[6:7], s[16:17], v[2:3]
	v_mul_f64 v[2:3], s[14:15], v[2:3]
	v_fma_f64 v[6:7], s[14:15], v[0:1], -v[6:7]
	v_fmac_f64_e32 v[2:3], s[16:17], v[0:1]
	v_add_f64 v[0:1], v[26:27], v[6:7]
	v_add_f64 v[2:3], v[28:29], v[2:3]
	global_store_dwordx4 v[4:5], v[0:3], off
	global_load_dwordx4 v[0:3], v[24:25], off offset:256
	v_mul_f64 v[6:7], s[40:41], v[36:37]
	v_mul_f64 v[26:27], s[38:39], v[36:37]
	v_fma_f64 v[6:7], s[38:39], v[34:35], -v[6:7]
	v_fmac_f64_e32 v[26:27], s[40:41], v[34:35]
	s_waitcnt vmcnt(0)
	v_mul_f64 v[28:29], s[16:17], v[2:3]
	v_mul_f64 v[2:3], s[14:15], v[2:3]
	v_fma_f64 v[28:29], s[14:15], v[0:1], -v[28:29]
	v_fmac_f64_e32 v[2:3], s[16:17], v[0:1]
	v_add_f64 v[0:1], v[6:7], v[28:29]
	v_add_f64 v[2:3], v[26:27], v[2:3]
	global_store_dwordx4 v[4:5], v[0:3], off offset:256
	global_load_dwordx4 v[0:3], v[24:25], off offset:512
	v_mul_f64 v[6:7], s[40:41], v[32:33]
	v_mul_f64 v[26:27], s[38:39], v[32:33]
	v_fma_f64 v[6:7], s[38:39], v[30:31], -v[6:7]
	v_fmac_f64_e32 v[26:27], s[40:41], v[30:31]
	s_waitcnt vmcnt(0)
	v_mul_f64 v[28:29], s[16:17], v[2:3]
	v_mul_f64 v[2:3], s[14:15], v[2:3]
	v_fma_f64 v[28:29], s[14:15], v[0:1], -v[28:29]
	v_fmac_f64_e32 v[2:3], s[16:17], v[0:1]
	v_add_f64 v[0:1], v[6:7], v[28:29]
	v_add_f64 v[2:3], v[26:27], v[2:3]
	global_store_dwordx4 v[4:5], v[0:3], off offset:512
	global_load_dwordx4 v[0:3], v[24:25], off offset:768
	v_mul_f64 v[6:7], s[40:41], v[22:23]
	v_mul_f64 v[22:23], s[38:39], v[22:23]
	v_fma_f64 v[6:7], s[38:39], v[20:21], -v[6:7]
	v_fmac_f64_e32 v[22:23], s[40:41], v[20:21]
	v_mov_b32_e32 v26, s1
	v_add_co_u32_e32 v20, vcc, s0, v24
	v_addc_co_u32_e32 v21, vcc, v25, v26, vcc
	v_mov_b32_e32 v27, s3
	s_waitcnt vmcnt(0)
	v_mul_f64 v[24:25], s[16:17], v[2:3]
	v_mul_f64 v[2:3], s[14:15], v[2:3]
	v_fma_f64 v[24:25], s[14:15], v[0:1], -v[24:25]
	v_fmac_f64_e32 v[2:3], s[16:17], v[0:1]
	v_add_f64 v[0:1], v[6:7], v[24:25]
	v_add_f64 v[2:3], v[22:23], v[2:3]
	global_store_dwordx4 v[4:5], v[0:3], off offset:768
	global_load_dwordx4 v[0:3], v[20:21], off
	v_mul_f64 v[6:7], s[40:41], v[72:73]
	v_mul_f64 v[22:23], s[38:39], v[72:73]
	v_fma_f64 v[6:7], s[38:39], v[70:71], -v[6:7]
	v_fmac_f64_e32 v[22:23], s[40:41], v[70:71]
	v_add_co_u32_e32 v4, vcc, s2, v4
	v_addc_co_u32_e32 v5, vcc, v5, v27, vcc
	s_waitcnt vmcnt(0)
	v_mul_f64 v[24:25], s[16:17], v[2:3]
	v_mul_f64 v[2:3], s[14:15], v[2:3]
	v_fma_f64 v[24:25], s[14:15], v[0:1], -v[24:25]
	v_fmac_f64_e32 v[2:3], s[16:17], v[0:1]
	v_add_f64 v[0:1], v[6:7], v[24:25]
	v_add_f64 v[2:3], v[22:23], v[2:3]
	global_store_dwordx4 v[4:5], v[0:3], off
	global_load_dwordx4 v[0:3], v[20:21], off offset:256
	v_mul_f64 v[6:7], s[40:41], v[64:65]
	v_mul_f64 v[22:23], s[38:39], v[64:65]
	v_fma_f64 v[6:7], s[38:39], v[60:61], -v[6:7]
	v_fmac_f64_e32 v[22:23], s[40:41], v[60:61]
	s_waitcnt vmcnt(0)
	v_mul_f64 v[24:25], s[16:17], v[2:3]
	v_mul_f64 v[2:3], s[14:15], v[2:3]
	v_fma_f64 v[24:25], s[14:15], v[0:1], -v[24:25]
	v_fmac_f64_e32 v[2:3], s[16:17], v[0:1]
	v_add_f64 v[0:1], v[6:7], v[24:25]
	v_add_f64 v[2:3], v[22:23], v[2:3]
	global_store_dwordx4 v[4:5], v[0:3], off offset:256
	global_load_dwordx4 v[0:3], v[20:21], off offset:512
	v_mul_f64 v[6:7], s[40:41], v[52:53]
	v_mul_f64 v[22:23], s[38:39], v[52:53]
	v_fma_f64 v[6:7], s[38:39], v[48:49], -v[6:7]
	v_fmac_f64_e32 v[22:23], s[40:41], v[48:49]
	s_waitcnt vmcnt(0)
	v_mul_f64 v[24:25], s[16:17], v[2:3]
	v_mul_f64 v[2:3], s[14:15], v[2:3]
	v_fma_f64 v[24:25], s[14:15], v[0:1], -v[24:25]
	v_fmac_f64_e32 v[2:3], s[16:17], v[0:1]
	v_add_f64 v[0:1], v[6:7], v[24:25]
	v_add_f64 v[2:3], v[22:23], v[2:3]
	global_store_dwordx4 v[4:5], v[0:3], off offset:512
	global_load_dwordx4 v[0:3], v[20:21], off offset:768
	v_mul_f64 v[6:7], s[40:41], v[44:45]
	v_mul_f64 v[22:23], s[38:39], v[44:45]
	v_fma_f64 v[6:7], s[38:39], v[40:41], -v[6:7]
	v_fmac_f64_e32 v[22:23], s[40:41], v[40:41]
	v_add_co_u32_e32 v20, vcc, s0, v20
	v_addc_co_u32_e32 v21, vcc, v21, v26, vcc
	s_waitcnt vmcnt(0)
	v_mul_f64 v[24:25], s[16:17], v[2:3]
	v_mul_f64 v[2:3], s[14:15], v[2:3]
	v_fma_f64 v[24:25], s[14:15], v[0:1], -v[24:25]
	v_fmac_f64_e32 v[2:3], s[16:17], v[0:1]
	v_add_f64 v[0:1], v[6:7], v[24:25]
	v_add_f64 v[2:3], v[22:23], v[2:3]
	global_store_dwordx4 v[4:5], v[0:3], off offset:768
	global_load_dwordx4 v[0:3], v[20:21], off
	v_mul_f64 v[6:7], s[40:41], v[68:69]
	v_mul_f64 v[22:23], s[38:39], v[68:69]
	v_fma_f64 v[6:7], s[38:39], v[66:67], -v[6:7]
	v_fmac_f64_e32 v[22:23], s[40:41], v[66:67]
	v_add_co_u32_e32 v4, vcc, s2, v4
	v_addc_co_u32_e32 v5, vcc, v5, v27, vcc
	s_waitcnt vmcnt(0)
	v_mul_f64 v[24:25], s[16:17], v[2:3]
	v_mul_f64 v[2:3], s[14:15], v[2:3]
	v_fma_f64 v[24:25], s[14:15], v[0:1], -v[24:25]
	v_fmac_f64_e32 v[2:3], s[16:17], v[0:1]
	v_add_f64 v[0:1], v[6:7], v[24:25]
	v_add_f64 v[2:3], v[22:23], v[2:3]
	global_store_dwordx4 v[4:5], v[0:3], off
	global_load_dwordx4 v[0:3], v[20:21], off offset:256
	v_mul_f64 v[6:7], s[40:41], v[62:63]
	v_mul_f64 v[22:23], s[38:39], v[62:63]
	v_fma_f64 v[6:7], s[38:39], v[58:59], -v[6:7]
	v_fmac_f64_e32 v[22:23], s[40:41], v[58:59]
	s_waitcnt vmcnt(0)
	v_mul_f64 v[24:25], s[16:17], v[2:3]
	v_mul_f64 v[2:3], s[14:15], v[2:3]
	v_fma_f64 v[24:25], s[14:15], v[0:1], -v[24:25]
	v_fmac_f64_e32 v[2:3], s[16:17], v[0:1]
	v_add_f64 v[0:1], v[6:7], v[24:25]
	v_add_f64 v[2:3], v[22:23], v[2:3]
	global_store_dwordx4 v[4:5], v[0:3], off offset:256
	global_load_dwordx4 v[0:3], v[20:21], off offset:512
	v_mul_f64 v[6:7], s[40:41], v[50:51]
	v_mul_f64 v[22:23], s[38:39], v[50:51]
	v_fma_f64 v[6:7], s[38:39], v[46:47], -v[6:7]
	v_fmac_f64_e32 v[22:23], s[40:41], v[46:47]
	s_waitcnt vmcnt(0)
	v_mul_f64 v[24:25], s[16:17], v[2:3]
	v_mul_f64 v[2:3], s[14:15], v[2:3]
	v_fma_f64 v[24:25], s[14:15], v[0:1], -v[24:25]
	v_fmac_f64_e32 v[2:3], s[16:17], v[0:1]
	v_add_f64 v[0:1], v[6:7], v[24:25]
	v_add_f64 v[2:3], v[22:23], v[2:3]
	global_store_dwordx4 v[4:5], v[0:3], off offset:512
	global_load_dwordx4 v[0:3], v[20:21], off offset:768
	v_mul_f64 v[6:7], s[40:41], v[42:43]
	v_mul_f64 v[22:23], s[38:39], v[42:43]
	v_fma_f64 v[6:7], s[38:39], v[38:39], -v[6:7]
	v_fmac_f64_e32 v[22:23], s[40:41], v[38:39]
	v_add_co_u32_e32 v20, vcc, s0, v20
	v_addc_co_u32_e32 v21, vcc, v21, v26, vcc
	s_waitcnt vmcnt(0)
	v_mul_f64 v[24:25], s[16:17], v[2:3]
	v_mul_f64 v[2:3], s[14:15], v[2:3]
	v_fma_f64 v[24:25], s[14:15], v[0:1], -v[24:25]
	v_fmac_f64_e32 v[2:3], s[16:17], v[0:1]
	v_add_f64 v[0:1], v[6:7], v[24:25]
	v_add_f64 v[2:3], v[22:23], v[2:3]
	global_store_dwordx4 v[4:5], v[0:3], off offset:768
	global_load_dwordx4 v[0:3], v[20:21], off
	v_add_co_u32_e32 v24, vcc, s2, v4
	v_mul_f64 v[6:7], s[40:41], v[76:77]
	v_mul_f64 v[22:23], s[38:39], v[76:77]
	v_addc_co_u32_e32 v25, vcc, v5, v27, vcc
	v_fma_f64 v[6:7], s[38:39], v[74:75], -v[6:7]
	v_fmac_f64_e32 v[22:23], s[40:41], v[74:75]
	s_waitcnt vmcnt(0)
	v_mul_f64 v[4:5], s[16:17], v[2:3]
	v_mul_f64 v[2:3], s[14:15], v[2:3]
	v_fma_f64 v[4:5], s[14:15], v[0:1], -v[4:5]
	v_fmac_f64_e32 v[2:3], s[16:17], v[0:1]
	v_add_f64 v[0:1], v[6:7], v[4:5]
	v_add_f64 v[2:3], v[22:23], v[2:3]
	global_store_dwordx4 v[24:25], v[0:3], off
	global_load_dwordx4 v[0:3], v[20:21], off offset:256
	v_mul_f64 v[4:5], s[40:41], v[18:19]
	v_mul_f64 v[6:7], s[38:39], v[18:19]
	v_fma_f64 v[4:5], s[38:39], v[16:17], -v[4:5]
	v_fmac_f64_e32 v[6:7], s[40:41], v[16:17]
	s_waitcnt vmcnt(0)
	v_mul_f64 v[16:17], s[16:17], v[2:3]
	v_mul_f64 v[2:3], s[14:15], v[2:3]
	v_fma_f64 v[16:17], s[14:15], v[0:1], -v[16:17]
	v_fmac_f64_e32 v[2:3], s[16:17], v[0:1]
	v_add_f64 v[0:1], v[4:5], v[16:17]
	v_add_f64 v[2:3], v[6:7], v[2:3]
	global_store_dwordx4 v[24:25], v[0:3], off offset:256
	global_load_dwordx4 v[0:3], v[20:21], off offset:512
	v_mul_f64 v[4:5], s[40:41], v[14:15]
	v_mul_f64 v[6:7], s[38:39], v[14:15]
	v_fma_f64 v[4:5], s[38:39], v[12:13], -v[4:5]
	v_fmac_f64_e32 v[6:7], s[40:41], v[12:13]
	s_waitcnt vmcnt(0)
	v_mul_f64 v[12:13], s[16:17], v[2:3]
	v_mul_f64 v[2:3], s[14:15], v[2:3]
	v_fma_f64 v[12:13], s[14:15], v[0:1], -v[12:13]
	v_fmac_f64_e32 v[2:3], s[16:17], v[0:1]
	v_add_f64 v[0:1], v[4:5], v[12:13]
	v_add_f64 v[2:3], v[6:7], v[2:3]
	global_store_dwordx4 v[24:25], v[0:3], off offset:512
	global_load_dwordx4 v[4:7], v[20:21], off offset:768
	v_mul_f64 v[0:1], s[40:41], v[8:9]
	v_mul_f64 v[8:9], s[38:39], v[8:9]
	v_fma_f64 v[0:1], s[38:39], v[10:11], -v[0:1]
	v_fmac_f64_e32 v[8:9], s[40:41], v[10:11]
	v_add_co_u32_e32 v2, vcc, 0x300, v24
	v_addc_co_u32_e32 v3, vcc, 0, v25, vcc
	s_waitcnt vmcnt(0)
	v_mul_f64 v[10:11], s[16:17], v[6:7]
	v_mul_f64 v[6:7], s[14:15], v[6:7]
	v_fma_f64 v[10:11], s[14:15], v[4:5], -v[10:11]
	v_fmac_f64_e32 v[6:7], s[16:17], v[4:5]
	v_add_f64 v[0:1], v[0:1], v[10:11]
	v_add_f64 v[4:5], v[8:9], v[6:7]
	global_store_dwordx2 v[24:25], v[0:1], off offset:768
.LBB265_8:
	global_store_dwordx2 v[2:3], v[4:5], off offset:8
	s_endpgm
	.section	.rodata,"a",@progbits
	.p2align	6, 0x0
	.amdhsa_kernel _ZN12_GLOBAL__N_127rocblas_gemm_batched_kernelI19rocblas_complex_numIdELi16ELi16ELi64ELi64ELi4ELi64ELi4ELi4ELi64ELc78ELc84EKPKS2_S5_KPS2_EEvlllT_PT11_llSA_llS8_PT12_llPT13_lli
		.amdhsa_group_segment_fixed_size 8192
		.amdhsa_private_segment_fixed_size 0
		.amdhsa_kernarg_size 156
		.amdhsa_user_sgpr_count 6
		.amdhsa_user_sgpr_private_segment_buffer 1
		.amdhsa_user_sgpr_dispatch_ptr 0
		.amdhsa_user_sgpr_queue_ptr 0
		.amdhsa_user_sgpr_kernarg_segment_ptr 1
		.amdhsa_user_sgpr_dispatch_id 0
		.amdhsa_user_sgpr_flat_scratch_init 0
		.amdhsa_user_sgpr_kernarg_preload_length 0
		.amdhsa_user_sgpr_kernarg_preload_offset 0
		.amdhsa_user_sgpr_private_segment_size 0
		.amdhsa_uses_dynamic_stack 0
		.amdhsa_system_sgpr_private_segment_wavefront_offset 0
		.amdhsa_system_sgpr_workgroup_id_x 1
		.amdhsa_system_sgpr_workgroup_id_y 1
		.amdhsa_system_sgpr_workgroup_id_z 1
		.amdhsa_system_sgpr_workgroup_info 0
		.amdhsa_system_vgpr_workitem_id 1
		.amdhsa_next_free_vgpr 138
		.amdhsa_next_free_sgpr 52
		.amdhsa_accum_offset 140
		.amdhsa_reserve_vcc 1
		.amdhsa_reserve_flat_scratch 0
		.amdhsa_float_round_mode_32 0
		.amdhsa_float_round_mode_16_64 0
		.amdhsa_float_denorm_mode_32 3
		.amdhsa_float_denorm_mode_16_64 3
		.amdhsa_dx10_clamp 1
		.amdhsa_ieee_mode 1
		.amdhsa_fp16_overflow 0
		.amdhsa_tg_split 0
		.amdhsa_exception_fp_ieee_invalid_op 0
		.amdhsa_exception_fp_denorm_src 0
		.amdhsa_exception_fp_ieee_div_zero 0
		.amdhsa_exception_fp_ieee_overflow 0
		.amdhsa_exception_fp_ieee_underflow 0
		.amdhsa_exception_fp_ieee_inexact 0
		.amdhsa_exception_int_div_zero 0
	.end_amdhsa_kernel
	.section	.text._ZN12_GLOBAL__N_127rocblas_gemm_batched_kernelI19rocblas_complex_numIdELi16ELi16ELi64ELi64ELi4ELi64ELi4ELi4ELi64ELc78ELc84EKPKS2_S5_KPS2_EEvlllT_PT11_llSA_llS8_PT12_llPT13_lli,"axG",@progbits,_ZN12_GLOBAL__N_127rocblas_gemm_batched_kernelI19rocblas_complex_numIdELi16ELi16ELi64ELi64ELi4ELi64ELi4ELi4ELi64ELc78ELc84EKPKS2_S5_KPS2_EEvlllT_PT11_llSA_llS8_PT12_llPT13_lli,comdat
.Lfunc_end265:
	.size	_ZN12_GLOBAL__N_127rocblas_gemm_batched_kernelI19rocblas_complex_numIdELi16ELi16ELi64ELi64ELi4ELi64ELi4ELi4ELi64ELc78ELc84EKPKS2_S5_KPS2_EEvlllT_PT11_llSA_llS8_PT12_llPT13_lli, .Lfunc_end265-_ZN12_GLOBAL__N_127rocblas_gemm_batched_kernelI19rocblas_complex_numIdELi16ELi16ELi64ELi64ELi4ELi64ELi4ELi4ELi64ELc78ELc84EKPKS2_S5_KPS2_EEvlllT_PT11_llSA_llS8_PT12_llPT13_lli
                                        ; -- End function
	.section	.AMDGPU.csdata,"",@progbits
; Kernel info:
; codeLenInByte = 6700
; NumSgprs: 56
; NumVgprs: 138
; NumAgprs: 0
; TotalNumVgprs: 138
; ScratchSize: 0
; MemoryBound: 0
; FloatMode: 240
; IeeeMode: 1
; LDSByteSize: 8192 bytes/workgroup (compile time only)
; SGPRBlocks: 6
; VGPRBlocks: 17
; NumSGPRsForWavesPerEU: 56
; NumVGPRsForWavesPerEU: 138
; AccumOffset: 140
; Occupancy: 3
; WaveLimiterHint : 1
; COMPUTE_PGM_RSRC2:SCRATCH_EN: 0
; COMPUTE_PGM_RSRC2:USER_SGPR: 6
; COMPUTE_PGM_RSRC2:TRAP_HANDLER: 0
; COMPUTE_PGM_RSRC2:TGID_X_EN: 1
; COMPUTE_PGM_RSRC2:TGID_Y_EN: 1
; COMPUTE_PGM_RSRC2:TGID_Z_EN: 1
; COMPUTE_PGM_RSRC2:TIDIG_COMP_CNT: 1
; COMPUTE_PGM_RSRC3_GFX90A:ACCUM_OFFSET: 34
; COMPUTE_PGM_RSRC3_GFX90A:TG_SPLIT: 0
	.section	.text._ZN12_GLOBAL__N_127rocblas_gemm_batched_kernelI19rocblas_complex_numIdELi16ELi16ELi64ELi64ELi4ELi64ELi4ELi4ELi64ELc84ELc84EKPKS2_S5_KPS2_EEvlllT_PT11_llSA_llS8_PT12_llPT13_lli,"axG",@progbits,_ZN12_GLOBAL__N_127rocblas_gemm_batched_kernelI19rocblas_complex_numIdELi16ELi16ELi64ELi64ELi4ELi64ELi4ELi4ELi64ELc84ELc84EKPKS2_S5_KPS2_EEvlllT_PT11_llSA_llS8_PT12_llPT13_lli,comdat
	.globl	_ZN12_GLOBAL__N_127rocblas_gemm_batched_kernelI19rocblas_complex_numIdELi16ELi16ELi64ELi64ELi4ELi64ELi4ELi4ELi64ELc84ELc84EKPKS2_S5_KPS2_EEvlllT_PT11_llSA_llS8_PT12_llPT13_lli ; -- Begin function _ZN12_GLOBAL__N_127rocblas_gemm_batched_kernelI19rocblas_complex_numIdELi16ELi16ELi64ELi64ELi4ELi64ELi4ELi4ELi64ELc84ELc84EKPKS2_S5_KPS2_EEvlllT_PT11_llSA_llS8_PT12_llPT13_lli
	.p2align	8
	.type	_ZN12_GLOBAL__N_127rocblas_gemm_batched_kernelI19rocblas_complex_numIdELi16ELi16ELi64ELi64ELi4ELi64ELi4ELi4ELi64ELc84ELc84EKPKS2_S5_KPS2_EEvlllT_PT11_llSA_llS8_PT12_llPT13_lli,@function
_ZN12_GLOBAL__N_127rocblas_gemm_batched_kernelI19rocblas_complex_numIdELi16ELi16ELi64ELi64ELi4ELi64ELi4ELi4ELi64ELc84ELc84EKPKS2_S5_KPS2_EEvlllT_PT11_llSA_llS8_PT12_llPT13_lli: ; @_ZN12_GLOBAL__N_127rocblas_gemm_batched_kernelI19rocblas_complex_numIdELi16ELi16ELi64ELi64ELi4ELi64ELi4ELi4ELi64ELc84ELc84EKPKS2_S5_KPS2_EEvlllT_PT11_llSA_llS8_PT12_llPT13_lli
; %bb.0:
	s_load_dwordx16 s[36:51], s[4:5], 0x10
	s_load_dwordx16 s[12:27], s[4:5], 0x50
	s_mov_b32 s9, 0
	s_lshl_b64 s[28:29], s[8:9], 3
	s_mov_b32 s10, s7
	v_bfe_u32 v107, v0, 10, 10
	s_waitcnt lgkmcnt(0)
	s_add_u32 s0, s18, s28
	s_addc_u32 s1, s19, s29
	s_add_u32 s2, s24, s28
	s_addc_u32 s3, s25, s29
	s_load_dwordx2 s[0:1], s[0:1], 0x0
	s_ashr_i32 s7, s6, 31
	s_load_dwordx2 s[8:9], s[2:3], 0x0
	s_ashr_i32 s11, s10, 31
	v_cmp_lt_i64_e64 s[18:19], s[36:37], 1
	v_and_b32_e32 v106, 0x3ff, v0
	s_lshl_b64 s[2:3], s[6:7], 6
	s_lshl_b64 s[6:7], s[10:11], 6
	s_mov_b64 s[10:11], 0
	s_and_b64 vcc, exec, s[18:19]
	s_cbranch_vccnz .LBB266_3
; %bb.1:
	v_lshl_add_u32 v4, v107, 4, v106
	s_add_u32 s18, s42, s28
	v_lshrrev_b32_e32 v5, 2, v4
	s_addc_u32 s19, s43, s29
	v_mov_b32_e32 v1, s7
	v_add_co_u32_e32 v0, vcc, s6, v5
	s_add_u32 s24, s48, s28
	v_addc_co_u32_e32 v1, vcc, 0, v1, vcc
	v_and_b32_e32 v6, 3, v106
	s_addc_u32 s25, s49, s29
	v_mad_u64_u32 v[0:1], s[28:29], v6, s50, v[0:1]
	v_mov_b32_e32 v2, v1
	v_mad_u64_u32 v[2:3], s[28:29], v6, s51, v[2:3]
	v_mov_b32_e32 v1, v2
	v_and_b32_e32 v2, 63, v4
	v_lshrrev_b32_e32 v4, 6, v4
	v_lshlrev_b32_e32 v3, 4, v2
	v_lshl_or_b32 v108, v4, 10, v3
	v_lshlrev_b32_e32 v3, 4, v6
	v_lshl_or_b32 v3, v5, 6, v3
	v_add_u32_e32 v109, 0x1000, v3
	v_mov_b32_e32 v3, 0x1000
	v_lshl_add_u32 v111, v107, 6, v3
	v_mov_b32_e32 v3, s3
	v_add_co_u32_e32 v2, vcc, s2, v2
	v_addc_co_u32_e32 v3, vcc, 0, v3, vcc
	v_mul_lo_u32 v5, s45, v2
	v_mul_lo_u32 v6, s44, v3
	v_mad_u64_u32 v[2:3], s[28:29], s44, v2, 0
	v_add3_u32 v3, v3, v6, v5
	s_load_dwordx2 s[18:19], s[18:19], 0x0
	v_lshlrev_b64 v[2:3], 4, v[2:3]
	s_load_dwordx2 s[24:25], s[24:25], 0x0
	s_lshl_b64 s[28:29], s[46:47], 4
	v_mov_b32_e32 v5, s29
	v_add_co_u32_e32 v2, vcc, s28, v2
	v_addc_co_u32_e32 v3, vcc, v3, v5, vcc
	v_lshlrev_b32_e32 v4, 4, v4
	v_add_co_u32_e32 v2, vcc, v2, v4
	v_addc_co_u32_e32 v3, vcc, 0, v3, vcc
	s_lshl_b64 s[12:13], s[12:13], 4
	s_waitcnt lgkmcnt(0)
	v_mov_b32_e32 v4, s19
	v_add_co_u32_e32 v24, vcc, s18, v2
	s_add_u32 s12, s24, s12
	v_addc_co_u32_e32 v25, vcc, v4, v3, vcc
	v_lshlrev_b64 v[0:1], 4, v[0:1]
	s_addc_u32 s13, s25, s13
	v_mov_b32_e32 v2, s13
	v_add_co_u32_e32 v26, vcc, s12, v0
	s_lshl_b64 s[12:13], s[50:51], 6
	v_lshlrev_b32_e32 v110, 4, v106
	v_addc_co_u32_e32 v27, vcc, v2, v1, vcc
	v_pk_mov_b32 v[8:9], 0, 0
	v_mov_b32_e32 v112, s13
	v_pk_mov_b32 v[28:29], s[36:37], s[36:37] op_sel:[0,1]
	v_pk_mov_b32 v[10:11], 0, 0
	v_pk_mov_b32 v[14:15], 0, 0
	;; [unrolled: 1-line block ×31, first 2 shown]
.LBB266_2:                              ; =>This Inner Loop Header: Depth=1
	global_load_dwordx4 v[0:3], v[24:25], off
	v_add_co_u32_e32 v24, vcc, 64, v24
	v_addc_co_u32_e32 v25, vcc, 0, v25, vcc
	s_add_u32 s10, s10, 4
	s_addc_u32 s11, s11, 0
	s_waitcnt vmcnt(0)
	ds_write2_b64 v108, v[0:1], v[2:3] offset1:1
	global_load_dwordx4 v[0:3], v[26:27], off
	v_add_co_u32_e32 v26, vcc, s12, v26
	v_addc_co_u32_e32 v27, vcc, v27, v112, vcc
	v_cmp_lt_i64_e32 vcc, s[10:11], v[28:29]
	s_and_b64 vcc, exec, vcc
	s_waitcnt vmcnt(0)
	ds_write2_b64 v109, v[0:1], v[2:3] offset1:1
	s_waitcnt lgkmcnt(0)
	s_barrier
	ds_read_b128 v[78:81], v111
	ds_read_b128 v[114:117], v111 offset:16
	ds_read_b128 v[4:7], v111 offset:32
	;; [unrolled: 1-line block ×3, first 2 shown]
	ds_read_b128 v[118:121], v110
	s_waitcnt lgkmcnt(0)
	v_mul_f64 v[82:83], v[80:81], v[120:121]
	v_mul_f64 v[84:85], v[78:79], v[120:121]
	v_fma_f64 v[82:83], v[78:79], v[118:119], -v[82:83]
	v_fmac_f64_e32 v[84:85], v[80:81], v[118:119]
	v_add_f64 v[122:123], v[54:55], v[82:83]
	v_add_f64 v[124:125], v[56:57], v[84:85]
	ds_read_b128 v[54:57], v110 offset:256
	s_waitcnt lgkmcnt(0)
	v_mul_f64 v[82:83], v[80:81], v[56:57]
	v_mul_f64 v[84:85], v[78:79], v[56:57]
	v_fma_f64 v[82:83], v[78:79], v[54:55], -v[82:83]
	v_fmac_f64_e32 v[84:85], v[80:81], v[54:55]
	v_add_f64 v[126:127], v[34:35], v[82:83]
	v_add_f64 v[128:129], v[36:37], v[84:85]
	ds_read_b128 v[34:37], v110 offset:512
	;; [unrolled: 8-line block ×3, first 2 shown]
	s_waitcnt lgkmcnt(0)
	v_mul_f64 v[82:83], v[80:81], v[32:33]
	v_fma_f64 v[82:83], v[78:79], v[30:31], -v[82:83]
	v_mul_f64 v[78:79], v[78:79], v[32:33]
	v_fmac_f64_e32 v[78:79], v[80:81], v[30:31]
	v_add_f64 v[134:135], v[20:21], v[82:83]
	v_add_f64 v[136:137], v[22:23], v[78:79]
	ds_read_b128 v[20:23], v111 offset:1024
	s_waitcnt lgkmcnt(0)
	v_mul_f64 v[78:79], v[22:23], v[120:121]
	v_fma_f64 v[78:79], v[20:21], v[118:119], -v[78:79]
	v_add_f64 v[70:71], v[70:71], v[78:79]
	v_mul_f64 v[78:79], v[22:23], v[56:57]
	v_mul_f64 v[80:81], v[20:21], v[120:121]
	v_fma_f64 v[78:79], v[20:21], v[54:55], -v[78:79]
	v_fmac_f64_e32 v[80:81], v[22:23], v[118:119]
	v_add_f64 v[94:95], v[60:61], v[78:79]
	v_mul_f64 v[60:61], v[22:23], v[36:37]
	v_add_f64 v[72:73], v[72:73], v[80:81]
	v_mul_f64 v[80:81], v[20:21], v[56:57]
	v_fma_f64 v[60:61], v[20:21], v[34:35], -v[60:61]
	v_fmac_f64_e32 v[80:81], v[22:23], v[54:55]
	v_add_f64 v[98:99], v[48:49], v[60:61]
	v_mul_f64 v[48:49], v[22:23], v[32:33]
	v_add_f64 v[96:97], v[64:65], v[80:81]
	v_mul_f64 v[64:65], v[20:21], v[36:37]
	v_fma_f64 v[48:49], v[20:21], v[30:31], -v[48:49]
	v_mul_f64 v[20:21], v[20:21], v[32:33]
	v_fmac_f64_e32 v[20:21], v[22:23], v[30:31]
	v_fmac_f64_e32 v[64:65], v[22:23], v[34:35]
	v_add_f64 v[104:105], v[44:45], v[20:21]
	ds_read_b128 v[20:23], v111 offset:2048
	v_add_f64 v[102:103], v[40:41], v[48:49]
	v_add_f64 v[100:101], v[52:53], v[64:65]
	s_waitcnt lgkmcnt(0)
	v_mul_f64 v[40:41], v[22:23], v[120:121]
	v_fma_f64 v[40:41], v[20:21], v[118:119], -v[40:41]
	v_add_f64 v[78:79], v[66:67], v[40:41]
	v_mul_f64 v[40:41], v[22:23], v[56:57]
	v_mul_f64 v[44:45], v[20:21], v[120:121]
	v_fma_f64 v[40:41], v[20:21], v[54:55], -v[40:41]
	v_fmac_f64_e32 v[44:45], v[22:23], v[118:119]
	v_add_f64 v[82:83], v[58:59], v[40:41]
	v_mul_f64 v[40:41], v[22:23], v[36:37]
	v_add_f64 v[80:81], v[68:69], v[44:45]
	v_mul_f64 v[44:45], v[20:21], v[56:57]
	v_fma_f64 v[40:41], v[20:21], v[34:35], -v[40:41]
	v_fmac_f64_e32 v[44:45], v[22:23], v[54:55]
	v_add_f64 v[86:87], v[46:47], v[40:41]
	v_mul_f64 v[40:41], v[22:23], v[32:33]
	v_add_f64 v[84:85], v[62:63], v[44:45]
	v_mul_f64 v[44:45], v[20:21], v[36:37]
	v_fma_f64 v[40:41], v[20:21], v[30:31], -v[40:41]
	v_mul_f64 v[20:21], v[20:21], v[32:33]
	v_fmac_f64_e32 v[20:21], v[22:23], v[30:31]
	v_fmac_f64_e32 v[44:45], v[22:23], v[34:35]
	v_add_f64 v[92:93], v[42:43], v[20:21]
	ds_read_b128 v[20:23], v111 offset:3072
	v_add_f64 v[90:91], v[38:39], v[40:41]
	v_add_f64 v[88:89], v[50:51], v[44:45]
	s_waitcnt lgkmcnt(0)
	v_mul_f64 v[38:39], v[22:23], v[120:121]
	v_mul_f64 v[40:41], v[20:21], v[120:121]
	v_fma_f64 v[38:39], v[20:21], v[118:119], -v[38:39]
	v_fmac_f64_e32 v[40:41], v[22:23], v[118:119]
	v_add_f64 v[58:59], v[74:75], v[38:39]
	v_add_f64 v[60:61], v[76:77], v[40:41]
	v_mul_f64 v[38:39], v[22:23], v[56:57]
	v_mul_f64 v[40:41], v[20:21], v[56:57]
	v_fma_f64 v[38:39], v[20:21], v[54:55], -v[38:39]
	v_fmac_f64_e32 v[40:41], v[22:23], v[54:55]
	v_add_f64 v[54:55], v[16:17], v[38:39]
	v_add_f64 v[56:57], v[18:19], v[40:41]
	;; [unrolled: 6-line block ×3, first 2 shown]
	v_mul_f64 v[12:13], v[22:23], v[32:33]
	v_mul_f64 v[14:15], v[20:21], v[32:33]
	v_fma_f64 v[12:13], v[20:21], v[30:31], -v[12:13]
	v_fmac_f64_e32 v[14:15], v[22:23], v[30:31]
	ds_read_b128 v[20:23], v110 offset:1024
	ds_read_b128 v[16:19], v110 offset:1280
	v_add_f64 v[46:47], v[10:11], v[12:13]
	v_add_f64 v[48:49], v[8:9], v[14:15]
	ds_read_b128 v[12:15], v110 offset:1536
	ds_read_b128 v[74:77], v111 offset:1040
	s_waitcnt lgkmcnt(3)
	v_mul_f64 v[8:9], v[116:117], v[22:23]
	v_mul_f64 v[10:11], v[114:115], v[22:23]
	v_fma_f64 v[8:9], v[114:115], v[20:21], -v[8:9]
	v_fmac_f64_e32 v[10:11], v[116:117], v[20:21]
	v_add_f64 v[42:43], v[122:123], v[8:9]
	v_add_f64 v[44:45], v[124:125], v[10:11]
	s_waitcnt lgkmcnt(2)
	v_mul_f64 v[8:9], v[116:117], v[18:19]
	v_mul_f64 v[10:11], v[114:115], v[18:19]
	v_fma_f64 v[8:9], v[114:115], v[16:17], -v[8:9]
	v_fmac_f64_e32 v[10:11], v[116:117], v[16:17]
	v_add_f64 v[38:39], v[126:127], v[8:9]
	v_add_f64 v[40:41], v[128:129], v[10:11]
	;; [unrolled: 7-line block ×3, first 2 shown]
	ds_read_b128 v[8:11], v110 offset:1792
	s_waitcnt lgkmcnt(1)
	v_mul_f64 v[66:67], v[76:77], v[18:19]
	v_mul_f64 v[68:69], v[74:75], v[18:19]
	;; [unrolled: 1-line block ×4, first 2 shown]
	v_fma_f64 v[66:67], v[74:75], v[16:17], -v[66:67]
	v_fmac_f64_e32 v[68:69], v[76:77], v[16:17]
	v_fma_f64 v[62:63], v[74:75], v[20:21], -v[62:63]
	v_fmac_f64_e32 v[64:65], v[76:77], v[20:21]
	v_add_f64 v[66:67], v[94:95], v[66:67]
	v_add_f64 v[68:69], v[96:97], v[68:69]
	s_waitcnt lgkmcnt(0)
	v_mul_f64 v[94:95], v[76:77], v[10:11]
	v_mul_f64 v[96:97], v[74:75], v[10:11]
	v_add_f64 v[62:63], v[70:71], v[62:63]
	v_add_f64 v[64:65], v[72:73], v[64:65]
	v_mul_f64 v[70:71], v[76:77], v[14:15]
	v_mul_f64 v[72:73], v[74:75], v[14:15]
	v_fma_f64 v[94:95], v[74:75], v[8:9], -v[94:95]
	v_fmac_f64_e32 v[96:97], v[76:77], v[8:9]
	v_fma_f64 v[70:71], v[74:75], v[12:13], -v[70:71]
	v_fmac_f64_e32 v[72:73], v[76:77], v[12:13]
	v_add_f64 v[74:75], v[102:103], v[94:95]
	v_add_f64 v[76:77], v[104:105], v[96:97]
	ds_read_b128 v[94:97], v111 offset:2064
	v_add_f64 v[70:71], v[98:99], v[70:71]
	v_add_f64 v[72:73], v[100:101], v[72:73]
	v_mul_f64 v[30:31], v[116:117], v[10:11]
	v_mul_f64 v[32:33], v[114:115], v[10:11]
	s_waitcnt lgkmcnt(0)
	v_mul_f64 v[98:99], v[96:97], v[22:23]
	v_mul_f64 v[100:101], v[94:95], v[22:23]
	v_fma_f64 v[98:99], v[94:95], v[20:21], -v[98:99]
	v_fmac_f64_e32 v[100:101], v[96:97], v[20:21]
	v_add_f64 v[78:79], v[78:79], v[98:99]
	v_add_f64 v[80:81], v[80:81], v[100:101]
	v_mul_f64 v[98:99], v[96:97], v[18:19]
	v_mul_f64 v[100:101], v[94:95], v[18:19]
	v_fma_f64 v[98:99], v[94:95], v[16:17], -v[98:99]
	v_fmac_f64_e32 v[100:101], v[96:97], v[16:17]
	v_add_f64 v[82:83], v[82:83], v[98:99]
	v_add_f64 v[84:85], v[84:85], v[100:101]
	;; [unrolled: 6-line block ×4, first 2 shown]
	ds_read_b128 v[90:93], v111 offset:3088
	v_fma_f64 v[30:31], v[114:115], v[8:9], -v[30:31]
	v_fmac_f64_e32 v[32:33], v[116:117], v[8:9]
	v_add_f64 v[32:33], v[136:137], v[32:33]
	v_add_f64 v[30:31], v[134:135], v[30:31]
	s_waitcnt lgkmcnt(0)
	v_mul_f64 v[98:99], v[92:93], v[22:23]
	v_mul_f64 v[22:23], v[90:91], v[22:23]
	v_fma_f64 v[98:99], v[90:91], v[20:21], -v[98:99]
	v_fmac_f64_e32 v[22:23], v[92:93], v[20:21]
	v_mul_f64 v[20:21], v[92:93], v[18:19]
	v_mul_f64 v[18:19], v[90:91], v[18:19]
	v_fma_f64 v[20:21], v[90:91], v[16:17], -v[20:21]
	v_fmac_f64_e32 v[18:19], v[92:93], v[16:17]
	;; [unrolled: 4-line block ×3, first 2 shown]
	v_mul_f64 v[12:13], v[92:93], v[10:11]
	v_mul_f64 v[10:11], v[90:91], v[10:11]
	v_fmac_f64_e32 v[10:11], v[92:93], v[8:9]
	v_fma_f64 v[12:13], v[90:91], v[8:9], -v[12:13]
	v_add_f64 v[114:115], v[48:49], v[10:11]
	ds_read_b128 v[8:11], v110 offset:2048
	v_add_f64 v[102:103], v[52:53], v[14:15]
	v_add_f64 v[104:105], v[46:47], v[12:13]
	;; [unrolled: 1-line block ×4, first 2 shown]
	s_waitcnt lgkmcnt(0)
	v_mul_f64 v[12:13], v[6:7], v[10:11]
	v_mul_f64 v[14:15], v[4:5], v[10:11]
	v_fma_f64 v[12:13], v[4:5], v[8:9], -v[12:13]
	v_fmac_f64_e32 v[14:15], v[6:7], v[8:9]
	v_add_f64 v[116:117], v[42:43], v[12:13]
	v_add_f64 v[118:119], v[44:45], v[14:15]
	ds_read_b128 v[12:15], v110 offset:2304
	v_add_f64 v[60:61], v[60:61], v[22:23]
	v_add_f64 v[54:55], v[54:55], v[20:21]
	;; [unrolled: 1-line block ×3, first 2 shown]
	s_waitcnt lgkmcnt(0)
	v_mul_f64 v[16:17], v[6:7], v[14:15]
	v_mul_f64 v[18:19], v[4:5], v[14:15]
	v_fma_f64 v[16:17], v[4:5], v[12:13], -v[16:17]
	v_fmac_f64_e32 v[18:19], v[6:7], v[12:13]
	v_add_f64 v[120:121], v[38:39], v[16:17]
	v_add_f64 v[122:123], v[40:41], v[18:19]
	ds_read_b128 v[16:19], v110 offset:2560
	s_waitcnt lgkmcnt(0)
	v_mul_f64 v[20:21], v[6:7], v[18:19]
	v_mul_f64 v[22:23], v[4:5], v[18:19]
	v_fma_f64 v[20:21], v[4:5], v[16:17], -v[20:21]
	v_fmac_f64_e32 v[22:23], v[6:7], v[16:17]
	v_add_f64 v[124:125], v[34:35], v[20:21]
	v_add_f64 v[126:127], v[36:37], v[22:23]
	ds_read_b128 v[20:23], v110 offset:2816
	s_waitcnt lgkmcnt(0)
	v_mul_f64 v[34:35], v[6:7], v[22:23]
	v_fma_f64 v[34:35], v[4:5], v[20:21], -v[34:35]
	v_mul_f64 v[4:5], v[4:5], v[22:23]
	v_fmac_f64_e32 v[4:5], v[6:7], v[20:21]
	v_add_f64 v[130:131], v[32:33], v[4:5]
	ds_read_b128 v[4:7], v111 offset:1056
	v_add_f64 v[128:129], v[30:31], v[34:35]
	s_waitcnt lgkmcnt(0)
	v_mul_f64 v[30:31], v[6:7], v[10:11]
	v_fma_f64 v[30:31], v[4:5], v[8:9], -v[30:31]
	v_add_f64 v[40:41], v[62:63], v[30:31]
	v_mul_f64 v[30:31], v[6:7], v[14:15]
	v_mul_f64 v[32:33], v[4:5], v[10:11]
	v_fma_f64 v[30:31], v[4:5], v[12:13], -v[30:31]
	v_fmac_f64_e32 v[32:33], v[6:7], v[8:9]
	v_add_f64 v[48:49], v[66:67], v[30:31]
	v_mul_f64 v[30:31], v[6:7], v[18:19]
	v_add_f64 v[44:45], v[64:65], v[32:33]
	v_mul_f64 v[32:33], v[4:5], v[14:15]
	v_fma_f64 v[30:31], v[4:5], v[16:17], -v[30:31]
	v_fmac_f64_e32 v[32:33], v[6:7], v[12:13]
	v_add_f64 v[58:59], v[70:71], v[30:31]
	v_mul_f64 v[30:31], v[6:7], v[22:23]
	v_add_f64 v[52:53], v[68:69], v[32:33]
	v_mul_f64 v[32:33], v[4:5], v[18:19]
	v_fma_f64 v[30:31], v[4:5], v[20:21], -v[30:31]
	v_mul_f64 v[4:5], v[4:5], v[22:23]
	v_fmac_f64_e32 v[4:5], v[6:7], v[20:21]
	v_fmac_f64_e32 v[32:33], v[6:7], v[16:17]
	v_add_f64 v[68:69], v[76:77], v[4:5]
	ds_read_b128 v[4:7], v111 offset:2080
	v_add_f64 v[66:67], v[74:75], v[30:31]
	v_add_f64 v[62:63], v[72:73], v[32:33]
	s_waitcnt lgkmcnt(0)
	v_mul_f64 v[30:31], v[6:7], v[10:11]
	v_fma_f64 v[30:31], v[4:5], v[8:9], -v[30:31]
	v_add_f64 v[38:39], v[78:79], v[30:31]
	v_mul_f64 v[30:31], v[6:7], v[14:15]
	v_mul_f64 v[32:33], v[4:5], v[10:11]
	v_fma_f64 v[30:31], v[4:5], v[12:13], -v[30:31]
	v_fmac_f64_e32 v[32:33], v[6:7], v[8:9]
	v_add_f64 v[46:47], v[82:83], v[30:31]
	v_mul_f64 v[30:31], v[6:7], v[18:19]
	v_add_f64 v[42:43], v[80:81], v[32:33]
	v_mul_f64 v[32:33], v[4:5], v[14:15]
	v_fma_f64 v[30:31], v[4:5], v[16:17], -v[30:31]
	v_fmac_f64_e32 v[32:33], v[6:7], v[12:13]
	v_add_f64 v[90:91], v[86:87], v[30:31]
	v_mul_f64 v[30:31], v[6:7], v[22:23]
	v_add_f64 v[50:51], v[84:85], v[32:33]
	v_mul_f64 v[32:33], v[4:5], v[18:19]
	v_fma_f64 v[30:31], v[4:5], v[20:21], -v[30:31]
	v_mul_f64 v[4:5], v[4:5], v[22:23]
	v_fmac_f64_e32 v[4:5], v[6:7], v[20:21]
	v_fmac_f64_e32 v[32:33], v[6:7], v[16:17]
	v_add_f64 v[96:97], v[96:97], v[4:5]
	ds_read_b128 v[4:7], v111 offset:3104
	v_add_f64 v[94:95], v[94:95], v[30:31]
	v_add_f64 v[92:93], v[88:89], v[32:33]
	s_waitcnt lgkmcnt(0)
	v_mul_f64 v[30:31], v[6:7], v[10:11]
	v_mul_f64 v[10:11], v[4:5], v[10:11]
	v_fmac_f64_e32 v[10:11], v[6:7], v[8:9]
	v_fma_f64 v[30:31], v[4:5], v[8:9], -v[30:31]
	v_add_f64 v[76:77], v[60:61], v[10:11]
	v_mul_f64 v[8:9], v[6:7], v[14:15]
	v_mul_f64 v[10:11], v[4:5], v[14:15]
	v_fma_f64 v[8:9], v[4:5], v[12:13], -v[8:9]
	v_fmac_f64_e32 v[10:11], v[6:7], v[12:13]
	v_add_f64 v[86:87], v[54:55], v[8:9]
	v_add_f64 v[88:89], v[56:57], v[10:11]
	v_mul_f64 v[8:9], v[6:7], v[18:19]
	v_mul_f64 v[10:11], v[4:5], v[18:19]
	v_fma_f64 v[8:9], v[4:5], v[16:17], -v[8:9]
	v_fmac_f64_e32 v[10:11], v[6:7], v[16:17]
	ds_read_b128 v[16:19], v110 offset:3072
	ds_read_b128 v[12:15], v110 offset:3328
	v_add_f64 v[82:83], v[100:101], v[8:9]
	v_mul_f64 v[8:9], v[6:7], v[22:23]
	v_fma_f64 v[8:9], v[4:5], v[20:21], -v[8:9]
	v_mul_f64 v[4:5], v[4:5], v[22:23]
	v_add_f64 v[84:85], v[102:103], v[10:11]
	v_fmac_f64_e32 v[4:5], v[6:7], v[20:21]
	v_add_f64 v[78:79], v[104:105], v[8:9]
	ds_read_b128 v[8:11], v110 offset:3584
	v_add_f64 v[80:81], v[114:115], v[4:5]
	s_waitcnt lgkmcnt(2)
	v_mul_f64 v[4:5], v[2:3], v[18:19]
	v_mul_f64 v[6:7], v[0:1], v[18:19]
	v_fma_f64 v[4:5], v[0:1], v[16:17], -v[4:5]
	v_fmac_f64_e32 v[6:7], v[2:3], v[16:17]
	v_add_f64 v[54:55], v[116:117], v[4:5]
	v_add_f64 v[56:57], v[118:119], v[6:7]
	s_waitcnt lgkmcnt(1)
	v_mul_f64 v[4:5], v[2:3], v[14:15]
	v_mul_f64 v[6:7], v[0:1], v[14:15]
	v_fma_f64 v[4:5], v[0:1], v[12:13], -v[4:5]
	v_fmac_f64_e32 v[6:7], v[2:3], v[12:13]
	v_add_f64 v[34:35], v[120:121], v[4:5]
	;; [unrolled: 7-line block ×3, first 2 shown]
	v_add_f64 v[30:31], v[124:125], v[4:5]
	v_add_f64 v[32:33], v[126:127], v[6:7]
	ds_read_b128 v[4:7], v110 offset:3840
	s_waitcnt lgkmcnt(0)
	v_mul_f64 v[20:21], v[2:3], v[6:7]
	v_fma_f64 v[20:21], v[0:1], v[4:5], -v[20:21]
	v_mul_f64 v[0:1], v[0:1], v[6:7]
	v_fmac_f64_e32 v[0:1], v[2:3], v[4:5]
	v_add_f64 v[22:23], v[130:131], v[0:1]
	ds_read_b128 v[0:3], v111 offset:1072
	v_add_f64 v[20:21], v[128:129], v[20:21]
	s_waitcnt lgkmcnt(0)
	v_mul_f64 v[60:61], v[2:3], v[18:19]
	v_fma_f64 v[60:61], v[0:1], v[16:17], -v[60:61]
	v_add_f64 v[70:71], v[40:41], v[60:61]
	v_mul_f64 v[40:41], v[2:3], v[14:15]
	v_mul_f64 v[64:65], v[0:1], v[18:19]
	v_fma_f64 v[40:41], v[0:1], v[12:13], -v[40:41]
	v_fmac_f64_e32 v[64:65], v[2:3], v[16:17]
	v_add_f64 v[60:61], v[48:49], v[40:41]
	v_mul_f64 v[40:41], v[2:3], v[10:11]
	v_add_f64 v[72:73], v[44:45], v[64:65]
	v_mul_f64 v[44:45], v[0:1], v[14:15]
	v_fma_f64 v[40:41], v[0:1], v[8:9], -v[40:41]
	v_fmac_f64_e32 v[44:45], v[2:3], v[12:13]
	v_add_f64 v[48:49], v[58:59], v[40:41]
	v_mul_f64 v[40:41], v[2:3], v[6:7]
	v_add_f64 v[64:65], v[52:53], v[44:45]
	v_mul_f64 v[44:45], v[0:1], v[10:11]
	v_fma_f64 v[40:41], v[0:1], v[4:5], -v[40:41]
	v_mul_f64 v[0:1], v[0:1], v[6:7]
	v_fmac_f64_e32 v[44:45], v[2:3], v[8:9]
	v_fmac_f64_e32 v[0:1], v[2:3], v[4:5]
	v_add_f64 v[52:53], v[62:63], v[44:45]
	v_add_f64 v[44:45], v[68:69], v[0:1]
	ds_read_b128 v[0:3], v111 offset:2096
	v_add_f64 v[40:41], v[66:67], v[40:41]
	s_waitcnt lgkmcnt(0)
	v_mul_f64 v[58:59], v[2:3], v[18:19]
	v_fma_f64 v[58:59], v[0:1], v[16:17], -v[58:59]
	v_add_f64 v[66:67], v[38:39], v[58:59]
	v_mul_f64 v[38:39], v[2:3], v[14:15]
	v_mul_f64 v[62:63], v[0:1], v[18:19]
	v_fma_f64 v[38:39], v[0:1], v[12:13], -v[38:39]
	v_fmac_f64_e32 v[62:63], v[2:3], v[16:17]
	v_add_f64 v[58:59], v[46:47], v[38:39]
	v_mul_f64 v[38:39], v[2:3], v[10:11]
	v_add_f64 v[68:69], v[42:43], v[62:63]
	v_mul_f64 v[42:43], v[0:1], v[14:15]
	v_fma_f64 v[38:39], v[0:1], v[8:9], -v[38:39]
	v_fmac_f64_e32 v[42:43], v[2:3], v[12:13]
	v_add_f64 v[46:47], v[90:91], v[38:39]
	v_mul_f64 v[38:39], v[2:3], v[6:7]
	v_add_f64 v[62:63], v[50:51], v[42:43]
	v_mul_f64 v[42:43], v[0:1], v[10:11]
	v_fma_f64 v[38:39], v[0:1], v[4:5], -v[38:39]
	v_mul_f64 v[0:1], v[0:1], v[6:7]
	v_fmac_f64_e32 v[42:43], v[2:3], v[8:9]
	v_fmac_f64_e32 v[0:1], v[2:3], v[4:5]
	v_add_f64 v[50:51], v[92:93], v[42:43]
	v_add_f64 v[42:43], v[96:97], v[0:1]
	ds_read_b128 v[0:3], v111 offset:3120
	v_add_f64 v[38:39], v[94:95], v[38:39]
	s_waitcnt lgkmcnt(0)
	s_barrier
	v_mul_f64 v[90:91], v[2:3], v[18:19]
	v_mul_f64 v[18:19], v[0:1], v[18:19]
	v_fma_f64 v[90:91], v[0:1], v[16:17], -v[90:91]
	v_fmac_f64_e32 v[18:19], v[2:3], v[16:17]
	v_mul_f64 v[16:17], v[2:3], v[14:15]
	v_mul_f64 v[14:15], v[0:1], v[14:15]
	v_fma_f64 v[16:17], v[0:1], v[12:13], -v[16:17]
	v_fmac_f64_e32 v[14:15], v[2:3], v[12:13]
	;; [unrolled: 4-line block ×3, first 2 shown]
	v_mul_f64 v[8:9], v[2:3], v[6:7]
	v_fma_f64 v[8:9], v[0:1], v[4:5], -v[8:9]
	v_mul_f64 v[0:1], v[0:1], v[6:7]
	v_fmac_f64_e32 v[0:1], v[2:3], v[4:5]
	v_add_f64 v[74:75], v[74:75], v[90:91]
	v_add_f64 v[76:77], v[76:77], v[18:19]
	;; [unrolled: 1-line block ×8, first 2 shown]
	s_cbranch_vccnz .LBB266_2
	s_branch .LBB266_4
.LBB266_3:
	v_pk_mov_b32 v[54:55], 0, 0
	v_pk_mov_b32 v[56:57], 0, 0
	v_pk_mov_b32 v[34:35], 0, 0
	v_pk_mov_b32 v[36:37], 0, 0
	v_pk_mov_b32 v[30:31], 0, 0
	v_pk_mov_b32 v[32:33], 0, 0
	v_pk_mov_b32 v[20:21], 0, 0
	v_pk_mov_b32 v[22:23], 0, 0
	v_pk_mov_b32 v[70:71], 0, 0
	v_pk_mov_b32 v[72:73], 0, 0
	v_pk_mov_b32 v[60:61], 0, 0
	v_pk_mov_b32 v[64:65], 0, 0
	v_pk_mov_b32 v[48:49], 0, 0
	v_pk_mov_b32 v[52:53], 0, 0
	v_pk_mov_b32 v[40:41], 0, 0
	v_pk_mov_b32 v[44:45], 0, 0
	v_pk_mov_b32 v[66:67], 0, 0
	v_pk_mov_b32 v[68:69], 0, 0
	v_pk_mov_b32 v[58:59], 0, 0
	v_pk_mov_b32 v[62:63], 0, 0
	v_pk_mov_b32 v[46:47], 0, 0
	v_pk_mov_b32 v[50:51], 0, 0
	v_pk_mov_b32 v[38:39], 0, 0
	v_pk_mov_b32 v[42:43], 0, 0
	v_pk_mov_b32 v[74:75], 0, 0
	v_pk_mov_b32 v[76:77], 0, 0
	v_pk_mov_b32 v[16:17], 0, 0
	v_pk_mov_b32 v[18:19], 0, 0
	v_pk_mov_b32 v[12:13], 0, 0
	v_pk_mov_b32 v[14:15], 0, 0
	v_pk_mov_b32 v[10:11], 0, 0
	v_pk_mov_b32 v[8:9], 0, 0
.LBB266_4:
	s_load_dwordx2 s[4:5], s[4:5], 0x90
	v_mov_b32_e32 v0, s7
	v_add_co_u32_e32 v6, vcc, s6, v107
	v_addc_co_u32_e32 v7, vcc, 0, v0, vcc
	s_waitcnt lgkmcnt(0)
	s_lshl_b64 s[4:5], s[4:5], 4
	s_add_u32 s7, s8, s4
	v_cmp_neq_f64_e64 s[10:11], s[14:15], 0
	v_cmp_neq_f64_e64 s[12:13], s[16:17], 0
	v_mov_b32_e32 v1, s3
	v_add_co_u32_e32 v0, vcc, s2, v106
	s_addc_u32 s8, s9, s5
	s_or_b64 s[10:11], s[10:11], s[12:13]
	v_addc_co_u32_e32 v1, vcc, 0, v1, vcc
	s_mov_b64 s[4:5], 0
	s_and_b64 vcc, exec, s[10:11]
	s_cbranch_vccnz .LBB266_6
; %bb.5:
	v_mul_lo_u32 v4, v7, s26
	v_mul_lo_u32 v5, v6, s27
	v_mad_u64_u32 v[2:3], s[2:3], v6, s26, 0
	v_add3_u32 v3, v3, v5, v4
	v_lshlrev_b64 v[2:3], 4, v[2:3]
	v_mov_b32_e32 v4, s8
	v_add_co_u32_e32 v26, vcc, s7, v2
	v_addc_co_u32_e32 v27, vcc, v4, v3, vcc
	v_lshlrev_b64 v[24:25], 4, v[0:1]
	v_mul_f64 v[2:3], s[40:41], v[56:57]
	v_mul_f64 v[4:5], s[38:39], v[56:57]
	v_add_co_u32_e32 v24, vcc, v26, v24
	v_fma_f64 v[2:3], s[38:39], v[54:55], -v[2:3]
	v_fmac_f64_e32 v[4:5], s[40:41], v[54:55]
	v_addc_co_u32_e32 v25, vcc, v27, v25, vcc
	global_store_dwordx4 v[24:25], v[2:5], off
	s_lshl_b64 s[2:3], s[26:27], 8
	v_mul_f64 v[2:3], s[40:41], v[36:37]
	v_mul_f64 v[4:5], s[38:39], v[36:37]
	v_fma_f64 v[2:3], s[38:39], v[34:35], -v[2:3]
	v_fmac_f64_e32 v[4:5], s[40:41], v[34:35]
	global_store_dwordx4 v[24:25], v[2:5], off offset:256
	v_mov_b32_e32 v26, s3
	v_mul_f64 v[2:3], s[40:41], v[32:33]
	v_mul_f64 v[4:5], s[38:39], v[32:33]
	v_fma_f64 v[2:3], s[38:39], v[30:31], -v[2:3]
	v_fmac_f64_e32 v[4:5], s[40:41], v[30:31]
	global_store_dwordx4 v[24:25], v[2:5], off offset:512
	s_nop 0
	v_mul_f64 v[2:3], s[40:41], v[22:23]
	v_mul_f64 v[4:5], s[38:39], v[22:23]
	v_fma_f64 v[2:3], s[38:39], v[20:21], -v[2:3]
	v_fmac_f64_e32 v[4:5], s[40:41], v[20:21]
	global_store_dwordx4 v[24:25], v[2:5], off offset:768
	v_add_co_u32_e32 v24, vcc, s2, v24
	v_mul_f64 v[2:3], s[40:41], v[72:73]
	v_mul_f64 v[4:5], s[38:39], v[72:73]
	v_fma_f64 v[2:3], s[38:39], v[70:71], -v[2:3]
	v_fmac_f64_e32 v[4:5], s[40:41], v[70:71]
	v_addc_co_u32_e32 v25, vcc, v25, v26, vcc
	global_store_dwordx4 v[24:25], v[2:5], off
	s_nop 0
	v_mul_f64 v[2:3], s[40:41], v[64:65]
	v_mul_f64 v[4:5], s[38:39], v[64:65]
	v_fma_f64 v[2:3], s[38:39], v[60:61], -v[2:3]
	v_fmac_f64_e32 v[4:5], s[40:41], v[60:61]
	global_store_dwordx4 v[24:25], v[2:5], off offset:256
	s_nop 0
	v_mul_f64 v[2:3], s[40:41], v[52:53]
	v_mul_f64 v[4:5], s[38:39], v[52:53]
	v_fma_f64 v[2:3], s[38:39], v[48:49], -v[2:3]
	v_fmac_f64_e32 v[4:5], s[40:41], v[48:49]
	global_store_dwordx4 v[24:25], v[2:5], off offset:512
	s_nop 0
	v_mul_f64 v[2:3], s[40:41], v[44:45]
	v_mul_f64 v[4:5], s[38:39], v[44:45]
	v_fma_f64 v[2:3], s[38:39], v[40:41], -v[2:3]
	v_fmac_f64_e32 v[4:5], s[40:41], v[40:41]
	global_store_dwordx4 v[24:25], v[2:5], off offset:768
	v_add_co_u32_e32 v24, vcc, s2, v24
	v_mul_f64 v[2:3], s[40:41], v[68:69]
	v_mul_f64 v[4:5], s[38:39], v[68:69]
	v_fma_f64 v[2:3], s[38:39], v[66:67], -v[2:3]
	v_fmac_f64_e32 v[4:5], s[40:41], v[66:67]
	v_addc_co_u32_e32 v25, vcc, v25, v26, vcc
	global_store_dwordx4 v[24:25], v[2:5], off
	s_nop 0
	v_mul_f64 v[2:3], s[40:41], v[62:63]
	v_mul_f64 v[4:5], s[38:39], v[62:63]
	v_fma_f64 v[2:3], s[38:39], v[58:59], -v[2:3]
	v_fmac_f64_e32 v[4:5], s[40:41], v[58:59]
	global_store_dwordx4 v[24:25], v[2:5], off offset:256
	s_nop 0
	;; [unrolled: 25-line block ×3, first 2 shown]
	v_mul_f64 v[2:3], s[40:41], v[14:15]
	v_mul_f64 v[4:5], s[38:39], v[14:15]
	v_fma_f64 v[2:3], s[38:39], v[12:13], -v[2:3]
	v_fmac_f64_e32 v[4:5], s[40:41], v[12:13]
	global_store_dwordx4 v[24:25], v[2:5], off offset:512
	s_nop 0
	v_mul_f64 v[2:3], s[40:41], v[8:9]
	v_fma_f64 v[26:27], s[38:39], v[10:11], -v[2:3]
	v_mul_f64 v[4:5], s[38:39], v[8:9]
	v_add_co_u32_e32 v2, vcc, 0x300, v24
	v_fmac_f64_e32 v[4:5], s[40:41], v[10:11]
	v_addc_co_u32_e32 v3, vcc, 0, v25, vcc
	global_store_dwordx2 v[24:25], v[26:27], off offset:768
	s_andn2_b64 vcc, exec, s[4:5]
	s_cbranch_vccz .LBB266_7
	s_branch .LBB266_8
.LBB266_6:
                                        ; implicit-def: $vgpr4_vgpr5
                                        ; implicit-def: $vgpr2_vgpr3
.LBB266_7:
	s_lshl_b64 s[2:3], s[22:23], 4
	s_add_u32 s2, s0, s2
	s_addc_u32 s3, s1, s3
	v_mul_lo_u32 v4, v7, s20
	v_mul_lo_u32 v5, v6, s21
	v_mad_u64_u32 v[2:3], s[0:1], v6, s20, 0
	v_add3_u32 v3, v3, v5, v4
	v_lshlrev_b64 v[2:3], 4, v[2:3]
	v_mov_b32_e32 v4, s3
	v_add_co_u32_e32 v2, vcc, s2, v2
	v_addc_co_u32_e32 v3, vcc, v4, v3, vcc
	v_lshlrev_b64 v[4:5], 4, v[0:1]
	v_add_co_u32_e32 v24, vcc, v2, v4
	v_addc_co_u32_e32 v25, vcc, v3, v5, vcc
	global_load_dwordx4 v[0:3], v[24:25], off
	v_mul_lo_u32 v78, v7, s26
	v_mul_lo_u32 v79, v6, s27
	v_mad_u64_u32 v[6:7], s[0:1], v6, s26, 0
	v_add3_u32 v7, v7, v79, v78
	v_lshlrev_b64 v[6:7], 4, v[6:7]
	v_mov_b32_e32 v80, s8
	v_add_co_u32_e32 v6, vcc, s7, v6
	v_addc_co_u32_e32 v7, vcc, v80, v7, vcc
	v_add_co_u32_e32 v4, vcc, v6, v4
	v_mul_f64 v[26:27], s[40:41], v[56:57]
	v_mul_f64 v[28:29], s[38:39], v[56:57]
	v_addc_co_u32_e32 v5, vcc, v7, v5, vcc
	v_fma_f64 v[26:27], s[38:39], v[54:55], -v[26:27]
	v_fmac_f64_e32 v[28:29], s[40:41], v[54:55]
	s_lshl_b64 s[0:1], s[20:21], 8
	s_lshl_b64 s[2:3], s[26:27], 8
	s_waitcnt vmcnt(0)
	v_mul_f64 v[6:7], s[16:17], v[2:3]
	v_mul_f64 v[2:3], s[14:15], v[2:3]
	v_fma_f64 v[6:7], s[14:15], v[0:1], -v[6:7]
	v_fmac_f64_e32 v[2:3], s[16:17], v[0:1]
	v_add_f64 v[0:1], v[26:27], v[6:7]
	v_add_f64 v[2:3], v[28:29], v[2:3]
	global_store_dwordx4 v[4:5], v[0:3], off
	global_load_dwordx4 v[0:3], v[24:25], off offset:256
	v_mul_f64 v[6:7], s[40:41], v[36:37]
	v_mul_f64 v[26:27], s[38:39], v[36:37]
	v_fma_f64 v[6:7], s[38:39], v[34:35], -v[6:7]
	v_fmac_f64_e32 v[26:27], s[40:41], v[34:35]
	s_waitcnt vmcnt(0)
	v_mul_f64 v[28:29], s[16:17], v[2:3]
	v_mul_f64 v[2:3], s[14:15], v[2:3]
	v_fma_f64 v[28:29], s[14:15], v[0:1], -v[28:29]
	v_fmac_f64_e32 v[2:3], s[16:17], v[0:1]
	v_add_f64 v[0:1], v[6:7], v[28:29]
	v_add_f64 v[2:3], v[26:27], v[2:3]
	global_store_dwordx4 v[4:5], v[0:3], off offset:256
	global_load_dwordx4 v[0:3], v[24:25], off offset:512
	v_mul_f64 v[6:7], s[40:41], v[32:33]
	v_mul_f64 v[26:27], s[38:39], v[32:33]
	v_fma_f64 v[6:7], s[38:39], v[30:31], -v[6:7]
	v_fmac_f64_e32 v[26:27], s[40:41], v[30:31]
	s_waitcnt vmcnt(0)
	v_mul_f64 v[28:29], s[16:17], v[2:3]
	v_mul_f64 v[2:3], s[14:15], v[2:3]
	v_fma_f64 v[28:29], s[14:15], v[0:1], -v[28:29]
	v_fmac_f64_e32 v[2:3], s[16:17], v[0:1]
	v_add_f64 v[0:1], v[6:7], v[28:29]
	v_add_f64 v[2:3], v[26:27], v[2:3]
	global_store_dwordx4 v[4:5], v[0:3], off offset:512
	global_load_dwordx4 v[0:3], v[24:25], off offset:768
	v_mul_f64 v[6:7], s[40:41], v[22:23]
	v_mul_f64 v[22:23], s[38:39], v[22:23]
	v_fma_f64 v[6:7], s[38:39], v[20:21], -v[6:7]
	v_fmac_f64_e32 v[22:23], s[40:41], v[20:21]
	v_mov_b32_e32 v26, s1
	v_add_co_u32_e32 v20, vcc, s0, v24
	v_addc_co_u32_e32 v21, vcc, v25, v26, vcc
	v_mov_b32_e32 v27, s3
	s_waitcnt vmcnt(0)
	v_mul_f64 v[24:25], s[16:17], v[2:3]
	v_mul_f64 v[2:3], s[14:15], v[2:3]
	v_fma_f64 v[24:25], s[14:15], v[0:1], -v[24:25]
	v_fmac_f64_e32 v[2:3], s[16:17], v[0:1]
	v_add_f64 v[0:1], v[6:7], v[24:25]
	v_add_f64 v[2:3], v[22:23], v[2:3]
	global_store_dwordx4 v[4:5], v[0:3], off offset:768
	global_load_dwordx4 v[0:3], v[20:21], off
	v_mul_f64 v[6:7], s[40:41], v[72:73]
	v_mul_f64 v[22:23], s[38:39], v[72:73]
	v_fma_f64 v[6:7], s[38:39], v[70:71], -v[6:7]
	v_fmac_f64_e32 v[22:23], s[40:41], v[70:71]
	v_add_co_u32_e32 v4, vcc, s2, v4
	v_addc_co_u32_e32 v5, vcc, v5, v27, vcc
	s_waitcnt vmcnt(0)
	v_mul_f64 v[24:25], s[16:17], v[2:3]
	v_mul_f64 v[2:3], s[14:15], v[2:3]
	v_fma_f64 v[24:25], s[14:15], v[0:1], -v[24:25]
	v_fmac_f64_e32 v[2:3], s[16:17], v[0:1]
	v_add_f64 v[0:1], v[6:7], v[24:25]
	v_add_f64 v[2:3], v[22:23], v[2:3]
	global_store_dwordx4 v[4:5], v[0:3], off
	global_load_dwordx4 v[0:3], v[20:21], off offset:256
	v_mul_f64 v[6:7], s[40:41], v[64:65]
	v_mul_f64 v[22:23], s[38:39], v[64:65]
	v_fma_f64 v[6:7], s[38:39], v[60:61], -v[6:7]
	v_fmac_f64_e32 v[22:23], s[40:41], v[60:61]
	s_waitcnt vmcnt(0)
	v_mul_f64 v[24:25], s[16:17], v[2:3]
	v_mul_f64 v[2:3], s[14:15], v[2:3]
	v_fma_f64 v[24:25], s[14:15], v[0:1], -v[24:25]
	v_fmac_f64_e32 v[2:3], s[16:17], v[0:1]
	v_add_f64 v[0:1], v[6:7], v[24:25]
	v_add_f64 v[2:3], v[22:23], v[2:3]
	global_store_dwordx4 v[4:5], v[0:3], off offset:256
	global_load_dwordx4 v[0:3], v[20:21], off offset:512
	v_mul_f64 v[6:7], s[40:41], v[52:53]
	v_mul_f64 v[22:23], s[38:39], v[52:53]
	v_fma_f64 v[6:7], s[38:39], v[48:49], -v[6:7]
	v_fmac_f64_e32 v[22:23], s[40:41], v[48:49]
	s_waitcnt vmcnt(0)
	v_mul_f64 v[24:25], s[16:17], v[2:3]
	v_mul_f64 v[2:3], s[14:15], v[2:3]
	v_fma_f64 v[24:25], s[14:15], v[0:1], -v[24:25]
	v_fmac_f64_e32 v[2:3], s[16:17], v[0:1]
	v_add_f64 v[0:1], v[6:7], v[24:25]
	v_add_f64 v[2:3], v[22:23], v[2:3]
	global_store_dwordx4 v[4:5], v[0:3], off offset:512
	global_load_dwordx4 v[0:3], v[20:21], off offset:768
	v_mul_f64 v[6:7], s[40:41], v[44:45]
	v_mul_f64 v[22:23], s[38:39], v[44:45]
	v_fma_f64 v[6:7], s[38:39], v[40:41], -v[6:7]
	v_fmac_f64_e32 v[22:23], s[40:41], v[40:41]
	v_add_co_u32_e32 v20, vcc, s0, v20
	v_addc_co_u32_e32 v21, vcc, v21, v26, vcc
	s_waitcnt vmcnt(0)
	v_mul_f64 v[24:25], s[16:17], v[2:3]
	v_mul_f64 v[2:3], s[14:15], v[2:3]
	v_fma_f64 v[24:25], s[14:15], v[0:1], -v[24:25]
	v_fmac_f64_e32 v[2:3], s[16:17], v[0:1]
	v_add_f64 v[0:1], v[6:7], v[24:25]
	v_add_f64 v[2:3], v[22:23], v[2:3]
	global_store_dwordx4 v[4:5], v[0:3], off offset:768
	global_load_dwordx4 v[0:3], v[20:21], off
	v_mul_f64 v[6:7], s[40:41], v[68:69]
	v_mul_f64 v[22:23], s[38:39], v[68:69]
	v_fma_f64 v[6:7], s[38:39], v[66:67], -v[6:7]
	v_fmac_f64_e32 v[22:23], s[40:41], v[66:67]
	v_add_co_u32_e32 v4, vcc, s2, v4
	v_addc_co_u32_e32 v5, vcc, v5, v27, vcc
	s_waitcnt vmcnt(0)
	v_mul_f64 v[24:25], s[16:17], v[2:3]
	v_mul_f64 v[2:3], s[14:15], v[2:3]
	v_fma_f64 v[24:25], s[14:15], v[0:1], -v[24:25]
	v_fmac_f64_e32 v[2:3], s[16:17], v[0:1]
	v_add_f64 v[0:1], v[6:7], v[24:25]
	v_add_f64 v[2:3], v[22:23], v[2:3]
	global_store_dwordx4 v[4:5], v[0:3], off
	global_load_dwordx4 v[0:3], v[20:21], off offset:256
	v_mul_f64 v[6:7], s[40:41], v[62:63]
	v_mul_f64 v[22:23], s[38:39], v[62:63]
	v_fma_f64 v[6:7], s[38:39], v[58:59], -v[6:7]
	v_fmac_f64_e32 v[22:23], s[40:41], v[58:59]
	s_waitcnt vmcnt(0)
	v_mul_f64 v[24:25], s[16:17], v[2:3]
	v_mul_f64 v[2:3], s[14:15], v[2:3]
	v_fma_f64 v[24:25], s[14:15], v[0:1], -v[24:25]
	v_fmac_f64_e32 v[2:3], s[16:17], v[0:1]
	v_add_f64 v[0:1], v[6:7], v[24:25]
	v_add_f64 v[2:3], v[22:23], v[2:3]
	global_store_dwordx4 v[4:5], v[0:3], off offset:256
	global_load_dwordx4 v[0:3], v[20:21], off offset:512
	v_mul_f64 v[6:7], s[40:41], v[50:51]
	v_mul_f64 v[22:23], s[38:39], v[50:51]
	v_fma_f64 v[6:7], s[38:39], v[46:47], -v[6:7]
	v_fmac_f64_e32 v[22:23], s[40:41], v[46:47]
	s_waitcnt vmcnt(0)
	v_mul_f64 v[24:25], s[16:17], v[2:3]
	v_mul_f64 v[2:3], s[14:15], v[2:3]
	v_fma_f64 v[24:25], s[14:15], v[0:1], -v[24:25]
	v_fmac_f64_e32 v[2:3], s[16:17], v[0:1]
	v_add_f64 v[0:1], v[6:7], v[24:25]
	v_add_f64 v[2:3], v[22:23], v[2:3]
	global_store_dwordx4 v[4:5], v[0:3], off offset:512
	global_load_dwordx4 v[0:3], v[20:21], off offset:768
	v_mul_f64 v[6:7], s[40:41], v[42:43]
	v_mul_f64 v[22:23], s[38:39], v[42:43]
	v_fma_f64 v[6:7], s[38:39], v[38:39], -v[6:7]
	v_fmac_f64_e32 v[22:23], s[40:41], v[38:39]
	v_add_co_u32_e32 v20, vcc, s0, v20
	v_addc_co_u32_e32 v21, vcc, v21, v26, vcc
	s_waitcnt vmcnt(0)
	v_mul_f64 v[24:25], s[16:17], v[2:3]
	v_mul_f64 v[2:3], s[14:15], v[2:3]
	v_fma_f64 v[24:25], s[14:15], v[0:1], -v[24:25]
	v_fmac_f64_e32 v[2:3], s[16:17], v[0:1]
	v_add_f64 v[0:1], v[6:7], v[24:25]
	v_add_f64 v[2:3], v[22:23], v[2:3]
	global_store_dwordx4 v[4:5], v[0:3], off offset:768
	global_load_dwordx4 v[0:3], v[20:21], off
	v_add_co_u32_e32 v24, vcc, s2, v4
	v_mul_f64 v[6:7], s[40:41], v[76:77]
	v_mul_f64 v[22:23], s[38:39], v[76:77]
	v_addc_co_u32_e32 v25, vcc, v5, v27, vcc
	v_fma_f64 v[6:7], s[38:39], v[74:75], -v[6:7]
	v_fmac_f64_e32 v[22:23], s[40:41], v[74:75]
	s_waitcnt vmcnt(0)
	v_mul_f64 v[4:5], s[16:17], v[2:3]
	v_mul_f64 v[2:3], s[14:15], v[2:3]
	v_fma_f64 v[4:5], s[14:15], v[0:1], -v[4:5]
	v_fmac_f64_e32 v[2:3], s[16:17], v[0:1]
	v_add_f64 v[0:1], v[6:7], v[4:5]
	v_add_f64 v[2:3], v[22:23], v[2:3]
	global_store_dwordx4 v[24:25], v[0:3], off
	global_load_dwordx4 v[0:3], v[20:21], off offset:256
	v_mul_f64 v[4:5], s[40:41], v[18:19]
	v_mul_f64 v[6:7], s[38:39], v[18:19]
	v_fma_f64 v[4:5], s[38:39], v[16:17], -v[4:5]
	v_fmac_f64_e32 v[6:7], s[40:41], v[16:17]
	s_waitcnt vmcnt(0)
	v_mul_f64 v[16:17], s[16:17], v[2:3]
	v_mul_f64 v[2:3], s[14:15], v[2:3]
	v_fma_f64 v[16:17], s[14:15], v[0:1], -v[16:17]
	v_fmac_f64_e32 v[2:3], s[16:17], v[0:1]
	v_add_f64 v[0:1], v[4:5], v[16:17]
	v_add_f64 v[2:3], v[6:7], v[2:3]
	global_store_dwordx4 v[24:25], v[0:3], off offset:256
	global_load_dwordx4 v[0:3], v[20:21], off offset:512
	v_mul_f64 v[4:5], s[40:41], v[14:15]
	v_mul_f64 v[6:7], s[38:39], v[14:15]
	v_fma_f64 v[4:5], s[38:39], v[12:13], -v[4:5]
	v_fmac_f64_e32 v[6:7], s[40:41], v[12:13]
	s_waitcnt vmcnt(0)
	v_mul_f64 v[12:13], s[16:17], v[2:3]
	v_mul_f64 v[2:3], s[14:15], v[2:3]
	v_fma_f64 v[12:13], s[14:15], v[0:1], -v[12:13]
	v_fmac_f64_e32 v[2:3], s[16:17], v[0:1]
	v_add_f64 v[0:1], v[4:5], v[12:13]
	v_add_f64 v[2:3], v[6:7], v[2:3]
	global_store_dwordx4 v[24:25], v[0:3], off offset:512
	global_load_dwordx4 v[4:7], v[20:21], off offset:768
	v_mul_f64 v[0:1], s[40:41], v[8:9]
	v_mul_f64 v[8:9], s[38:39], v[8:9]
	v_fma_f64 v[0:1], s[38:39], v[10:11], -v[0:1]
	v_fmac_f64_e32 v[8:9], s[40:41], v[10:11]
	v_add_co_u32_e32 v2, vcc, 0x300, v24
	v_addc_co_u32_e32 v3, vcc, 0, v25, vcc
	s_waitcnt vmcnt(0)
	v_mul_f64 v[10:11], s[16:17], v[6:7]
	v_mul_f64 v[6:7], s[14:15], v[6:7]
	v_fma_f64 v[10:11], s[14:15], v[4:5], -v[10:11]
	v_fmac_f64_e32 v[6:7], s[16:17], v[4:5]
	v_add_f64 v[0:1], v[0:1], v[10:11]
	v_add_f64 v[4:5], v[8:9], v[6:7]
	global_store_dwordx2 v[24:25], v[0:1], off offset:768
.LBB266_8:
	global_store_dwordx2 v[2:3], v[4:5], off offset:8
	s_endpgm
	.section	.rodata,"a",@progbits
	.p2align	6, 0x0
	.amdhsa_kernel _ZN12_GLOBAL__N_127rocblas_gemm_batched_kernelI19rocblas_complex_numIdELi16ELi16ELi64ELi64ELi4ELi64ELi4ELi4ELi64ELc84ELc84EKPKS2_S5_KPS2_EEvlllT_PT11_llSA_llS8_PT12_llPT13_lli
		.amdhsa_group_segment_fixed_size 8192
		.amdhsa_private_segment_fixed_size 0
		.amdhsa_kernarg_size 156
		.amdhsa_user_sgpr_count 6
		.amdhsa_user_sgpr_private_segment_buffer 1
		.amdhsa_user_sgpr_dispatch_ptr 0
		.amdhsa_user_sgpr_queue_ptr 0
		.amdhsa_user_sgpr_kernarg_segment_ptr 1
		.amdhsa_user_sgpr_dispatch_id 0
		.amdhsa_user_sgpr_flat_scratch_init 0
		.amdhsa_user_sgpr_kernarg_preload_length 0
		.amdhsa_user_sgpr_kernarg_preload_offset 0
		.amdhsa_user_sgpr_private_segment_size 0
		.amdhsa_uses_dynamic_stack 0
		.amdhsa_system_sgpr_private_segment_wavefront_offset 0
		.amdhsa_system_sgpr_workgroup_id_x 1
		.amdhsa_system_sgpr_workgroup_id_y 1
		.amdhsa_system_sgpr_workgroup_id_z 1
		.amdhsa_system_sgpr_workgroup_info 0
		.amdhsa_system_vgpr_workitem_id 1
		.amdhsa_next_free_vgpr 138
		.amdhsa_next_free_sgpr 52
		.amdhsa_accum_offset 140
		.amdhsa_reserve_vcc 1
		.amdhsa_reserve_flat_scratch 0
		.amdhsa_float_round_mode_32 0
		.amdhsa_float_round_mode_16_64 0
		.amdhsa_float_denorm_mode_32 3
		.amdhsa_float_denorm_mode_16_64 3
		.amdhsa_dx10_clamp 1
		.amdhsa_ieee_mode 1
		.amdhsa_fp16_overflow 0
		.amdhsa_tg_split 0
		.amdhsa_exception_fp_ieee_invalid_op 0
		.amdhsa_exception_fp_denorm_src 0
		.amdhsa_exception_fp_ieee_div_zero 0
		.amdhsa_exception_fp_ieee_overflow 0
		.amdhsa_exception_fp_ieee_underflow 0
		.amdhsa_exception_fp_ieee_inexact 0
		.amdhsa_exception_int_div_zero 0
	.end_amdhsa_kernel
	.section	.text._ZN12_GLOBAL__N_127rocblas_gemm_batched_kernelI19rocblas_complex_numIdELi16ELi16ELi64ELi64ELi4ELi64ELi4ELi4ELi64ELc84ELc84EKPKS2_S5_KPS2_EEvlllT_PT11_llSA_llS8_PT12_llPT13_lli,"axG",@progbits,_ZN12_GLOBAL__N_127rocblas_gemm_batched_kernelI19rocblas_complex_numIdELi16ELi16ELi64ELi64ELi4ELi64ELi4ELi4ELi64ELc84ELc84EKPKS2_S5_KPS2_EEvlllT_PT11_llSA_llS8_PT12_llPT13_lli,comdat
.Lfunc_end266:
	.size	_ZN12_GLOBAL__N_127rocblas_gemm_batched_kernelI19rocblas_complex_numIdELi16ELi16ELi64ELi64ELi4ELi64ELi4ELi4ELi64ELc84ELc84EKPKS2_S5_KPS2_EEvlllT_PT11_llSA_llS8_PT12_llPT13_lli, .Lfunc_end266-_ZN12_GLOBAL__N_127rocblas_gemm_batched_kernelI19rocblas_complex_numIdELi16ELi16ELi64ELi64ELi4ELi64ELi4ELi4ELi64ELc84ELc84EKPKS2_S5_KPS2_EEvlllT_PT11_llSA_llS8_PT12_llPT13_lli
                                        ; -- End function
	.section	.AMDGPU.csdata,"",@progbits
; Kernel info:
; codeLenInByte = 6712
; NumSgprs: 56
; NumVgprs: 138
; NumAgprs: 0
; TotalNumVgprs: 138
; ScratchSize: 0
; MemoryBound: 0
; FloatMode: 240
; IeeeMode: 1
; LDSByteSize: 8192 bytes/workgroup (compile time only)
; SGPRBlocks: 6
; VGPRBlocks: 17
; NumSGPRsForWavesPerEU: 56
; NumVGPRsForWavesPerEU: 138
; AccumOffset: 140
; Occupancy: 3
; WaveLimiterHint : 1
; COMPUTE_PGM_RSRC2:SCRATCH_EN: 0
; COMPUTE_PGM_RSRC2:USER_SGPR: 6
; COMPUTE_PGM_RSRC2:TRAP_HANDLER: 0
; COMPUTE_PGM_RSRC2:TGID_X_EN: 1
; COMPUTE_PGM_RSRC2:TGID_Y_EN: 1
; COMPUTE_PGM_RSRC2:TGID_Z_EN: 1
; COMPUTE_PGM_RSRC2:TIDIG_COMP_CNT: 1
; COMPUTE_PGM_RSRC3_GFX90A:ACCUM_OFFSET: 34
; COMPUTE_PGM_RSRC3_GFX90A:TG_SPLIT: 0
	.section	.text._ZN12_GLOBAL__N_127rocblas_gemm_batched_kernelI19rocblas_complex_numIdELi16ELi16ELi64ELi64ELi4ELi64ELi4ELi4ELi64ELc67ELc67EKPKS2_S5_KPS2_EEvlllT_PT11_llSA_llS8_PT12_llPT13_lli,"axG",@progbits,_ZN12_GLOBAL__N_127rocblas_gemm_batched_kernelI19rocblas_complex_numIdELi16ELi16ELi64ELi64ELi4ELi64ELi4ELi4ELi64ELc67ELc67EKPKS2_S5_KPS2_EEvlllT_PT11_llSA_llS8_PT12_llPT13_lli,comdat
	.globl	_ZN12_GLOBAL__N_127rocblas_gemm_batched_kernelI19rocblas_complex_numIdELi16ELi16ELi64ELi64ELi4ELi64ELi4ELi4ELi64ELc67ELc67EKPKS2_S5_KPS2_EEvlllT_PT11_llSA_llS8_PT12_llPT13_lli ; -- Begin function _ZN12_GLOBAL__N_127rocblas_gemm_batched_kernelI19rocblas_complex_numIdELi16ELi16ELi64ELi64ELi4ELi64ELi4ELi4ELi64ELc67ELc67EKPKS2_S5_KPS2_EEvlllT_PT11_llSA_llS8_PT12_llPT13_lli
	.p2align	8
	.type	_ZN12_GLOBAL__N_127rocblas_gemm_batched_kernelI19rocblas_complex_numIdELi16ELi16ELi64ELi64ELi4ELi64ELi4ELi4ELi64ELc67ELc67EKPKS2_S5_KPS2_EEvlllT_PT11_llSA_llS8_PT12_llPT13_lli,@function
_ZN12_GLOBAL__N_127rocblas_gemm_batched_kernelI19rocblas_complex_numIdELi16ELi16ELi64ELi64ELi4ELi64ELi4ELi4ELi64ELc67ELc67EKPKS2_S5_KPS2_EEvlllT_PT11_llSA_llS8_PT12_llPT13_lli: ; @_ZN12_GLOBAL__N_127rocblas_gemm_batched_kernelI19rocblas_complex_numIdELi16ELi16ELi64ELi64ELi4ELi64ELi4ELi4ELi64ELc67ELc67EKPKS2_S5_KPS2_EEvlllT_PT11_llSA_llS8_PT12_llPT13_lli
; %bb.0:
	s_load_dwordx16 s[36:51], s[4:5], 0x10
	s_load_dwordx16 s[12:27], s[4:5], 0x50
	s_mov_b32 s9, 0
	s_lshl_b64 s[28:29], s[8:9], 3
	s_mov_b32 s10, s7
	v_bfe_u32 v107, v0, 10, 10
	s_waitcnt lgkmcnt(0)
	s_add_u32 s0, s18, s28
	s_addc_u32 s1, s19, s29
	s_add_u32 s2, s24, s28
	s_addc_u32 s3, s25, s29
	s_load_dwordx2 s[0:1], s[0:1], 0x0
	s_ashr_i32 s7, s6, 31
	s_load_dwordx2 s[8:9], s[2:3], 0x0
	s_ashr_i32 s11, s10, 31
	v_cmp_lt_i64_e64 s[18:19], s[36:37], 1
	v_and_b32_e32 v106, 0x3ff, v0
	s_lshl_b64 s[2:3], s[6:7], 6
	s_lshl_b64 s[6:7], s[10:11], 6
	s_mov_b64 s[10:11], 0
	s_and_b64 vcc, exec, s[18:19]
	s_cbranch_vccnz .LBB267_3
; %bb.1:
	v_lshl_add_u32 v4, v107, 4, v106
	s_add_u32 s18, s42, s28
	v_lshrrev_b32_e32 v5, 2, v4
	s_addc_u32 s19, s43, s29
	v_mov_b32_e32 v1, s7
	v_add_co_u32_e32 v0, vcc, s6, v5
	s_add_u32 s24, s48, s28
	v_addc_co_u32_e32 v1, vcc, 0, v1, vcc
	v_and_b32_e32 v6, 3, v106
	s_addc_u32 s25, s49, s29
	v_mad_u64_u32 v[0:1], s[28:29], v6, s50, v[0:1]
	v_mov_b32_e32 v2, v1
	v_mad_u64_u32 v[2:3], s[28:29], v6, s51, v[2:3]
	v_mov_b32_e32 v1, v2
	v_and_b32_e32 v2, 63, v4
	v_lshrrev_b32_e32 v4, 6, v4
	v_lshlrev_b32_e32 v3, 4, v2
	v_lshl_or_b32 v108, v4, 10, v3
	v_lshlrev_b32_e32 v3, 4, v6
	v_lshl_or_b32 v3, v5, 6, v3
	v_add_u32_e32 v109, 0x1000, v3
	v_mov_b32_e32 v3, 0x1000
	v_lshl_add_u32 v111, v107, 6, v3
	v_mov_b32_e32 v3, s3
	v_add_co_u32_e32 v2, vcc, s2, v2
	v_addc_co_u32_e32 v3, vcc, 0, v3, vcc
	v_mul_lo_u32 v5, s45, v2
	v_mul_lo_u32 v6, s44, v3
	v_mad_u64_u32 v[2:3], s[28:29], s44, v2, 0
	v_add3_u32 v3, v3, v6, v5
	s_load_dwordx2 s[18:19], s[18:19], 0x0
	v_lshlrev_b64 v[2:3], 4, v[2:3]
	s_lshl_b64 s[28:29], s[46:47], 4
	v_mov_b32_e32 v5, s29
	v_add_co_u32_e32 v2, vcc, s28, v2
	s_load_dwordx2 s[24:25], s[24:25], 0x0
	v_addc_co_u32_e32 v3, vcc, v3, v5, vcc
	v_lshlrev_b32_e32 v4, 4, v4
	v_add_co_u32_e32 v2, vcc, v2, v4
	v_addc_co_u32_e32 v3, vcc, 0, v3, vcc
	s_waitcnt lgkmcnt(0)
	v_mov_b32_e32 v4, s19
	v_add_co_u32_e32 v2, vcc, s18, v2
	v_addc_co_u32_e32 v3, vcc, v3, v4, vcc
	s_lshl_b64 s[12:13], s[12:13], 4
	v_add_co_u32_e32 v24, vcc, 8, v2
	s_add_u32 s12, s24, s12
	v_addc_co_u32_e32 v25, vcc, 0, v3, vcc
	v_lshlrev_b64 v[0:1], 4, v[0:1]
	s_addc_u32 s13, s25, s13
	v_mov_b32_e32 v2, s13
	v_add_co_u32_e32 v0, vcc, s12, v0
	v_addc_co_u32_e32 v1, vcc, v2, v1, vcc
	v_add_co_u32_e32 v26, vcc, 8, v0
	s_lshl_b64 s[12:13], s[50:51], 6
	v_lshlrev_b32_e32 v110, 4, v106
	v_addc_co_u32_e32 v27, vcc, 0, v1, vcc
	v_pk_mov_b32 v[8:9], 0, 0
	v_mov_b32_e32 v112, s13
	v_pk_mov_b32 v[28:29], s[36:37], s[36:37] op_sel:[0,1]
	v_pk_mov_b32 v[10:11], 0, 0
	v_pk_mov_b32 v[14:15], 0, 0
	;; [unrolled: 1-line block ×31, first 2 shown]
.LBB267_2:                              ; =>This Inner Loop Header: Depth=1
	global_load_dwordx4 v[0:3], v[24:25], off offset:-8
	v_add_co_u32_e32 v24, vcc, 64, v24
	v_addc_co_u32_e32 v25, vcc, 0, v25, vcc
	s_add_u32 s10, s10, 4
	s_addc_u32 s11, s11, 0
	s_waitcnt vmcnt(0)
	v_xor_b32_e32 v3, 0x80000000, v3
	ds_write_b128 v108, v[0:3]
	global_load_dwordx4 v[0:3], v[26:27], off offset:-8
	v_add_co_u32_e32 v26, vcc, s12, v26
	v_addc_co_u32_e32 v27, vcc, v27, v112, vcc
	v_cmp_lt_i64_e32 vcc, s[10:11], v[28:29]
	s_and_b64 vcc, exec, vcc
	s_waitcnt vmcnt(0)
	v_xor_b32_e32 v3, 0x80000000, v3
	ds_write_b128 v109, v[0:3]
	s_waitcnt lgkmcnt(0)
	s_barrier
	ds_read_b128 v[78:81], v111
	ds_read_b128 v[114:117], v111 offset:16
	ds_read_b128 v[4:7], v111 offset:32
	;; [unrolled: 1-line block ×3, first 2 shown]
	ds_read_b128 v[118:121], v110
	s_waitcnt lgkmcnt(0)
	v_mul_f64 v[82:83], v[80:81], v[120:121]
	v_mul_f64 v[84:85], v[78:79], v[120:121]
	v_fma_f64 v[82:83], v[78:79], v[118:119], -v[82:83]
	v_fmac_f64_e32 v[84:85], v[80:81], v[118:119]
	v_add_f64 v[122:123], v[54:55], v[82:83]
	v_add_f64 v[124:125], v[56:57], v[84:85]
	ds_read_b128 v[54:57], v110 offset:256
	s_waitcnt lgkmcnt(0)
	v_mul_f64 v[82:83], v[80:81], v[56:57]
	v_mul_f64 v[84:85], v[78:79], v[56:57]
	v_fma_f64 v[82:83], v[78:79], v[54:55], -v[82:83]
	v_fmac_f64_e32 v[84:85], v[80:81], v[54:55]
	v_add_f64 v[126:127], v[34:35], v[82:83]
	v_add_f64 v[128:129], v[36:37], v[84:85]
	ds_read_b128 v[34:37], v110 offset:512
	;; [unrolled: 8-line block ×3, first 2 shown]
	s_waitcnt lgkmcnt(0)
	v_mul_f64 v[82:83], v[80:81], v[32:33]
	v_fma_f64 v[82:83], v[78:79], v[30:31], -v[82:83]
	v_mul_f64 v[78:79], v[78:79], v[32:33]
	v_fmac_f64_e32 v[78:79], v[80:81], v[30:31]
	v_add_f64 v[134:135], v[20:21], v[82:83]
	v_add_f64 v[136:137], v[22:23], v[78:79]
	ds_read_b128 v[20:23], v111 offset:1024
	s_waitcnt lgkmcnt(0)
	v_mul_f64 v[78:79], v[22:23], v[120:121]
	v_fma_f64 v[78:79], v[20:21], v[118:119], -v[78:79]
	v_add_f64 v[70:71], v[70:71], v[78:79]
	v_mul_f64 v[78:79], v[22:23], v[56:57]
	v_mul_f64 v[80:81], v[20:21], v[120:121]
	v_fma_f64 v[78:79], v[20:21], v[54:55], -v[78:79]
	v_fmac_f64_e32 v[80:81], v[22:23], v[118:119]
	v_add_f64 v[94:95], v[60:61], v[78:79]
	v_mul_f64 v[60:61], v[22:23], v[36:37]
	v_add_f64 v[72:73], v[72:73], v[80:81]
	v_mul_f64 v[80:81], v[20:21], v[56:57]
	v_fma_f64 v[60:61], v[20:21], v[34:35], -v[60:61]
	v_fmac_f64_e32 v[80:81], v[22:23], v[54:55]
	v_add_f64 v[98:99], v[48:49], v[60:61]
	v_mul_f64 v[48:49], v[22:23], v[32:33]
	v_add_f64 v[96:97], v[64:65], v[80:81]
	v_mul_f64 v[64:65], v[20:21], v[36:37]
	v_fma_f64 v[48:49], v[20:21], v[30:31], -v[48:49]
	v_mul_f64 v[20:21], v[20:21], v[32:33]
	v_fmac_f64_e32 v[20:21], v[22:23], v[30:31]
	v_fmac_f64_e32 v[64:65], v[22:23], v[34:35]
	v_add_f64 v[104:105], v[44:45], v[20:21]
	ds_read_b128 v[20:23], v111 offset:2048
	v_add_f64 v[102:103], v[40:41], v[48:49]
	v_add_f64 v[100:101], v[52:53], v[64:65]
	s_waitcnt lgkmcnt(0)
	v_mul_f64 v[40:41], v[22:23], v[120:121]
	v_fma_f64 v[40:41], v[20:21], v[118:119], -v[40:41]
	v_add_f64 v[78:79], v[66:67], v[40:41]
	v_mul_f64 v[40:41], v[22:23], v[56:57]
	v_mul_f64 v[44:45], v[20:21], v[120:121]
	v_fma_f64 v[40:41], v[20:21], v[54:55], -v[40:41]
	v_fmac_f64_e32 v[44:45], v[22:23], v[118:119]
	v_add_f64 v[82:83], v[58:59], v[40:41]
	v_mul_f64 v[40:41], v[22:23], v[36:37]
	v_add_f64 v[80:81], v[68:69], v[44:45]
	v_mul_f64 v[44:45], v[20:21], v[56:57]
	v_fma_f64 v[40:41], v[20:21], v[34:35], -v[40:41]
	v_fmac_f64_e32 v[44:45], v[22:23], v[54:55]
	v_add_f64 v[86:87], v[46:47], v[40:41]
	v_mul_f64 v[40:41], v[22:23], v[32:33]
	v_add_f64 v[84:85], v[62:63], v[44:45]
	v_mul_f64 v[44:45], v[20:21], v[36:37]
	v_fma_f64 v[40:41], v[20:21], v[30:31], -v[40:41]
	v_mul_f64 v[20:21], v[20:21], v[32:33]
	v_fmac_f64_e32 v[20:21], v[22:23], v[30:31]
	v_fmac_f64_e32 v[44:45], v[22:23], v[34:35]
	v_add_f64 v[92:93], v[42:43], v[20:21]
	ds_read_b128 v[20:23], v111 offset:3072
	v_add_f64 v[90:91], v[38:39], v[40:41]
	v_add_f64 v[88:89], v[50:51], v[44:45]
	s_waitcnt lgkmcnt(0)
	v_mul_f64 v[38:39], v[22:23], v[120:121]
	v_mul_f64 v[40:41], v[20:21], v[120:121]
	v_fma_f64 v[38:39], v[20:21], v[118:119], -v[38:39]
	v_fmac_f64_e32 v[40:41], v[22:23], v[118:119]
	v_add_f64 v[58:59], v[74:75], v[38:39]
	v_add_f64 v[60:61], v[76:77], v[40:41]
	v_mul_f64 v[38:39], v[22:23], v[56:57]
	v_mul_f64 v[40:41], v[20:21], v[56:57]
	v_fma_f64 v[38:39], v[20:21], v[54:55], -v[38:39]
	v_fmac_f64_e32 v[40:41], v[22:23], v[54:55]
	v_add_f64 v[54:55], v[16:17], v[38:39]
	v_add_f64 v[56:57], v[18:19], v[40:41]
	v_mul_f64 v[16:17], v[22:23], v[36:37]
	v_mul_f64 v[18:19], v[20:21], v[36:37]
	v_fma_f64 v[16:17], v[20:21], v[34:35], -v[16:17]
	v_fmac_f64_e32 v[18:19], v[22:23], v[34:35]
	v_add_f64 v[50:51], v[12:13], v[16:17]
	v_add_f64 v[52:53], v[14:15], v[18:19]
	v_mul_f64 v[12:13], v[22:23], v[32:33]
	v_mul_f64 v[14:15], v[20:21], v[32:33]
	v_fma_f64 v[12:13], v[20:21], v[30:31], -v[12:13]
	v_fmac_f64_e32 v[14:15], v[22:23], v[30:31]
	ds_read_b128 v[20:23], v110 offset:1024
	ds_read_b128 v[16:19], v110 offset:1280
	v_add_f64 v[46:47], v[10:11], v[12:13]
	v_add_f64 v[48:49], v[8:9], v[14:15]
	ds_read_b128 v[12:15], v110 offset:1536
	ds_read_b128 v[74:77], v111 offset:1040
	s_waitcnt lgkmcnt(3)
	v_mul_f64 v[8:9], v[116:117], v[22:23]
	v_mul_f64 v[10:11], v[114:115], v[22:23]
	v_fma_f64 v[8:9], v[114:115], v[20:21], -v[8:9]
	v_fmac_f64_e32 v[10:11], v[116:117], v[20:21]
	v_add_f64 v[42:43], v[122:123], v[8:9]
	v_add_f64 v[44:45], v[124:125], v[10:11]
	s_waitcnt lgkmcnt(2)
	v_mul_f64 v[8:9], v[116:117], v[18:19]
	v_mul_f64 v[10:11], v[114:115], v[18:19]
	v_fma_f64 v[8:9], v[114:115], v[16:17], -v[8:9]
	v_fmac_f64_e32 v[10:11], v[116:117], v[16:17]
	v_add_f64 v[38:39], v[126:127], v[8:9]
	v_add_f64 v[40:41], v[128:129], v[10:11]
	;; [unrolled: 7-line block ×3, first 2 shown]
	ds_read_b128 v[8:11], v110 offset:1792
	s_waitcnt lgkmcnt(1)
	v_mul_f64 v[66:67], v[76:77], v[18:19]
	v_mul_f64 v[68:69], v[74:75], v[18:19]
	v_mul_f64 v[62:63], v[76:77], v[22:23]
	v_mul_f64 v[64:65], v[74:75], v[22:23]
	v_fma_f64 v[66:67], v[74:75], v[16:17], -v[66:67]
	v_fmac_f64_e32 v[68:69], v[76:77], v[16:17]
	v_fma_f64 v[62:63], v[74:75], v[20:21], -v[62:63]
	v_fmac_f64_e32 v[64:65], v[76:77], v[20:21]
	v_add_f64 v[66:67], v[94:95], v[66:67]
	v_add_f64 v[68:69], v[96:97], v[68:69]
	s_waitcnt lgkmcnt(0)
	v_mul_f64 v[94:95], v[76:77], v[10:11]
	v_mul_f64 v[96:97], v[74:75], v[10:11]
	v_add_f64 v[62:63], v[70:71], v[62:63]
	v_add_f64 v[64:65], v[72:73], v[64:65]
	v_mul_f64 v[70:71], v[76:77], v[14:15]
	v_mul_f64 v[72:73], v[74:75], v[14:15]
	v_fma_f64 v[94:95], v[74:75], v[8:9], -v[94:95]
	v_fmac_f64_e32 v[96:97], v[76:77], v[8:9]
	v_fma_f64 v[70:71], v[74:75], v[12:13], -v[70:71]
	v_fmac_f64_e32 v[72:73], v[76:77], v[12:13]
	v_add_f64 v[74:75], v[102:103], v[94:95]
	v_add_f64 v[76:77], v[104:105], v[96:97]
	ds_read_b128 v[94:97], v111 offset:2064
	v_add_f64 v[70:71], v[98:99], v[70:71]
	v_add_f64 v[72:73], v[100:101], v[72:73]
	v_mul_f64 v[30:31], v[116:117], v[10:11]
	v_mul_f64 v[32:33], v[114:115], v[10:11]
	s_waitcnt lgkmcnt(0)
	v_mul_f64 v[98:99], v[96:97], v[22:23]
	v_mul_f64 v[100:101], v[94:95], v[22:23]
	v_fma_f64 v[98:99], v[94:95], v[20:21], -v[98:99]
	v_fmac_f64_e32 v[100:101], v[96:97], v[20:21]
	v_add_f64 v[78:79], v[78:79], v[98:99]
	v_add_f64 v[80:81], v[80:81], v[100:101]
	v_mul_f64 v[98:99], v[96:97], v[18:19]
	v_mul_f64 v[100:101], v[94:95], v[18:19]
	v_fma_f64 v[98:99], v[94:95], v[16:17], -v[98:99]
	v_fmac_f64_e32 v[100:101], v[96:97], v[16:17]
	v_add_f64 v[82:83], v[82:83], v[98:99]
	v_add_f64 v[84:85], v[84:85], v[100:101]
	;; [unrolled: 6-line block ×4, first 2 shown]
	ds_read_b128 v[90:93], v111 offset:3088
	v_fma_f64 v[30:31], v[114:115], v[8:9], -v[30:31]
	v_fmac_f64_e32 v[32:33], v[116:117], v[8:9]
	v_add_f64 v[32:33], v[136:137], v[32:33]
	v_add_f64 v[30:31], v[134:135], v[30:31]
	s_waitcnt lgkmcnt(0)
	v_mul_f64 v[98:99], v[92:93], v[22:23]
	v_mul_f64 v[22:23], v[90:91], v[22:23]
	v_fma_f64 v[98:99], v[90:91], v[20:21], -v[98:99]
	v_fmac_f64_e32 v[22:23], v[92:93], v[20:21]
	v_mul_f64 v[20:21], v[92:93], v[18:19]
	v_mul_f64 v[18:19], v[90:91], v[18:19]
	v_fma_f64 v[20:21], v[90:91], v[16:17], -v[20:21]
	v_fmac_f64_e32 v[18:19], v[92:93], v[16:17]
	;; [unrolled: 4-line block ×3, first 2 shown]
	v_mul_f64 v[12:13], v[92:93], v[10:11]
	v_mul_f64 v[10:11], v[90:91], v[10:11]
	v_fmac_f64_e32 v[10:11], v[92:93], v[8:9]
	v_fma_f64 v[12:13], v[90:91], v[8:9], -v[12:13]
	v_add_f64 v[114:115], v[48:49], v[10:11]
	ds_read_b128 v[8:11], v110 offset:2048
	v_add_f64 v[102:103], v[52:53], v[14:15]
	v_add_f64 v[104:105], v[46:47], v[12:13]
	;; [unrolled: 1-line block ×4, first 2 shown]
	s_waitcnt lgkmcnt(0)
	v_mul_f64 v[12:13], v[6:7], v[10:11]
	v_mul_f64 v[14:15], v[4:5], v[10:11]
	v_fma_f64 v[12:13], v[4:5], v[8:9], -v[12:13]
	v_fmac_f64_e32 v[14:15], v[6:7], v[8:9]
	v_add_f64 v[116:117], v[42:43], v[12:13]
	v_add_f64 v[118:119], v[44:45], v[14:15]
	ds_read_b128 v[12:15], v110 offset:2304
	v_add_f64 v[60:61], v[60:61], v[22:23]
	v_add_f64 v[54:55], v[54:55], v[20:21]
	;; [unrolled: 1-line block ×3, first 2 shown]
	s_waitcnt lgkmcnt(0)
	v_mul_f64 v[16:17], v[6:7], v[14:15]
	v_mul_f64 v[18:19], v[4:5], v[14:15]
	v_fma_f64 v[16:17], v[4:5], v[12:13], -v[16:17]
	v_fmac_f64_e32 v[18:19], v[6:7], v[12:13]
	v_add_f64 v[120:121], v[38:39], v[16:17]
	v_add_f64 v[122:123], v[40:41], v[18:19]
	ds_read_b128 v[16:19], v110 offset:2560
	s_waitcnt lgkmcnt(0)
	v_mul_f64 v[20:21], v[6:7], v[18:19]
	v_mul_f64 v[22:23], v[4:5], v[18:19]
	v_fma_f64 v[20:21], v[4:5], v[16:17], -v[20:21]
	v_fmac_f64_e32 v[22:23], v[6:7], v[16:17]
	v_add_f64 v[124:125], v[34:35], v[20:21]
	v_add_f64 v[126:127], v[36:37], v[22:23]
	ds_read_b128 v[20:23], v110 offset:2816
	s_waitcnt lgkmcnt(0)
	v_mul_f64 v[34:35], v[6:7], v[22:23]
	v_fma_f64 v[34:35], v[4:5], v[20:21], -v[34:35]
	v_mul_f64 v[4:5], v[4:5], v[22:23]
	v_fmac_f64_e32 v[4:5], v[6:7], v[20:21]
	v_add_f64 v[130:131], v[32:33], v[4:5]
	ds_read_b128 v[4:7], v111 offset:1056
	v_add_f64 v[128:129], v[30:31], v[34:35]
	s_waitcnt lgkmcnt(0)
	v_mul_f64 v[30:31], v[6:7], v[10:11]
	v_fma_f64 v[30:31], v[4:5], v[8:9], -v[30:31]
	v_add_f64 v[40:41], v[62:63], v[30:31]
	v_mul_f64 v[30:31], v[6:7], v[14:15]
	v_mul_f64 v[32:33], v[4:5], v[10:11]
	v_fma_f64 v[30:31], v[4:5], v[12:13], -v[30:31]
	v_fmac_f64_e32 v[32:33], v[6:7], v[8:9]
	v_add_f64 v[48:49], v[66:67], v[30:31]
	v_mul_f64 v[30:31], v[6:7], v[18:19]
	v_add_f64 v[44:45], v[64:65], v[32:33]
	v_mul_f64 v[32:33], v[4:5], v[14:15]
	v_fma_f64 v[30:31], v[4:5], v[16:17], -v[30:31]
	v_fmac_f64_e32 v[32:33], v[6:7], v[12:13]
	v_add_f64 v[58:59], v[70:71], v[30:31]
	v_mul_f64 v[30:31], v[6:7], v[22:23]
	v_add_f64 v[52:53], v[68:69], v[32:33]
	v_mul_f64 v[32:33], v[4:5], v[18:19]
	v_fma_f64 v[30:31], v[4:5], v[20:21], -v[30:31]
	v_mul_f64 v[4:5], v[4:5], v[22:23]
	v_fmac_f64_e32 v[4:5], v[6:7], v[20:21]
	v_fmac_f64_e32 v[32:33], v[6:7], v[16:17]
	v_add_f64 v[68:69], v[76:77], v[4:5]
	ds_read_b128 v[4:7], v111 offset:2080
	v_add_f64 v[66:67], v[74:75], v[30:31]
	v_add_f64 v[62:63], v[72:73], v[32:33]
	s_waitcnt lgkmcnt(0)
	v_mul_f64 v[30:31], v[6:7], v[10:11]
	v_fma_f64 v[30:31], v[4:5], v[8:9], -v[30:31]
	v_add_f64 v[38:39], v[78:79], v[30:31]
	v_mul_f64 v[30:31], v[6:7], v[14:15]
	v_mul_f64 v[32:33], v[4:5], v[10:11]
	v_fma_f64 v[30:31], v[4:5], v[12:13], -v[30:31]
	v_fmac_f64_e32 v[32:33], v[6:7], v[8:9]
	v_add_f64 v[46:47], v[82:83], v[30:31]
	v_mul_f64 v[30:31], v[6:7], v[18:19]
	v_add_f64 v[42:43], v[80:81], v[32:33]
	v_mul_f64 v[32:33], v[4:5], v[14:15]
	v_fma_f64 v[30:31], v[4:5], v[16:17], -v[30:31]
	v_fmac_f64_e32 v[32:33], v[6:7], v[12:13]
	v_add_f64 v[90:91], v[86:87], v[30:31]
	v_mul_f64 v[30:31], v[6:7], v[22:23]
	v_add_f64 v[50:51], v[84:85], v[32:33]
	v_mul_f64 v[32:33], v[4:5], v[18:19]
	v_fma_f64 v[30:31], v[4:5], v[20:21], -v[30:31]
	v_mul_f64 v[4:5], v[4:5], v[22:23]
	v_fmac_f64_e32 v[4:5], v[6:7], v[20:21]
	v_fmac_f64_e32 v[32:33], v[6:7], v[16:17]
	v_add_f64 v[96:97], v[96:97], v[4:5]
	ds_read_b128 v[4:7], v111 offset:3104
	v_add_f64 v[94:95], v[94:95], v[30:31]
	v_add_f64 v[92:93], v[88:89], v[32:33]
	s_waitcnt lgkmcnt(0)
	v_mul_f64 v[30:31], v[6:7], v[10:11]
	v_mul_f64 v[10:11], v[4:5], v[10:11]
	v_fmac_f64_e32 v[10:11], v[6:7], v[8:9]
	v_fma_f64 v[30:31], v[4:5], v[8:9], -v[30:31]
	v_add_f64 v[76:77], v[60:61], v[10:11]
	v_mul_f64 v[8:9], v[6:7], v[14:15]
	v_mul_f64 v[10:11], v[4:5], v[14:15]
	v_fma_f64 v[8:9], v[4:5], v[12:13], -v[8:9]
	v_fmac_f64_e32 v[10:11], v[6:7], v[12:13]
	v_add_f64 v[86:87], v[54:55], v[8:9]
	v_add_f64 v[88:89], v[56:57], v[10:11]
	v_mul_f64 v[8:9], v[6:7], v[18:19]
	v_mul_f64 v[10:11], v[4:5], v[18:19]
	v_fma_f64 v[8:9], v[4:5], v[16:17], -v[8:9]
	v_fmac_f64_e32 v[10:11], v[6:7], v[16:17]
	ds_read_b128 v[16:19], v110 offset:3072
	ds_read_b128 v[12:15], v110 offset:3328
	v_add_f64 v[82:83], v[100:101], v[8:9]
	v_mul_f64 v[8:9], v[6:7], v[22:23]
	v_fma_f64 v[8:9], v[4:5], v[20:21], -v[8:9]
	v_mul_f64 v[4:5], v[4:5], v[22:23]
	v_add_f64 v[84:85], v[102:103], v[10:11]
	v_fmac_f64_e32 v[4:5], v[6:7], v[20:21]
	v_add_f64 v[78:79], v[104:105], v[8:9]
	ds_read_b128 v[8:11], v110 offset:3584
	v_add_f64 v[80:81], v[114:115], v[4:5]
	s_waitcnt lgkmcnt(2)
	v_mul_f64 v[4:5], v[2:3], v[18:19]
	v_mul_f64 v[6:7], v[0:1], v[18:19]
	v_fma_f64 v[4:5], v[0:1], v[16:17], -v[4:5]
	v_fmac_f64_e32 v[6:7], v[2:3], v[16:17]
	v_add_f64 v[54:55], v[116:117], v[4:5]
	v_add_f64 v[56:57], v[118:119], v[6:7]
	s_waitcnt lgkmcnt(1)
	v_mul_f64 v[4:5], v[2:3], v[14:15]
	v_mul_f64 v[6:7], v[0:1], v[14:15]
	v_fma_f64 v[4:5], v[0:1], v[12:13], -v[4:5]
	v_fmac_f64_e32 v[6:7], v[2:3], v[12:13]
	v_add_f64 v[34:35], v[120:121], v[4:5]
	;; [unrolled: 7-line block ×3, first 2 shown]
	v_add_f64 v[30:31], v[124:125], v[4:5]
	v_add_f64 v[32:33], v[126:127], v[6:7]
	ds_read_b128 v[4:7], v110 offset:3840
	s_waitcnt lgkmcnt(0)
	v_mul_f64 v[20:21], v[2:3], v[6:7]
	v_fma_f64 v[20:21], v[0:1], v[4:5], -v[20:21]
	v_mul_f64 v[0:1], v[0:1], v[6:7]
	v_fmac_f64_e32 v[0:1], v[2:3], v[4:5]
	v_add_f64 v[22:23], v[130:131], v[0:1]
	ds_read_b128 v[0:3], v111 offset:1072
	v_add_f64 v[20:21], v[128:129], v[20:21]
	s_waitcnt lgkmcnt(0)
	v_mul_f64 v[60:61], v[2:3], v[18:19]
	v_fma_f64 v[60:61], v[0:1], v[16:17], -v[60:61]
	v_add_f64 v[70:71], v[40:41], v[60:61]
	v_mul_f64 v[40:41], v[2:3], v[14:15]
	v_mul_f64 v[64:65], v[0:1], v[18:19]
	v_fma_f64 v[40:41], v[0:1], v[12:13], -v[40:41]
	v_fmac_f64_e32 v[64:65], v[2:3], v[16:17]
	v_add_f64 v[60:61], v[48:49], v[40:41]
	v_mul_f64 v[40:41], v[2:3], v[10:11]
	v_add_f64 v[72:73], v[44:45], v[64:65]
	v_mul_f64 v[44:45], v[0:1], v[14:15]
	v_fma_f64 v[40:41], v[0:1], v[8:9], -v[40:41]
	v_fmac_f64_e32 v[44:45], v[2:3], v[12:13]
	v_add_f64 v[48:49], v[58:59], v[40:41]
	v_mul_f64 v[40:41], v[2:3], v[6:7]
	v_add_f64 v[64:65], v[52:53], v[44:45]
	v_mul_f64 v[44:45], v[0:1], v[10:11]
	v_fma_f64 v[40:41], v[0:1], v[4:5], -v[40:41]
	v_mul_f64 v[0:1], v[0:1], v[6:7]
	v_fmac_f64_e32 v[44:45], v[2:3], v[8:9]
	v_fmac_f64_e32 v[0:1], v[2:3], v[4:5]
	v_add_f64 v[52:53], v[62:63], v[44:45]
	v_add_f64 v[44:45], v[68:69], v[0:1]
	ds_read_b128 v[0:3], v111 offset:2096
	v_add_f64 v[40:41], v[66:67], v[40:41]
	s_waitcnt lgkmcnt(0)
	v_mul_f64 v[58:59], v[2:3], v[18:19]
	v_fma_f64 v[58:59], v[0:1], v[16:17], -v[58:59]
	v_add_f64 v[66:67], v[38:39], v[58:59]
	v_mul_f64 v[38:39], v[2:3], v[14:15]
	v_mul_f64 v[62:63], v[0:1], v[18:19]
	v_fma_f64 v[38:39], v[0:1], v[12:13], -v[38:39]
	v_fmac_f64_e32 v[62:63], v[2:3], v[16:17]
	v_add_f64 v[58:59], v[46:47], v[38:39]
	v_mul_f64 v[38:39], v[2:3], v[10:11]
	v_add_f64 v[68:69], v[42:43], v[62:63]
	v_mul_f64 v[42:43], v[0:1], v[14:15]
	v_fma_f64 v[38:39], v[0:1], v[8:9], -v[38:39]
	v_fmac_f64_e32 v[42:43], v[2:3], v[12:13]
	v_add_f64 v[46:47], v[90:91], v[38:39]
	v_mul_f64 v[38:39], v[2:3], v[6:7]
	v_add_f64 v[62:63], v[50:51], v[42:43]
	v_mul_f64 v[42:43], v[0:1], v[10:11]
	v_fma_f64 v[38:39], v[0:1], v[4:5], -v[38:39]
	v_mul_f64 v[0:1], v[0:1], v[6:7]
	v_fmac_f64_e32 v[42:43], v[2:3], v[8:9]
	v_fmac_f64_e32 v[0:1], v[2:3], v[4:5]
	v_add_f64 v[50:51], v[92:93], v[42:43]
	v_add_f64 v[42:43], v[96:97], v[0:1]
	ds_read_b128 v[0:3], v111 offset:3120
	v_add_f64 v[38:39], v[94:95], v[38:39]
	s_waitcnt lgkmcnt(0)
	s_barrier
	v_mul_f64 v[90:91], v[2:3], v[18:19]
	v_mul_f64 v[18:19], v[0:1], v[18:19]
	v_fma_f64 v[90:91], v[0:1], v[16:17], -v[90:91]
	v_fmac_f64_e32 v[18:19], v[2:3], v[16:17]
	v_mul_f64 v[16:17], v[2:3], v[14:15]
	v_mul_f64 v[14:15], v[0:1], v[14:15]
	v_fma_f64 v[16:17], v[0:1], v[12:13], -v[16:17]
	v_fmac_f64_e32 v[14:15], v[2:3], v[12:13]
	;; [unrolled: 4-line block ×3, first 2 shown]
	v_mul_f64 v[8:9], v[2:3], v[6:7]
	v_fma_f64 v[8:9], v[0:1], v[4:5], -v[8:9]
	v_mul_f64 v[0:1], v[0:1], v[6:7]
	v_fmac_f64_e32 v[0:1], v[2:3], v[4:5]
	v_add_f64 v[74:75], v[74:75], v[90:91]
	v_add_f64 v[76:77], v[76:77], v[18:19]
	v_add_f64 v[16:17], v[86:87], v[16:17]
	v_add_f64 v[18:19], v[88:89], v[14:15]
	v_add_f64 v[12:13], v[82:83], v[12:13]
	v_add_f64 v[14:15], v[84:85], v[10:11]
	v_add_f64 v[10:11], v[78:79], v[8:9]
	v_add_f64 v[8:9], v[80:81], v[0:1]
	s_cbranch_vccnz .LBB267_2
	s_branch .LBB267_4
.LBB267_3:
	v_pk_mov_b32 v[54:55], 0, 0
	v_pk_mov_b32 v[56:57], 0, 0
	;; [unrolled: 1-line block ×32, first 2 shown]
.LBB267_4:
	s_load_dwordx2 s[4:5], s[4:5], 0x90
	v_mov_b32_e32 v0, s7
	v_add_co_u32_e32 v6, vcc, s6, v107
	v_addc_co_u32_e32 v7, vcc, 0, v0, vcc
	s_waitcnt lgkmcnt(0)
	s_lshl_b64 s[4:5], s[4:5], 4
	s_add_u32 s7, s8, s4
	v_cmp_neq_f64_e64 s[10:11], s[14:15], 0
	v_cmp_neq_f64_e64 s[12:13], s[16:17], 0
	v_mov_b32_e32 v1, s3
	v_add_co_u32_e32 v0, vcc, s2, v106
	s_addc_u32 s8, s9, s5
	s_or_b64 s[10:11], s[10:11], s[12:13]
	v_addc_co_u32_e32 v1, vcc, 0, v1, vcc
	s_mov_b64 s[4:5], 0
	s_and_b64 vcc, exec, s[10:11]
	s_cbranch_vccnz .LBB267_6
; %bb.5:
	v_mul_lo_u32 v4, v7, s26
	v_mul_lo_u32 v5, v6, s27
	v_mad_u64_u32 v[2:3], s[2:3], v6, s26, 0
	v_add3_u32 v3, v3, v5, v4
	v_lshlrev_b64 v[2:3], 4, v[2:3]
	v_mov_b32_e32 v4, s8
	v_add_co_u32_e32 v26, vcc, s7, v2
	v_addc_co_u32_e32 v27, vcc, v4, v3, vcc
	v_lshlrev_b64 v[24:25], 4, v[0:1]
	v_mul_f64 v[2:3], s[40:41], v[56:57]
	v_mul_f64 v[4:5], s[38:39], v[56:57]
	v_add_co_u32_e32 v24, vcc, v26, v24
	v_fma_f64 v[2:3], s[38:39], v[54:55], -v[2:3]
	v_fmac_f64_e32 v[4:5], s[40:41], v[54:55]
	v_addc_co_u32_e32 v25, vcc, v27, v25, vcc
	global_store_dwordx4 v[24:25], v[2:5], off
	s_lshl_b64 s[2:3], s[26:27], 8
	v_mul_f64 v[2:3], s[40:41], v[36:37]
	v_mul_f64 v[4:5], s[38:39], v[36:37]
	v_fma_f64 v[2:3], s[38:39], v[34:35], -v[2:3]
	v_fmac_f64_e32 v[4:5], s[40:41], v[34:35]
	global_store_dwordx4 v[24:25], v[2:5], off offset:256
	v_mov_b32_e32 v26, s3
	v_mul_f64 v[2:3], s[40:41], v[32:33]
	v_mul_f64 v[4:5], s[38:39], v[32:33]
	v_fma_f64 v[2:3], s[38:39], v[30:31], -v[2:3]
	v_fmac_f64_e32 v[4:5], s[40:41], v[30:31]
	global_store_dwordx4 v[24:25], v[2:5], off offset:512
	s_nop 0
	v_mul_f64 v[2:3], s[40:41], v[22:23]
	v_mul_f64 v[4:5], s[38:39], v[22:23]
	v_fma_f64 v[2:3], s[38:39], v[20:21], -v[2:3]
	v_fmac_f64_e32 v[4:5], s[40:41], v[20:21]
	global_store_dwordx4 v[24:25], v[2:5], off offset:768
	v_add_co_u32_e32 v24, vcc, s2, v24
	v_mul_f64 v[2:3], s[40:41], v[72:73]
	v_mul_f64 v[4:5], s[38:39], v[72:73]
	v_fma_f64 v[2:3], s[38:39], v[70:71], -v[2:3]
	v_fmac_f64_e32 v[4:5], s[40:41], v[70:71]
	v_addc_co_u32_e32 v25, vcc, v25, v26, vcc
	global_store_dwordx4 v[24:25], v[2:5], off
	s_nop 0
	v_mul_f64 v[2:3], s[40:41], v[64:65]
	v_mul_f64 v[4:5], s[38:39], v[64:65]
	v_fma_f64 v[2:3], s[38:39], v[60:61], -v[2:3]
	v_fmac_f64_e32 v[4:5], s[40:41], v[60:61]
	global_store_dwordx4 v[24:25], v[2:5], off offset:256
	s_nop 0
	v_mul_f64 v[2:3], s[40:41], v[52:53]
	v_mul_f64 v[4:5], s[38:39], v[52:53]
	v_fma_f64 v[2:3], s[38:39], v[48:49], -v[2:3]
	v_fmac_f64_e32 v[4:5], s[40:41], v[48:49]
	global_store_dwordx4 v[24:25], v[2:5], off offset:512
	s_nop 0
	v_mul_f64 v[2:3], s[40:41], v[44:45]
	v_mul_f64 v[4:5], s[38:39], v[44:45]
	v_fma_f64 v[2:3], s[38:39], v[40:41], -v[2:3]
	v_fmac_f64_e32 v[4:5], s[40:41], v[40:41]
	global_store_dwordx4 v[24:25], v[2:5], off offset:768
	v_add_co_u32_e32 v24, vcc, s2, v24
	v_mul_f64 v[2:3], s[40:41], v[68:69]
	v_mul_f64 v[4:5], s[38:39], v[68:69]
	v_fma_f64 v[2:3], s[38:39], v[66:67], -v[2:3]
	v_fmac_f64_e32 v[4:5], s[40:41], v[66:67]
	v_addc_co_u32_e32 v25, vcc, v25, v26, vcc
	global_store_dwordx4 v[24:25], v[2:5], off
	s_nop 0
	v_mul_f64 v[2:3], s[40:41], v[62:63]
	v_mul_f64 v[4:5], s[38:39], v[62:63]
	v_fma_f64 v[2:3], s[38:39], v[58:59], -v[2:3]
	v_fmac_f64_e32 v[4:5], s[40:41], v[58:59]
	global_store_dwordx4 v[24:25], v[2:5], off offset:256
	s_nop 0
	;; [unrolled: 25-line block ×3, first 2 shown]
	v_mul_f64 v[2:3], s[40:41], v[14:15]
	v_mul_f64 v[4:5], s[38:39], v[14:15]
	v_fma_f64 v[2:3], s[38:39], v[12:13], -v[2:3]
	v_fmac_f64_e32 v[4:5], s[40:41], v[12:13]
	global_store_dwordx4 v[24:25], v[2:5], off offset:512
	s_nop 0
	v_mul_f64 v[2:3], s[40:41], v[8:9]
	v_fma_f64 v[26:27], s[38:39], v[10:11], -v[2:3]
	v_mul_f64 v[4:5], s[38:39], v[8:9]
	v_add_co_u32_e32 v2, vcc, 0x300, v24
	v_fmac_f64_e32 v[4:5], s[40:41], v[10:11]
	v_addc_co_u32_e32 v3, vcc, 0, v25, vcc
	global_store_dwordx2 v[24:25], v[26:27], off offset:768
	s_andn2_b64 vcc, exec, s[4:5]
	s_cbranch_vccz .LBB267_7
	s_branch .LBB267_8
.LBB267_6:
                                        ; implicit-def: $vgpr4_vgpr5
                                        ; implicit-def: $vgpr2_vgpr3
.LBB267_7:
	s_lshl_b64 s[2:3], s[22:23], 4
	s_add_u32 s2, s0, s2
	s_addc_u32 s3, s1, s3
	v_mul_lo_u32 v4, v7, s20
	v_mul_lo_u32 v5, v6, s21
	v_mad_u64_u32 v[2:3], s[0:1], v6, s20, 0
	v_add3_u32 v3, v3, v5, v4
	v_lshlrev_b64 v[2:3], 4, v[2:3]
	v_mov_b32_e32 v4, s3
	v_add_co_u32_e32 v2, vcc, s2, v2
	v_addc_co_u32_e32 v3, vcc, v4, v3, vcc
	v_lshlrev_b64 v[4:5], 4, v[0:1]
	v_add_co_u32_e32 v24, vcc, v2, v4
	v_addc_co_u32_e32 v25, vcc, v3, v5, vcc
	global_load_dwordx4 v[0:3], v[24:25], off
	v_mul_lo_u32 v78, v7, s26
	v_mul_lo_u32 v79, v6, s27
	v_mad_u64_u32 v[6:7], s[0:1], v6, s26, 0
	v_add3_u32 v7, v7, v79, v78
	v_lshlrev_b64 v[6:7], 4, v[6:7]
	v_mov_b32_e32 v80, s8
	v_add_co_u32_e32 v6, vcc, s7, v6
	v_addc_co_u32_e32 v7, vcc, v80, v7, vcc
	v_add_co_u32_e32 v4, vcc, v6, v4
	v_mul_f64 v[26:27], s[40:41], v[56:57]
	v_mul_f64 v[28:29], s[38:39], v[56:57]
	v_addc_co_u32_e32 v5, vcc, v7, v5, vcc
	v_fma_f64 v[26:27], s[38:39], v[54:55], -v[26:27]
	v_fmac_f64_e32 v[28:29], s[40:41], v[54:55]
	s_lshl_b64 s[0:1], s[20:21], 8
	s_lshl_b64 s[2:3], s[26:27], 8
	s_waitcnt vmcnt(0)
	v_mul_f64 v[6:7], s[16:17], v[2:3]
	v_mul_f64 v[2:3], s[14:15], v[2:3]
	v_fma_f64 v[6:7], s[14:15], v[0:1], -v[6:7]
	v_fmac_f64_e32 v[2:3], s[16:17], v[0:1]
	v_add_f64 v[0:1], v[26:27], v[6:7]
	v_add_f64 v[2:3], v[28:29], v[2:3]
	global_store_dwordx4 v[4:5], v[0:3], off
	global_load_dwordx4 v[0:3], v[24:25], off offset:256
	v_mul_f64 v[6:7], s[40:41], v[36:37]
	v_mul_f64 v[26:27], s[38:39], v[36:37]
	v_fma_f64 v[6:7], s[38:39], v[34:35], -v[6:7]
	v_fmac_f64_e32 v[26:27], s[40:41], v[34:35]
	s_waitcnt vmcnt(0)
	v_mul_f64 v[28:29], s[16:17], v[2:3]
	v_mul_f64 v[2:3], s[14:15], v[2:3]
	v_fma_f64 v[28:29], s[14:15], v[0:1], -v[28:29]
	v_fmac_f64_e32 v[2:3], s[16:17], v[0:1]
	v_add_f64 v[0:1], v[6:7], v[28:29]
	v_add_f64 v[2:3], v[26:27], v[2:3]
	global_store_dwordx4 v[4:5], v[0:3], off offset:256
	global_load_dwordx4 v[0:3], v[24:25], off offset:512
	v_mul_f64 v[6:7], s[40:41], v[32:33]
	v_mul_f64 v[26:27], s[38:39], v[32:33]
	v_fma_f64 v[6:7], s[38:39], v[30:31], -v[6:7]
	v_fmac_f64_e32 v[26:27], s[40:41], v[30:31]
	s_waitcnt vmcnt(0)
	v_mul_f64 v[28:29], s[16:17], v[2:3]
	v_mul_f64 v[2:3], s[14:15], v[2:3]
	v_fma_f64 v[28:29], s[14:15], v[0:1], -v[28:29]
	v_fmac_f64_e32 v[2:3], s[16:17], v[0:1]
	v_add_f64 v[0:1], v[6:7], v[28:29]
	v_add_f64 v[2:3], v[26:27], v[2:3]
	global_store_dwordx4 v[4:5], v[0:3], off offset:512
	global_load_dwordx4 v[0:3], v[24:25], off offset:768
	v_mul_f64 v[6:7], s[40:41], v[22:23]
	v_mul_f64 v[22:23], s[38:39], v[22:23]
	v_fma_f64 v[6:7], s[38:39], v[20:21], -v[6:7]
	v_fmac_f64_e32 v[22:23], s[40:41], v[20:21]
	v_mov_b32_e32 v26, s1
	v_add_co_u32_e32 v20, vcc, s0, v24
	v_addc_co_u32_e32 v21, vcc, v25, v26, vcc
	v_mov_b32_e32 v27, s3
	s_waitcnt vmcnt(0)
	v_mul_f64 v[24:25], s[16:17], v[2:3]
	v_mul_f64 v[2:3], s[14:15], v[2:3]
	v_fma_f64 v[24:25], s[14:15], v[0:1], -v[24:25]
	v_fmac_f64_e32 v[2:3], s[16:17], v[0:1]
	v_add_f64 v[0:1], v[6:7], v[24:25]
	v_add_f64 v[2:3], v[22:23], v[2:3]
	global_store_dwordx4 v[4:5], v[0:3], off offset:768
	global_load_dwordx4 v[0:3], v[20:21], off
	v_mul_f64 v[6:7], s[40:41], v[72:73]
	v_mul_f64 v[22:23], s[38:39], v[72:73]
	v_fma_f64 v[6:7], s[38:39], v[70:71], -v[6:7]
	v_fmac_f64_e32 v[22:23], s[40:41], v[70:71]
	v_add_co_u32_e32 v4, vcc, s2, v4
	v_addc_co_u32_e32 v5, vcc, v5, v27, vcc
	s_waitcnt vmcnt(0)
	v_mul_f64 v[24:25], s[16:17], v[2:3]
	v_mul_f64 v[2:3], s[14:15], v[2:3]
	v_fma_f64 v[24:25], s[14:15], v[0:1], -v[24:25]
	v_fmac_f64_e32 v[2:3], s[16:17], v[0:1]
	v_add_f64 v[0:1], v[6:7], v[24:25]
	v_add_f64 v[2:3], v[22:23], v[2:3]
	global_store_dwordx4 v[4:5], v[0:3], off
	global_load_dwordx4 v[0:3], v[20:21], off offset:256
	v_mul_f64 v[6:7], s[40:41], v[64:65]
	v_mul_f64 v[22:23], s[38:39], v[64:65]
	v_fma_f64 v[6:7], s[38:39], v[60:61], -v[6:7]
	v_fmac_f64_e32 v[22:23], s[40:41], v[60:61]
	s_waitcnt vmcnt(0)
	v_mul_f64 v[24:25], s[16:17], v[2:3]
	v_mul_f64 v[2:3], s[14:15], v[2:3]
	v_fma_f64 v[24:25], s[14:15], v[0:1], -v[24:25]
	v_fmac_f64_e32 v[2:3], s[16:17], v[0:1]
	v_add_f64 v[0:1], v[6:7], v[24:25]
	v_add_f64 v[2:3], v[22:23], v[2:3]
	global_store_dwordx4 v[4:5], v[0:3], off offset:256
	global_load_dwordx4 v[0:3], v[20:21], off offset:512
	v_mul_f64 v[6:7], s[40:41], v[52:53]
	v_mul_f64 v[22:23], s[38:39], v[52:53]
	v_fma_f64 v[6:7], s[38:39], v[48:49], -v[6:7]
	v_fmac_f64_e32 v[22:23], s[40:41], v[48:49]
	s_waitcnt vmcnt(0)
	v_mul_f64 v[24:25], s[16:17], v[2:3]
	v_mul_f64 v[2:3], s[14:15], v[2:3]
	v_fma_f64 v[24:25], s[14:15], v[0:1], -v[24:25]
	v_fmac_f64_e32 v[2:3], s[16:17], v[0:1]
	v_add_f64 v[0:1], v[6:7], v[24:25]
	v_add_f64 v[2:3], v[22:23], v[2:3]
	global_store_dwordx4 v[4:5], v[0:3], off offset:512
	global_load_dwordx4 v[0:3], v[20:21], off offset:768
	v_mul_f64 v[6:7], s[40:41], v[44:45]
	v_mul_f64 v[22:23], s[38:39], v[44:45]
	v_fma_f64 v[6:7], s[38:39], v[40:41], -v[6:7]
	v_fmac_f64_e32 v[22:23], s[40:41], v[40:41]
	v_add_co_u32_e32 v20, vcc, s0, v20
	v_addc_co_u32_e32 v21, vcc, v21, v26, vcc
	s_waitcnt vmcnt(0)
	v_mul_f64 v[24:25], s[16:17], v[2:3]
	v_mul_f64 v[2:3], s[14:15], v[2:3]
	v_fma_f64 v[24:25], s[14:15], v[0:1], -v[24:25]
	v_fmac_f64_e32 v[2:3], s[16:17], v[0:1]
	v_add_f64 v[0:1], v[6:7], v[24:25]
	v_add_f64 v[2:3], v[22:23], v[2:3]
	global_store_dwordx4 v[4:5], v[0:3], off offset:768
	global_load_dwordx4 v[0:3], v[20:21], off
	v_mul_f64 v[6:7], s[40:41], v[68:69]
	v_mul_f64 v[22:23], s[38:39], v[68:69]
	v_fma_f64 v[6:7], s[38:39], v[66:67], -v[6:7]
	v_fmac_f64_e32 v[22:23], s[40:41], v[66:67]
	v_add_co_u32_e32 v4, vcc, s2, v4
	v_addc_co_u32_e32 v5, vcc, v5, v27, vcc
	s_waitcnt vmcnt(0)
	v_mul_f64 v[24:25], s[16:17], v[2:3]
	v_mul_f64 v[2:3], s[14:15], v[2:3]
	v_fma_f64 v[24:25], s[14:15], v[0:1], -v[24:25]
	v_fmac_f64_e32 v[2:3], s[16:17], v[0:1]
	v_add_f64 v[0:1], v[6:7], v[24:25]
	v_add_f64 v[2:3], v[22:23], v[2:3]
	global_store_dwordx4 v[4:5], v[0:3], off
	global_load_dwordx4 v[0:3], v[20:21], off offset:256
	v_mul_f64 v[6:7], s[40:41], v[62:63]
	v_mul_f64 v[22:23], s[38:39], v[62:63]
	v_fma_f64 v[6:7], s[38:39], v[58:59], -v[6:7]
	v_fmac_f64_e32 v[22:23], s[40:41], v[58:59]
	s_waitcnt vmcnt(0)
	v_mul_f64 v[24:25], s[16:17], v[2:3]
	v_mul_f64 v[2:3], s[14:15], v[2:3]
	v_fma_f64 v[24:25], s[14:15], v[0:1], -v[24:25]
	v_fmac_f64_e32 v[2:3], s[16:17], v[0:1]
	v_add_f64 v[0:1], v[6:7], v[24:25]
	v_add_f64 v[2:3], v[22:23], v[2:3]
	global_store_dwordx4 v[4:5], v[0:3], off offset:256
	global_load_dwordx4 v[0:3], v[20:21], off offset:512
	v_mul_f64 v[6:7], s[40:41], v[50:51]
	v_mul_f64 v[22:23], s[38:39], v[50:51]
	v_fma_f64 v[6:7], s[38:39], v[46:47], -v[6:7]
	v_fmac_f64_e32 v[22:23], s[40:41], v[46:47]
	s_waitcnt vmcnt(0)
	v_mul_f64 v[24:25], s[16:17], v[2:3]
	v_mul_f64 v[2:3], s[14:15], v[2:3]
	v_fma_f64 v[24:25], s[14:15], v[0:1], -v[24:25]
	v_fmac_f64_e32 v[2:3], s[16:17], v[0:1]
	v_add_f64 v[0:1], v[6:7], v[24:25]
	v_add_f64 v[2:3], v[22:23], v[2:3]
	global_store_dwordx4 v[4:5], v[0:3], off offset:512
	global_load_dwordx4 v[0:3], v[20:21], off offset:768
	v_mul_f64 v[6:7], s[40:41], v[42:43]
	v_mul_f64 v[22:23], s[38:39], v[42:43]
	v_fma_f64 v[6:7], s[38:39], v[38:39], -v[6:7]
	v_fmac_f64_e32 v[22:23], s[40:41], v[38:39]
	v_add_co_u32_e32 v20, vcc, s0, v20
	v_addc_co_u32_e32 v21, vcc, v21, v26, vcc
	s_waitcnt vmcnt(0)
	v_mul_f64 v[24:25], s[16:17], v[2:3]
	v_mul_f64 v[2:3], s[14:15], v[2:3]
	v_fma_f64 v[24:25], s[14:15], v[0:1], -v[24:25]
	v_fmac_f64_e32 v[2:3], s[16:17], v[0:1]
	v_add_f64 v[0:1], v[6:7], v[24:25]
	v_add_f64 v[2:3], v[22:23], v[2:3]
	global_store_dwordx4 v[4:5], v[0:3], off offset:768
	global_load_dwordx4 v[0:3], v[20:21], off
	v_add_co_u32_e32 v24, vcc, s2, v4
	v_mul_f64 v[6:7], s[40:41], v[76:77]
	v_mul_f64 v[22:23], s[38:39], v[76:77]
	v_addc_co_u32_e32 v25, vcc, v5, v27, vcc
	v_fma_f64 v[6:7], s[38:39], v[74:75], -v[6:7]
	v_fmac_f64_e32 v[22:23], s[40:41], v[74:75]
	s_waitcnt vmcnt(0)
	v_mul_f64 v[4:5], s[16:17], v[2:3]
	v_mul_f64 v[2:3], s[14:15], v[2:3]
	v_fma_f64 v[4:5], s[14:15], v[0:1], -v[4:5]
	v_fmac_f64_e32 v[2:3], s[16:17], v[0:1]
	v_add_f64 v[0:1], v[6:7], v[4:5]
	v_add_f64 v[2:3], v[22:23], v[2:3]
	global_store_dwordx4 v[24:25], v[0:3], off
	global_load_dwordx4 v[0:3], v[20:21], off offset:256
	v_mul_f64 v[4:5], s[40:41], v[18:19]
	v_mul_f64 v[6:7], s[38:39], v[18:19]
	v_fma_f64 v[4:5], s[38:39], v[16:17], -v[4:5]
	v_fmac_f64_e32 v[6:7], s[40:41], v[16:17]
	s_waitcnt vmcnt(0)
	v_mul_f64 v[16:17], s[16:17], v[2:3]
	v_mul_f64 v[2:3], s[14:15], v[2:3]
	v_fma_f64 v[16:17], s[14:15], v[0:1], -v[16:17]
	v_fmac_f64_e32 v[2:3], s[16:17], v[0:1]
	v_add_f64 v[0:1], v[4:5], v[16:17]
	v_add_f64 v[2:3], v[6:7], v[2:3]
	global_store_dwordx4 v[24:25], v[0:3], off offset:256
	global_load_dwordx4 v[0:3], v[20:21], off offset:512
	v_mul_f64 v[4:5], s[40:41], v[14:15]
	v_mul_f64 v[6:7], s[38:39], v[14:15]
	v_fma_f64 v[4:5], s[38:39], v[12:13], -v[4:5]
	v_fmac_f64_e32 v[6:7], s[40:41], v[12:13]
	s_waitcnt vmcnt(0)
	v_mul_f64 v[12:13], s[16:17], v[2:3]
	v_mul_f64 v[2:3], s[14:15], v[2:3]
	v_fma_f64 v[12:13], s[14:15], v[0:1], -v[12:13]
	v_fmac_f64_e32 v[2:3], s[16:17], v[0:1]
	v_add_f64 v[0:1], v[4:5], v[12:13]
	v_add_f64 v[2:3], v[6:7], v[2:3]
	global_store_dwordx4 v[24:25], v[0:3], off offset:512
	global_load_dwordx4 v[4:7], v[20:21], off offset:768
	v_mul_f64 v[0:1], s[40:41], v[8:9]
	v_mul_f64 v[8:9], s[38:39], v[8:9]
	v_fma_f64 v[0:1], s[38:39], v[10:11], -v[0:1]
	v_fmac_f64_e32 v[8:9], s[40:41], v[10:11]
	v_add_co_u32_e32 v2, vcc, 0x300, v24
	v_addc_co_u32_e32 v3, vcc, 0, v25, vcc
	s_waitcnt vmcnt(0)
	v_mul_f64 v[10:11], s[16:17], v[6:7]
	v_mul_f64 v[6:7], s[14:15], v[6:7]
	v_fma_f64 v[10:11], s[14:15], v[4:5], -v[10:11]
	v_fmac_f64_e32 v[6:7], s[16:17], v[4:5]
	v_add_f64 v[0:1], v[0:1], v[10:11]
	v_add_f64 v[4:5], v[8:9], v[6:7]
	global_store_dwordx2 v[24:25], v[0:1], off offset:768
.LBB267_8:
	global_store_dwordx2 v[2:3], v[4:5], off offset:8
	s_endpgm
	.section	.rodata,"a",@progbits
	.p2align	6, 0x0
	.amdhsa_kernel _ZN12_GLOBAL__N_127rocblas_gemm_batched_kernelI19rocblas_complex_numIdELi16ELi16ELi64ELi64ELi4ELi64ELi4ELi4ELi64ELc67ELc67EKPKS2_S5_KPS2_EEvlllT_PT11_llSA_llS8_PT12_llPT13_lli
		.amdhsa_group_segment_fixed_size 8192
		.amdhsa_private_segment_fixed_size 0
		.amdhsa_kernarg_size 156
		.amdhsa_user_sgpr_count 6
		.amdhsa_user_sgpr_private_segment_buffer 1
		.amdhsa_user_sgpr_dispatch_ptr 0
		.amdhsa_user_sgpr_queue_ptr 0
		.amdhsa_user_sgpr_kernarg_segment_ptr 1
		.amdhsa_user_sgpr_dispatch_id 0
		.amdhsa_user_sgpr_flat_scratch_init 0
		.amdhsa_user_sgpr_kernarg_preload_length 0
		.amdhsa_user_sgpr_kernarg_preload_offset 0
		.amdhsa_user_sgpr_private_segment_size 0
		.amdhsa_uses_dynamic_stack 0
		.amdhsa_system_sgpr_private_segment_wavefront_offset 0
		.amdhsa_system_sgpr_workgroup_id_x 1
		.amdhsa_system_sgpr_workgroup_id_y 1
		.amdhsa_system_sgpr_workgroup_id_z 1
		.amdhsa_system_sgpr_workgroup_info 0
		.amdhsa_system_vgpr_workitem_id 1
		.amdhsa_next_free_vgpr 138
		.amdhsa_next_free_sgpr 52
		.amdhsa_accum_offset 140
		.amdhsa_reserve_vcc 1
		.amdhsa_reserve_flat_scratch 0
		.amdhsa_float_round_mode_32 0
		.amdhsa_float_round_mode_16_64 0
		.amdhsa_float_denorm_mode_32 3
		.amdhsa_float_denorm_mode_16_64 3
		.amdhsa_dx10_clamp 1
		.amdhsa_ieee_mode 1
		.amdhsa_fp16_overflow 0
		.amdhsa_tg_split 0
		.amdhsa_exception_fp_ieee_invalid_op 0
		.amdhsa_exception_fp_denorm_src 0
		.amdhsa_exception_fp_ieee_div_zero 0
		.amdhsa_exception_fp_ieee_overflow 0
		.amdhsa_exception_fp_ieee_underflow 0
		.amdhsa_exception_fp_ieee_inexact 0
		.amdhsa_exception_int_div_zero 0
	.end_amdhsa_kernel
	.section	.text._ZN12_GLOBAL__N_127rocblas_gemm_batched_kernelI19rocblas_complex_numIdELi16ELi16ELi64ELi64ELi4ELi64ELi4ELi4ELi64ELc67ELc67EKPKS2_S5_KPS2_EEvlllT_PT11_llSA_llS8_PT12_llPT13_lli,"axG",@progbits,_ZN12_GLOBAL__N_127rocblas_gemm_batched_kernelI19rocblas_complex_numIdELi16ELi16ELi64ELi64ELi4ELi64ELi4ELi4ELi64ELc67ELc67EKPKS2_S5_KPS2_EEvlllT_PT11_llSA_llS8_PT12_llPT13_lli,comdat
.Lfunc_end267:
	.size	_ZN12_GLOBAL__N_127rocblas_gemm_batched_kernelI19rocblas_complex_numIdELi16ELi16ELi64ELi64ELi4ELi64ELi4ELi4ELi64ELc67ELc67EKPKS2_S5_KPS2_EEvlllT_PT11_llSA_llS8_PT12_llPT13_lli, .Lfunc_end267-_ZN12_GLOBAL__N_127rocblas_gemm_batched_kernelI19rocblas_complex_numIdELi16ELi16ELi64ELi64ELi4ELi64ELi4ELi4ELi64ELc67ELc67EKPKS2_S5_KPS2_EEvlllT_PT11_llSA_llS8_PT12_llPT13_lli
                                        ; -- End function
	.section	.AMDGPU.csdata,"",@progbits
; Kernel info:
; codeLenInByte = 6744
; NumSgprs: 56
; NumVgprs: 138
; NumAgprs: 0
; TotalNumVgprs: 138
; ScratchSize: 0
; MemoryBound: 0
; FloatMode: 240
; IeeeMode: 1
; LDSByteSize: 8192 bytes/workgroup (compile time only)
; SGPRBlocks: 6
; VGPRBlocks: 17
; NumSGPRsForWavesPerEU: 56
; NumVGPRsForWavesPerEU: 138
; AccumOffset: 140
; Occupancy: 3
; WaveLimiterHint : 1
; COMPUTE_PGM_RSRC2:SCRATCH_EN: 0
; COMPUTE_PGM_RSRC2:USER_SGPR: 6
; COMPUTE_PGM_RSRC2:TRAP_HANDLER: 0
; COMPUTE_PGM_RSRC2:TGID_X_EN: 1
; COMPUTE_PGM_RSRC2:TGID_Y_EN: 1
; COMPUTE_PGM_RSRC2:TGID_Z_EN: 1
; COMPUTE_PGM_RSRC2:TIDIG_COMP_CNT: 1
; COMPUTE_PGM_RSRC3_GFX90A:ACCUM_OFFSET: 34
; COMPUTE_PGM_RSRC3_GFX90A:TG_SPLIT: 0
	.section	.text._ZN12_GLOBAL__N_127rocblas_gemm_batched_kernelI19rocblas_complex_numIdELi16ELi16ELi64ELi64ELi4ELi64ELi4ELi4ELi64ELc67ELc78EKPKS2_S5_KPS2_EEvlllT_PT11_llSA_llS8_PT12_llPT13_lli,"axG",@progbits,_ZN12_GLOBAL__N_127rocblas_gemm_batched_kernelI19rocblas_complex_numIdELi16ELi16ELi64ELi64ELi4ELi64ELi4ELi4ELi64ELc67ELc78EKPKS2_S5_KPS2_EEvlllT_PT11_llSA_llS8_PT12_llPT13_lli,comdat
	.globl	_ZN12_GLOBAL__N_127rocblas_gemm_batched_kernelI19rocblas_complex_numIdELi16ELi16ELi64ELi64ELi4ELi64ELi4ELi4ELi64ELc67ELc78EKPKS2_S5_KPS2_EEvlllT_PT11_llSA_llS8_PT12_llPT13_lli ; -- Begin function _ZN12_GLOBAL__N_127rocblas_gemm_batched_kernelI19rocblas_complex_numIdELi16ELi16ELi64ELi64ELi4ELi64ELi4ELi4ELi64ELc67ELc78EKPKS2_S5_KPS2_EEvlllT_PT11_llSA_llS8_PT12_llPT13_lli
	.p2align	8
	.type	_ZN12_GLOBAL__N_127rocblas_gemm_batched_kernelI19rocblas_complex_numIdELi16ELi16ELi64ELi64ELi4ELi64ELi4ELi4ELi64ELc67ELc78EKPKS2_S5_KPS2_EEvlllT_PT11_llSA_llS8_PT12_llPT13_lli,@function
_ZN12_GLOBAL__N_127rocblas_gemm_batched_kernelI19rocblas_complex_numIdELi16ELi16ELi64ELi64ELi4ELi64ELi4ELi4ELi64ELc67ELc78EKPKS2_S5_KPS2_EEvlllT_PT11_llSA_llS8_PT12_llPT13_lli: ; @_ZN12_GLOBAL__N_127rocblas_gemm_batched_kernelI19rocblas_complex_numIdELi16ELi16ELi64ELi64ELi4ELi64ELi4ELi4ELi64ELc67ELc78EKPKS2_S5_KPS2_EEvlllT_PT11_llSA_llS8_PT12_llPT13_lli
; %bb.0:
	s_load_dwordx16 s[36:51], s[4:5], 0x10
	s_load_dwordx16 s[12:27], s[4:5], 0x50
	s_mov_b32 s9, 0
	s_lshl_b64 s[28:29], s[8:9], 3
	s_mov_b32 s10, s7
	v_bfe_u32 v107, v0, 10, 10
	s_waitcnt lgkmcnt(0)
	s_add_u32 s0, s18, s28
	s_addc_u32 s1, s19, s29
	s_add_u32 s2, s24, s28
	s_addc_u32 s3, s25, s29
	s_load_dwordx2 s[0:1], s[0:1], 0x0
	s_ashr_i32 s7, s6, 31
	s_load_dwordx2 s[8:9], s[2:3], 0x0
	s_ashr_i32 s11, s10, 31
	v_cmp_lt_i64_e64 s[18:19], s[36:37], 1
	v_and_b32_e32 v106, 0x3ff, v0
	s_lshl_b64 s[2:3], s[6:7], 6
	s_lshl_b64 s[6:7], s[10:11], 6
	s_mov_b64 s[10:11], 0
	s_and_b64 vcc, exec, s[18:19]
	s_cbranch_vccnz .LBB268_3
; %bb.1:
	v_lshl_add_u32 v0, v107, 4, v106
	v_and_b32_e32 v4, 3, v106
	v_and_b32_e32 v5, 63, v0
	v_lshrrev_b32_e32 v1, 2, v0
	v_lshrrev_b32_e32 v6, 6, v0
	v_lshlrev_b32_e32 v0, 4, v5
	v_lshlrev_b32_e32 v4, 4, v4
	v_mov_b32_e32 v2, s7
	v_add_co_u32_e32 v3, vcc, s6, v1
	v_lshl_or_b32 v108, v6, 10, v0
	v_lshl_or_b32 v0, v1, 6, v4
	s_add_u32 s18, s42, s28
	v_addc_co_u32_e32 v2, vcc, 0, v2, vcc
	v_add_u32_e32 v109, 0x1000, v0
	v_mov_b32_e32 v0, 0x1000
	s_addc_u32 s19, s43, s29
	v_lshl_add_u32 v111, v107, 6, v0
	v_mov_b32_e32 v0, s3
	v_add_co_u32_e32 v1, vcc, s2, v5
	s_add_u32 s24, s48, s28
	v_addc_co_u32_e32 v0, vcc, 0, v0, vcc
	s_addc_u32 s25, s49, s29
	v_mul_lo_u32 v5, s45, v1
	v_mul_lo_u32 v7, s44, v0
	v_mad_u64_u32 v[0:1], s[28:29], s44, v1, 0
	v_add3_u32 v1, v1, v7, v5
	s_load_dwordx2 s[18:19], s[18:19], 0x0
	v_lshlrev_b64 v[0:1], 4, v[0:1]
	s_lshl_b64 s[28:29], s[46:47], 4
	v_mov_b32_e32 v5, s29
	v_add_co_u32_e32 v0, vcc, s28, v0
	v_addc_co_u32_e32 v1, vcc, v1, v5, vcc
	v_lshlrev_b32_e32 v5, 4, v6
	v_add_co_u32_e32 v0, vcc, v0, v5
	v_addc_co_u32_e32 v1, vcc, 0, v1, vcc
	s_waitcnt lgkmcnt(0)
	v_mov_b32_e32 v5, s19
	v_add_co_u32_e32 v0, vcc, s18, v0
	v_addc_co_u32_e32 v1, vcc, v1, v5, vcc
	v_add_co_u32_e32 v24, vcc, 8, v0
	v_addc_co_u32_e32 v25, vcc, 0, v1, vcc
	v_mul_lo_u32 v5, s51, v3
	v_mul_lo_u32 v2, s50, v2
	v_mad_u64_u32 v[0:1], s[18:19], s50, v3, 0
	v_add3_u32 v1, v1, v2, v5
	s_load_dwordx2 s[24:25], s[24:25], 0x0
	v_lshlrev_b64 v[0:1], 4, v[0:1]
	s_lshl_b64 s[12:13], s[12:13], 4
	v_mov_b32_e32 v2, s13
	v_add_co_u32_e32 v0, vcc, s12, v0
	v_addc_co_u32_e32 v1, vcc, v1, v2, vcc
	v_add_co_u32_e32 v0, vcc, v0, v4
	v_addc_co_u32_e32 v1, vcc, 0, v1, vcc
	s_waitcnt lgkmcnt(0)
	v_mov_b32_e32 v2, s25
	v_add_co_u32_e32 v26, vcc, s24, v0
	v_lshlrev_b32_e32 v110, 4, v106
	v_addc_co_u32_e32 v27, vcc, v2, v1, vcc
	v_pk_mov_b32 v[8:9], 0, 0
	v_pk_mov_b32 v[28:29], s[36:37], s[36:37] op_sel:[0,1]
	v_pk_mov_b32 v[10:11], 0, 0
	v_pk_mov_b32 v[14:15], 0, 0
	;; [unrolled: 1-line block ×31, first 2 shown]
.LBB268_2:                              ; =>This Inner Loop Header: Depth=1
	global_load_dwordx4 v[0:3], v[24:25], off offset:-8
	v_add_co_u32_e32 v24, vcc, 64, v24
	v_addc_co_u32_e32 v25, vcc, 0, v25, vcc
	s_add_u32 s10, s10, 4
	s_addc_u32 s11, s11, 0
	s_waitcnt vmcnt(0)
	v_xor_b32_e32 v3, 0x80000000, v3
	ds_write_b128 v108, v[0:3]
	global_load_dwordx4 v[0:3], v[26:27], off
	v_add_co_u32_e32 v26, vcc, 64, v26
	v_addc_co_u32_e32 v27, vcc, 0, v27, vcc
	v_cmp_lt_i64_e32 vcc, s[10:11], v[28:29]
	s_and_b64 vcc, exec, vcc
	s_waitcnt vmcnt(0)
	ds_write2_b64 v109, v[0:1], v[2:3] offset1:1
	s_waitcnt lgkmcnt(0)
	s_barrier
	ds_read_b128 v[78:81], v111
	ds_read_b128 v[112:115], v111 offset:16
	ds_read_b128 v[4:7], v111 offset:32
	;; [unrolled: 1-line block ×3, first 2 shown]
	ds_read_b128 v[116:119], v110
	s_waitcnt lgkmcnt(0)
	v_mul_f64 v[82:83], v[80:81], v[118:119]
	v_mul_f64 v[84:85], v[78:79], v[118:119]
	v_fma_f64 v[82:83], v[78:79], v[116:117], -v[82:83]
	v_fmac_f64_e32 v[84:85], v[80:81], v[116:117]
	v_add_f64 v[120:121], v[54:55], v[82:83]
	v_add_f64 v[122:123], v[56:57], v[84:85]
	ds_read_b128 v[54:57], v110 offset:256
	s_waitcnt lgkmcnt(0)
	v_mul_f64 v[82:83], v[80:81], v[56:57]
	v_mul_f64 v[84:85], v[78:79], v[56:57]
	v_fma_f64 v[82:83], v[78:79], v[54:55], -v[82:83]
	v_fmac_f64_e32 v[84:85], v[80:81], v[54:55]
	v_add_f64 v[124:125], v[34:35], v[82:83]
	v_add_f64 v[126:127], v[36:37], v[84:85]
	ds_read_b128 v[34:37], v110 offset:512
	;; [unrolled: 8-line block ×3, first 2 shown]
	s_waitcnt lgkmcnt(0)
	v_mul_f64 v[82:83], v[80:81], v[32:33]
	v_fma_f64 v[82:83], v[78:79], v[30:31], -v[82:83]
	v_mul_f64 v[78:79], v[78:79], v[32:33]
	v_fmac_f64_e32 v[78:79], v[80:81], v[30:31]
	v_add_f64 v[132:133], v[20:21], v[82:83]
	v_add_f64 v[134:135], v[22:23], v[78:79]
	ds_read_b128 v[20:23], v111 offset:1024
	s_waitcnt lgkmcnt(0)
	v_mul_f64 v[78:79], v[22:23], v[118:119]
	v_fma_f64 v[78:79], v[20:21], v[116:117], -v[78:79]
	v_add_f64 v[70:71], v[70:71], v[78:79]
	v_mul_f64 v[78:79], v[22:23], v[56:57]
	v_mul_f64 v[80:81], v[20:21], v[118:119]
	v_fma_f64 v[78:79], v[20:21], v[54:55], -v[78:79]
	v_fmac_f64_e32 v[80:81], v[22:23], v[116:117]
	v_add_f64 v[94:95], v[60:61], v[78:79]
	v_mul_f64 v[60:61], v[22:23], v[36:37]
	v_add_f64 v[72:73], v[72:73], v[80:81]
	v_mul_f64 v[80:81], v[20:21], v[56:57]
	v_fma_f64 v[60:61], v[20:21], v[34:35], -v[60:61]
	v_fmac_f64_e32 v[80:81], v[22:23], v[54:55]
	v_add_f64 v[98:99], v[48:49], v[60:61]
	v_mul_f64 v[48:49], v[22:23], v[32:33]
	v_add_f64 v[96:97], v[64:65], v[80:81]
	v_mul_f64 v[64:65], v[20:21], v[36:37]
	v_fma_f64 v[48:49], v[20:21], v[30:31], -v[48:49]
	v_mul_f64 v[20:21], v[20:21], v[32:33]
	v_fmac_f64_e32 v[20:21], v[22:23], v[30:31]
	v_fmac_f64_e32 v[64:65], v[22:23], v[34:35]
	v_add_f64 v[104:105], v[44:45], v[20:21]
	ds_read_b128 v[20:23], v111 offset:2048
	v_add_f64 v[102:103], v[40:41], v[48:49]
	v_add_f64 v[100:101], v[52:53], v[64:65]
	s_waitcnt lgkmcnt(0)
	v_mul_f64 v[40:41], v[22:23], v[118:119]
	v_fma_f64 v[40:41], v[20:21], v[116:117], -v[40:41]
	v_add_f64 v[78:79], v[66:67], v[40:41]
	v_mul_f64 v[40:41], v[22:23], v[56:57]
	v_mul_f64 v[44:45], v[20:21], v[118:119]
	v_fma_f64 v[40:41], v[20:21], v[54:55], -v[40:41]
	v_fmac_f64_e32 v[44:45], v[22:23], v[116:117]
	v_add_f64 v[82:83], v[58:59], v[40:41]
	v_mul_f64 v[40:41], v[22:23], v[36:37]
	v_add_f64 v[80:81], v[68:69], v[44:45]
	v_mul_f64 v[44:45], v[20:21], v[56:57]
	v_fma_f64 v[40:41], v[20:21], v[34:35], -v[40:41]
	v_fmac_f64_e32 v[44:45], v[22:23], v[54:55]
	v_add_f64 v[86:87], v[46:47], v[40:41]
	v_mul_f64 v[40:41], v[22:23], v[32:33]
	v_add_f64 v[84:85], v[62:63], v[44:45]
	v_mul_f64 v[44:45], v[20:21], v[36:37]
	v_fma_f64 v[40:41], v[20:21], v[30:31], -v[40:41]
	v_mul_f64 v[20:21], v[20:21], v[32:33]
	v_fmac_f64_e32 v[20:21], v[22:23], v[30:31]
	v_fmac_f64_e32 v[44:45], v[22:23], v[34:35]
	v_add_f64 v[92:93], v[42:43], v[20:21]
	ds_read_b128 v[20:23], v111 offset:3072
	v_add_f64 v[90:91], v[38:39], v[40:41]
	v_add_f64 v[88:89], v[50:51], v[44:45]
	s_waitcnt lgkmcnt(0)
	v_mul_f64 v[38:39], v[22:23], v[118:119]
	v_mul_f64 v[40:41], v[20:21], v[118:119]
	v_fma_f64 v[38:39], v[20:21], v[116:117], -v[38:39]
	v_fmac_f64_e32 v[40:41], v[22:23], v[116:117]
	v_add_f64 v[58:59], v[74:75], v[38:39]
	v_add_f64 v[60:61], v[76:77], v[40:41]
	v_mul_f64 v[38:39], v[22:23], v[56:57]
	v_mul_f64 v[40:41], v[20:21], v[56:57]
	v_fma_f64 v[38:39], v[20:21], v[54:55], -v[38:39]
	v_fmac_f64_e32 v[40:41], v[22:23], v[54:55]
	v_add_f64 v[54:55], v[16:17], v[38:39]
	v_add_f64 v[56:57], v[18:19], v[40:41]
	v_mul_f64 v[16:17], v[22:23], v[36:37]
	v_mul_f64 v[18:19], v[20:21], v[36:37]
	v_fma_f64 v[16:17], v[20:21], v[34:35], -v[16:17]
	v_fmac_f64_e32 v[18:19], v[22:23], v[34:35]
	v_add_f64 v[50:51], v[12:13], v[16:17]
	v_add_f64 v[52:53], v[14:15], v[18:19]
	v_mul_f64 v[12:13], v[22:23], v[32:33]
	v_mul_f64 v[14:15], v[20:21], v[32:33]
	v_fma_f64 v[12:13], v[20:21], v[30:31], -v[12:13]
	v_fmac_f64_e32 v[14:15], v[22:23], v[30:31]
	ds_read_b128 v[20:23], v110 offset:1024
	ds_read_b128 v[16:19], v110 offset:1280
	v_add_f64 v[46:47], v[10:11], v[12:13]
	v_add_f64 v[48:49], v[8:9], v[14:15]
	ds_read_b128 v[12:15], v110 offset:1536
	ds_read_b128 v[74:77], v111 offset:1040
	s_waitcnt lgkmcnt(3)
	v_mul_f64 v[8:9], v[114:115], v[22:23]
	v_mul_f64 v[10:11], v[112:113], v[22:23]
	v_fma_f64 v[8:9], v[112:113], v[20:21], -v[8:9]
	v_fmac_f64_e32 v[10:11], v[114:115], v[20:21]
	v_add_f64 v[42:43], v[120:121], v[8:9]
	v_add_f64 v[44:45], v[122:123], v[10:11]
	s_waitcnt lgkmcnt(2)
	v_mul_f64 v[8:9], v[114:115], v[18:19]
	v_mul_f64 v[10:11], v[112:113], v[18:19]
	v_fma_f64 v[8:9], v[112:113], v[16:17], -v[8:9]
	v_fmac_f64_e32 v[10:11], v[114:115], v[16:17]
	v_add_f64 v[38:39], v[124:125], v[8:9]
	v_add_f64 v[40:41], v[126:127], v[10:11]
	;; [unrolled: 7-line block ×3, first 2 shown]
	ds_read_b128 v[8:11], v110 offset:1792
	s_waitcnt lgkmcnt(1)
	v_mul_f64 v[66:67], v[76:77], v[18:19]
	v_mul_f64 v[68:69], v[74:75], v[18:19]
	;; [unrolled: 1-line block ×4, first 2 shown]
	v_fma_f64 v[66:67], v[74:75], v[16:17], -v[66:67]
	v_fmac_f64_e32 v[68:69], v[76:77], v[16:17]
	v_fma_f64 v[62:63], v[74:75], v[20:21], -v[62:63]
	v_fmac_f64_e32 v[64:65], v[76:77], v[20:21]
	v_add_f64 v[66:67], v[94:95], v[66:67]
	v_add_f64 v[68:69], v[96:97], v[68:69]
	s_waitcnt lgkmcnt(0)
	v_mul_f64 v[94:95], v[76:77], v[10:11]
	v_mul_f64 v[96:97], v[74:75], v[10:11]
	v_add_f64 v[62:63], v[70:71], v[62:63]
	v_add_f64 v[64:65], v[72:73], v[64:65]
	v_mul_f64 v[70:71], v[76:77], v[14:15]
	v_mul_f64 v[72:73], v[74:75], v[14:15]
	v_fma_f64 v[94:95], v[74:75], v[8:9], -v[94:95]
	v_fmac_f64_e32 v[96:97], v[76:77], v[8:9]
	v_fma_f64 v[70:71], v[74:75], v[12:13], -v[70:71]
	v_fmac_f64_e32 v[72:73], v[76:77], v[12:13]
	v_add_f64 v[74:75], v[102:103], v[94:95]
	v_add_f64 v[76:77], v[104:105], v[96:97]
	ds_read_b128 v[94:97], v111 offset:2064
	v_add_f64 v[70:71], v[98:99], v[70:71]
	v_add_f64 v[72:73], v[100:101], v[72:73]
	v_mul_f64 v[30:31], v[114:115], v[10:11]
	v_mul_f64 v[32:33], v[112:113], v[10:11]
	s_waitcnt lgkmcnt(0)
	v_mul_f64 v[98:99], v[96:97], v[22:23]
	v_mul_f64 v[100:101], v[94:95], v[22:23]
	v_fma_f64 v[98:99], v[94:95], v[20:21], -v[98:99]
	v_fmac_f64_e32 v[100:101], v[96:97], v[20:21]
	v_add_f64 v[78:79], v[78:79], v[98:99]
	v_add_f64 v[80:81], v[80:81], v[100:101]
	v_mul_f64 v[98:99], v[96:97], v[18:19]
	v_mul_f64 v[100:101], v[94:95], v[18:19]
	v_fma_f64 v[98:99], v[94:95], v[16:17], -v[98:99]
	v_fmac_f64_e32 v[100:101], v[96:97], v[16:17]
	v_add_f64 v[82:83], v[82:83], v[98:99]
	v_add_f64 v[84:85], v[84:85], v[100:101]
	;; [unrolled: 6-line block ×4, first 2 shown]
	ds_read_b128 v[90:93], v111 offset:3088
	v_fma_f64 v[30:31], v[112:113], v[8:9], -v[30:31]
	v_fmac_f64_e32 v[32:33], v[114:115], v[8:9]
	v_add_f64 v[32:33], v[134:135], v[32:33]
	v_add_f64 v[30:31], v[132:133], v[30:31]
	s_waitcnt lgkmcnt(0)
	v_mul_f64 v[98:99], v[92:93], v[22:23]
	v_mul_f64 v[22:23], v[90:91], v[22:23]
	v_fma_f64 v[98:99], v[90:91], v[20:21], -v[98:99]
	v_fmac_f64_e32 v[22:23], v[92:93], v[20:21]
	v_mul_f64 v[20:21], v[92:93], v[18:19]
	v_mul_f64 v[18:19], v[90:91], v[18:19]
	v_fma_f64 v[20:21], v[90:91], v[16:17], -v[20:21]
	v_fmac_f64_e32 v[18:19], v[92:93], v[16:17]
	;; [unrolled: 4-line block ×3, first 2 shown]
	v_mul_f64 v[12:13], v[92:93], v[10:11]
	v_mul_f64 v[10:11], v[90:91], v[10:11]
	v_fmac_f64_e32 v[10:11], v[92:93], v[8:9]
	v_fma_f64 v[12:13], v[90:91], v[8:9], -v[12:13]
	v_add_f64 v[112:113], v[48:49], v[10:11]
	ds_read_b128 v[8:11], v110 offset:2048
	v_add_f64 v[102:103], v[52:53], v[14:15]
	v_add_f64 v[104:105], v[46:47], v[12:13]
	;; [unrolled: 1-line block ×4, first 2 shown]
	s_waitcnt lgkmcnt(0)
	v_mul_f64 v[12:13], v[6:7], v[10:11]
	v_mul_f64 v[14:15], v[4:5], v[10:11]
	v_fma_f64 v[12:13], v[4:5], v[8:9], -v[12:13]
	v_fmac_f64_e32 v[14:15], v[6:7], v[8:9]
	v_add_f64 v[114:115], v[42:43], v[12:13]
	v_add_f64 v[116:117], v[44:45], v[14:15]
	ds_read_b128 v[12:15], v110 offset:2304
	v_add_f64 v[60:61], v[60:61], v[22:23]
	v_add_f64 v[54:55], v[54:55], v[20:21]
	;; [unrolled: 1-line block ×3, first 2 shown]
	s_waitcnt lgkmcnt(0)
	v_mul_f64 v[16:17], v[6:7], v[14:15]
	v_mul_f64 v[18:19], v[4:5], v[14:15]
	v_fma_f64 v[16:17], v[4:5], v[12:13], -v[16:17]
	v_fmac_f64_e32 v[18:19], v[6:7], v[12:13]
	v_add_f64 v[118:119], v[38:39], v[16:17]
	v_add_f64 v[120:121], v[40:41], v[18:19]
	ds_read_b128 v[16:19], v110 offset:2560
	s_waitcnt lgkmcnt(0)
	v_mul_f64 v[20:21], v[6:7], v[18:19]
	v_mul_f64 v[22:23], v[4:5], v[18:19]
	v_fma_f64 v[20:21], v[4:5], v[16:17], -v[20:21]
	v_fmac_f64_e32 v[22:23], v[6:7], v[16:17]
	v_add_f64 v[122:123], v[34:35], v[20:21]
	v_add_f64 v[124:125], v[36:37], v[22:23]
	ds_read_b128 v[20:23], v110 offset:2816
	s_waitcnt lgkmcnt(0)
	v_mul_f64 v[34:35], v[6:7], v[22:23]
	v_fma_f64 v[34:35], v[4:5], v[20:21], -v[34:35]
	v_mul_f64 v[4:5], v[4:5], v[22:23]
	v_fmac_f64_e32 v[4:5], v[6:7], v[20:21]
	v_add_f64 v[128:129], v[32:33], v[4:5]
	ds_read_b128 v[4:7], v111 offset:1056
	v_add_f64 v[126:127], v[30:31], v[34:35]
	s_waitcnt lgkmcnt(0)
	v_mul_f64 v[30:31], v[6:7], v[10:11]
	v_fma_f64 v[30:31], v[4:5], v[8:9], -v[30:31]
	v_add_f64 v[40:41], v[62:63], v[30:31]
	v_mul_f64 v[30:31], v[6:7], v[14:15]
	v_mul_f64 v[32:33], v[4:5], v[10:11]
	v_fma_f64 v[30:31], v[4:5], v[12:13], -v[30:31]
	v_fmac_f64_e32 v[32:33], v[6:7], v[8:9]
	v_add_f64 v[48:49], v[66:67], v[30:31]
	v_mul_f64 v[30:31], v[6:7], v[18:19]
	v_add_f64 v[44:45], v[64:65], v[32:33]
	v_mul_f64 v[32:33], v[4:5], v[14:15]
	v_fma_f64 v[30:31], v[4:5], v[16:17], -v[30:31]
	v_fmac_f64_e32 v[32:33], v[6:7], v[12:13]
	v_add_f64 v[58:59], v[70:71], v[30:31]
	v_mul_f64 v[30:31], v[6:7], v[22:23]
	v_add_f64 v[52:53], v[68:69], v[32:33]
	v_mul_f64 v[32:33], v[4:5], v[18:19]
	v_fma_f64 v[30:31], v[4:5], v[20:21], -v[30:31]
	v_mul_f64 v[4:5], v[4:5], v[22:23]
	v_fmac_f64_e32 v[4:5], v[6:7], v[20:21]
	v_fmac_f64_e32 v[32:33], v[6:7], v[16:17]
	v_add_f64 v[68:69], v[76:77], v[4:5]
	ds_read_b128 v[4:7], v111 offset:2080
	v_add_f64 v[66:67], v[74:75], v[30:31]
	v_add_f64 v[62:63], v[72:73], v[32:33]
	s_waitcnt lgkmcnt(0)
	v_mul_f64 v[30:31], v[6:7], v[10:11]
	v_fma_f64 v[30:31], v[4:5], v[8:9], -v[30:31]
	v_add_f64 v[38:39], v[78:79], v[30:31]
	v_mul_f64 v[30:31], v[6:7], v[14:15]
	v_mul_f64 v[32:33], v[4:5], v[10:11]
	v_fma_f64 v[30:31], v[4:5], v[12:13], -v[30:31]
	v_fmac_f64_e32 v[32:33], v[6:7], v[8:9]
	v_add_f64 v[46:47], v[82:83], v[30:31]
	v_mul_f64 v[30:31], v[6:7], v[18:19]
	v_add_f64 v[42:43], v[80:81], v[32:33]
	v_mul_f64 v[32:33], v[4:5], v[14:15]
	v_fma_f64 v[30:31], v[4:5], v[16:17], -v[30:31]
	v_fmac_f64_e32 v[32:33], v[6:7], v[12:13]
	v_add_f64 v[90:91], v[86:87], v[30:31]
	v_mul_f64 v[30:31], v[6:7], v[22:23]
	v_add_f64 v[50:51], v[84:85], v[32:33]
	v_mul_f64 v[32:33], v[4:5], v[18:19]
	v_fma_f64 v[30:31], v[4:5], v[20:21], -v[30:31]
	v_mul_f64 v[4:5], v[4:5], v[22:23]
	v_fmac_f64_e32 v[4:5], v[6:7], v[20:21]
	v_fmac_f64_e32 v[32:33], v[6:7], v[16:17]
	v_add_f64 v[96:97], v[96:97], v[4:5]
	ds_read_b128 v[4:7], v111 offset:3104
	v_add_f64 v[94:95], v[94:95], v[30:31]
	v_add_f64 v[92:93], v[88:89], v[32:33]
	s_waitcnt lgkmcnt(0)
	v_mul_f64 v[30:31], v[6:7], v[10:11]
	v_mul_f64 v[10:11], v[4:5], v[10:11]
	v_fmac_f64_e32 v[10:11], v[6:7], v[8:9]
	v_fma_f64 v[30:31], v[4:5], v[8:9], -v[30:31]
	v_add_f64 v[76:77], v[60:61], v[10:11]
	v_mul_f64 v[8:9], v[6:7], v[14:15]
	v_mul_f64 v[10:11], v[4:5], v[14:15]
	v_fma_f64 v[8:9], v[4:5], v[12:13], -v[8:9]
	v_fmac_f64_e32 v[10:11], v[6:7], v[12:13]
	v_add_f64 v[86:87], v[54:55], v[8:9]
	v_add_f64 v[88:89], v[56:57], v[10:11]
	v_mul_f64 v[8:9], v[6:7], v[18:19]
	v_mul_f64 v[10:11], v[4:5], v[18:19]
	v_fma_f64 v[8:9], v[4:5], v[16:17], -v[8:9]
	v_fmac_f64_e32 v[10:11], v[6:7], v[16:17]
	ds_read_b128 v[16:19], v110 offset:3072
	ds_read_b128 v[12:15], v110 offset:3328
	v_add_f64 v[82:83], v[100:101], v[8:9]
	v_mul_f64 v[8:9], v[6:7], v[22:23]
	v_fma_f64 v[8:9], v[4:5], v[20:21], -v[8:9]
	v_mul_f64 v[4:5], v[4:5], v[22:23]
	v_add_f64 v[84:85], v[102:103], v[10:11]
	v_fmac_f64_e32 v[4:5], v[6:7], v[20:21]
	v_add_f64 v[78:79], v[104:105], v[8:9]
	ds_read_b128 v[8:11], v110 offset:3584
	v_add_f64 v[80:81], v[112:113], v[4:5]
	s_waitcnt lgkmcnt(2)
	v_mul_f64 v[4:5], v[2:3], v[18:19]
	v_mul_f64 v[6:7], v[0:1], v[18:19]
	v_fma_f64 v[4:5], v[0:1], v[16:17], -v[4:5]
	v_fmac_f64_e32 v[6:7], v[2:3], v[16:17]
	v_add_f64 v[54:55], v[114:115], v[4:5]
	v_add_f64 v[56:57], v[116:117], v[6:7]
	s_waitcnt lgkmcnt(1)
	v_mul_f64 v[4:5], v[2:3], v[14:15]
	v_mul_f64 v[6:7], v[0:1], v[14:15]
	v_fma_f64 v[4:5], v[0:1], v[12:13], -v[4:5]
	v_fmac_f64_e32 v[6:7], v[2:3], v[12:13]
	v_add_f64 v[34:35], v[118:119], v[4:5]
	;; [unrolled: 7-line block ×3, first 2 shown]
	v_add_f64 v[30:31], v[122:123], v[4:5]
	v_add_f64 v[32:33], v[124:125], v[6:7]
	ds_read_b128 v[4:7], v110 offset:3840
	s_waitcnt lgkmcnt(0)
	v_mul_f64 v[20:21], v[2:3], v[6:7]
	v_fma_f64 v[20:21], v[0:1], v[4:5], -v[20:21]
	v_mul_f64 v[0:1], v[0:1], v[6:7]
	v_fmac_f64_e32 v[0:1], v[2:3], v[4:5]
	v_add_f64 v[22:23], v[128:129], v[0:1]
	ds_read_b128 v[0:3], v111 offset:1072
	v_add_f64 v[20:21], v[126:127], v[20:21]
	s_waitcnt lgkmcnt(0)
	v_mul_f64 v[60:61], v[2:3], v[18:19]
	v_fma_f64 v[60:61], v[0:1], v[16:17], -v[60:61]
	v_add_f64 v[70:71], v[40:41], v[60:61]
	v_mul_f64 v[40:41], v[2:3], v[14:15]
	v_mul_f64 v[64:65], v[0:1], v[18:19]
	v_fma_f64 v[40:41], v[0:1], v[12:13], -v[40:41]
	v_fmac_f64_e32 v[64:65], v[2:3], v[16:17]
	v_add_f64 v[60:61], v[48:49], v[40:41]
	v_mul_f64 v[40:41], v[2:3], v[10:11]
	v_add_f64 v[72:73], v[44:45], v[64:65]
	v_mul_f64 v[44:45], v[0:1], v[14:15]
	v_fma_f64 v[40:41], v[0:1], v[8:9], -v[40:41]
	v_fmac_f64_e32 v[44:45], v[2:3], v[12:13]
	v_add_f64 v[48:49], v[58:59], v[40:41]
	v_mul_f64 v[40:41], v[2:3], v[6:7]
	v_add_f64 v[64:65], v[52:53], v[44:45]
	v_mul_f64 v[44:45], v[0:1], v[10:11]
	v_fma_f64 v[40:41], v[0:1], v[4:5], -v[40:41]
	v_mul_f64 v[0:1], v[0:1], v[6:7]
	v_fmac_f64_e32 v[44:45], v[2:3], v[8:9]
	v_fmac_f64_e32 v[0:1], v[2:3], v[4:5]
	v_add_f64 v[52:53], v[62:63], v[44:45]
	v_add_f64 v[44:45], v[68:69], v[0:1]
	ds_read_b128 v[0:3], v111 offset:2096
	v_add_f64 v[40:41], v[66:67], v[40:41]
	s_waitcnt lgkmcnt(0)
	v_mul_f64 v[58:59], v[2:3], v[18:19]
	v_fma_f64 v[58:59], v[0:1], v[16:17], -v[58:59]
	v_add_f64 v[66:67], v[38:39], v[58:59]
	v_mul_f64 v[38:39], v[2:3], v[14:15]
	v_mul_f64 v[62:63], v[0:1], v[18:19]
	v_fma_f64 v[38:39], v[0:1], v[12:13], -v[38:39]
	v_fmac_f64_e32 v[62:63], v[2:3], v[16:17]
	v_add_f64 v[58:59], v[46:47], v[38:39]
	v_mul_f64 v[38:39], v[2:3], v[10:11]
	v_add_f64 v[68:69], v[42:43], v[62:63]
	v_mul_f64 v[42:43], v[0:1], v[14:15]
	v_fma_f64 v[38:39], v[0:1], v[8:9], -v[38:39]
	v_fmac_f64_e32 v[42:43], v[2:3], v[12:13]
	v_add_f64 v[46:47], v[90:91], v[38:39]
	v_mul_f64 v[38:39], v[2:3], v[6:7]
	v_add_f64 v[62:63], v[50:51], v[42:43]
	v_mul_f64 v[42:43], v[0:1], v[10:11]
	v_fma_f64 v[38:39], v[0:1], v[4:5], -v[38:39]
	v_mul_f64 v[0:1], v[0:1], v[6:7]
	v_fmac_f64_e32 v[42:43], v[2:3], v[8:9]
	v_fmac_f64_e32 v[0:1], v[2:3], v[4:5]
	v_add_f64 v[50:51], v[92:93], v[42:43]
	v_add_f64 v[42:43], v[96:97], v[0:1]
	ds_read_b128 v[0:3], v111 offset:3120
	v_add_f64 v[38:39], v[94:95], v[38:39]
	s_waitcnt lgkmcnt(0)
	s_barrier
	v_mul_f64 v[90:91], v[2:3], v[18:19]
	v_mul_f64 v[18:19], v[0:1], v[18:19]
	v_fma_f64 v[90:91], v[0:1], v[16:17], -v[90:91]
	v_fmac_f64_e32 v[18:19], v[2:3], v[16:17]
	v_mul_f64 v[16:17], v[2:3], v[14:15]
	v_mul_f64 v[14:15], v[0:1], v[14:15]
	v_fma_f64 v[16:17], v[0:1], v[12:13], -v[16:17]
	v_fmac_f64_e32 v[14:15], v[2:3], v[12:13]
	;; [unrolled: 4-line block ×3, first 2 shown]
	v_mul_f64 v[8:9], v[2:3], v[6:7]
	v_fma_f64 v[8:9], v[0:1], v[4:5], -v[8:9]
	v_mul_f64 v[0:1], v[0:1], v[6:7]
	v_fmac_f64_e32 v[0:1], v[2:3], v[4:5]
	v_add_f64 v[74:75], v[74:75], v[90:91]
	v_add_f64 v[76:77], v[76:77], v[18:19]
	;; [unrolled: 1-line block ×8, first 2 shown]
	s_cbranch_vccnz .LBB268_2
	s_branch .LBB268_4
.LBB268_3:
	v_pk_mov_b32 v[54:55], 0, 0
	v_pk_mov_b32 v[56:57], 0, 0
	v_pk_mov_b32 v[34:35], 0, 0
	v_pk_mov_b32 v[36:37], 0, 0
	v_pk_mov_b32 v[30:31], 0, 0
	v_pk_mov_b32 v[32:33], 0, 0
	v_pk_mov_b32 v[20:21], 0, 0
	v_pk_mov_b32 v[22:23], 0, 0
	v_pk_mov_b32 v[70:71], 0, 0
	v_pk_mov_b32 v[72:73], 0, 0
	v_pk_mov_b32 v[60:61], 0, 0
	v_pk_mov_b32 v[64:65], 0, 0
	v_pk_mov_b32 v[48:49], 0, 0
	v_pk_mov_b32 v[52:53], 0, 0
	v_pk_mov_b32 v[40:41], 0, 0
	v_pk_mov_b32 v[44:45], 0, 0
	v_pk_mov_b32 v[66:67], 0, 0
	v_pk_mov_b32 v[68:69], 0, 0
	v_pk_mov_b32 v[58:59], 0, 0
	v_pk_mov_b32 v[62:63], 0, 0
	v_pk_mov_b32 v[46:47], 0, 0
	v_pk_mov_b32 v[50:51], 0, 0
	v_pk_mov_b32 v[38:39], 0, 0
	v_pk_mov_b32 v[42:43], 0, 0
	v_pk_mov_b32 v[74:75], 0, 0
	v_pk_mov_b32 v[76:77], 0, 0
	v_pk_mov_b32 v[16:17], 0, 0
	v_pk_mov_b32 v[18:19], 0, 0
	v_pk_mov_b32 v[12:13], 0, 0
	v_pk_mov_b32 v[14:15], 0, 0
	v_pk_mov_b32 v[10:11], 0, 0
	v_pk_mov_b32 v[8:9], 0, 0
.LBB268_4:
	s_load_dwordx2 s[4:5], s[4:5], 0x90
	v_mov_b32_e32 v0, s7
	v_add_co_u32_e32 v6, vcc, s6, v107
	v_addc_co_u32_e32 v7, vcc, 0, v0, vcc
	s_waitcnt lgkmcnt(0)
	s_lshl_b64 s[4:5], s[4:5], 4
	s_add_u32 s7, s8, s4
	v_cmp_neq_f64_e64 s[10:11], s[14:15], 0
	v_cmp_neq_f64_e64 s[12:13], s[16:17], 0
	v_mov_b32_e32 v1, s3
	v_add_co_u32_e32 v0, vcc, s2, v106
	s_addc_u32 s8, s9, s5
	s_or_b64 s[10:11], s[10:11], s[12:13]
	v_addc_co_u32_e32 v1, vcc, 0, v1, vcc
	s_mov_b64 s[4:5], 0
	s_and_b64 vcc, exec, s[10:11]
	s_cbranch_vccnz .LBB268_6
; %bb.5:
	v_mul_lo_u32 v4, v7, s26
	v_mul_lo_u32 v5, v6, s27
	v_mad_u64_u32 v[2:3], s[2:3], v6, s26, 0
	v_add3_u32 v3, v3, v5, v4
	v_lshlrev_b64 v[2:3], 4, v[2:3]
	v_mov_b32_e32 v4, s8
	v_add_co_u32_e32 v26, vcc, s7, v2
	v_addc_co_u32_e32 v27, vcc, v4, v3, vcc
	v_lshlrev_b64 v[24:25], 4, v[0:1]
	v_mul_f64 v[2:3], s[40:41], v[56:57]
	v_mul_f64 v[4:5], s[38:39], v[56:57]
	v_add_co_u32_e32 v24, vcc, v26, v24
	v_fma_f64 v[2:3], s[38:39], v[54:55], -v[2:3]
	v_fmac_f64_e32 v[4:5], s[40:41], v[54:55]
	v_addc_co_u32_e32 v25, vcc, v27, v25, vcc
	global_store_dwordx4 v[24:25], v[2:5], off
	s_lshl_b64 s[2:3], s[26:27], 8
	v_mul_f64 v[2:3], s[40:41], v[36:37]
	v_mul_f64 v[4:5], s[38:39], v[36:37]
	v_fma_f64 v[2:3], s[38:39], v[34:35], -v[2:3]
	v_fmac_f64_e32 v[4:5], s[40:41], v[34:35]
	global_store_dwordx4 v[24:25], v[2:5], off offset:256
	v_mov_b32_e32 v26, s3
	v_mul_f64 v[2:3], s[40:41], v[32:33]
	v_mul_f64 v[4:5], s[38:39], v[32:33]
	v_fma_f64 v[2:3], s[38:39], v[30:31], -v[2:3]
	v_fmac_f64_e32 v[4:5], s[40:41], v[30:31]
	global_store_dwordx4 v[24:25], v[2:5], off offset:512
	s_nop 0
	v_mul_f64 v[2:3], s[40:41], v[22:23]
	v_mul_f64 v[4:5], s[38:39], v[22:23]
	v_fma_f64 v[2:3], s[38:39], v[20:21], -v[2:3]
	v_fmac_f64_e32 v[4:5], s[40:41], v[20:21]
	global_store_dwordx4 v[24:25], v[2:5], off offset:768
	v_add_co_u32_e32 v24, vcc, s2, v24
	v_mul_f64 v[2:3], s[40:41], v[72:73]
	v_mul_f64 v[4:5], s[38:39], v[72:73]
	v_fma_f64 v[2:3], s[38:39], v[70:71], -v[2:3]
	v_fmac_f64_e32 v[4:5], s[40:41], v[70:71]
	v_addc_co_u32_e32 v25, vcc, v25, v26, vcc
	global_store_dwordx4 v[24:25], v[2:5], off
	s_nop 0
	v_mul_f64 v[2:3], s[40:41], v[64:65]
	v_mul_f64 v[4:5], s[38:39], v[64:65]
	v_fma_f64 v[2:3], s[38:39], v[60:61], -v[2:3]
	v_fmac_f64_e32 v[4:5], s[40:41], v[60:61]
	global_store_dwordx4 v[24:25], v[2:5], off offset:256
	s_nop 0
	v_mul_f64 v[2:3], s[40:41], v[52:53]
	v_mul_f64 v[4:5], s[38:39], v[52:53]
	v_fma_f64 v[2:3], s[38:39], v[48:49], -v[2:3]
	v_fmac_f64_e32 v[4:5], s[40:41], v[48:49]
	global_store_dwordx4 v[24:25], v[2:5], off offset:512
	s_nop 0
	v_mul_f64 v[2:3], s[40:41], v[44:45]
	v_mul_f64 v[4:5], s[38:39], v[44:45]
	v_fma_f64 v[2:3], s[38:39], v[40:41], -v[2:3]
	v_fmac_f64_e32 v[4:5], s[40:41], v[40:41]
	global_store_dwordx4 v[24:25], v[2:5], off offset:768
	v_add_co_u32_e32 v24, vcc, s2, v24
	v_mul_f64 v[2:3], s[40:41], v[68:69]
	v_mul_f64 v[4:5], s[38:39], v[68:69]
	v_fma_f64 v[2:3], s[38:39], v[66:67], -v[2:3]
	v_fmac_f64_e32 v[4:5], s[40:41], v[66:67]
	v_addc_co_u32_e32 v25, vcc, v25, v26, vcc
	global_store_dwordx4 v[24:25], v[2:5], off
	s_nop 0
	v_mul_f64 v[2:3], s[40:41], v[62:63]
	v_mul_f64 v[4:5], s[38:39], v[62:63]
	v_fma_f64 v[2:3], s[38:39], v[58:59], -v[2:3]
	v_fmac_f64_e32 v[4:5], s[40:41], v[58:59]
	global_store_dwordx4 v[24:25], v[2:5], off offset:256
	s_nop 0
	;; [unrolled: 25-line block ×3, first 2 shown]
	v_mul_f64 v[2:3], s[40:41], v[14:15]
	v_mul_f64 v[4:5], s[38:39], v[14:15]
	v_fma_f64 v[2:3], s[38:39], v[12:13], -v[2:3]
	v_fmac_f64_e32 v[4:5], s[40:41], v[12:13]
	global_store_dwordx4 v[24:25], v[2:5], off offset:512
	s_nop 0
	v_mul_f64 v[2:3], s[40:41], v[8:9]
	v_fma_f64 v[26:27], s[38:39], v[10:11], -v[2:3]
	v_mul_f64 v[4:5], s[38:39], v[8:9]
	v_add_co_u32_e32 v2, vcc, 0x300, v24
	v_fmac_f64_e32 v[4:5], s[40:41], v[10:11]
	v_addc_co_u32_e32 v3, vcc, 0, v25, vcc
	global_store_dwordx2 v[24:25], v[26:27], off offset:768
	s_andn2_b64 vcc, exec, s[4:5]
	s_cbranch_vccz .LBB268_7
	s_branch .LBB268_8
.LBB268_6:
                                        ; implicit-def: $vgpr4_vgpr5
                                        ; implicit-def: $vgpr2_vgpr3
.LBB268_7:
	s_lshl_b64 s[2:3], s[22:23], 4
	s_add_u32 s2, s0, s2
	s_addc_u32 s3, s1, s3
	v_mul_lo_u32 v4, v7, s20
	v_mul_lo_u32 v5, v6, s21
	v_mad_u64_u32 v[2:3], s[0:1], v6, s20, 0
	v_add3_u32 v3, v3, v5, v4
	v_lshlrev_b64 v[2:3], 4, v[2:3]
	v_mov_b32_e32 v4, s3
	v_add_co_u32_e32 v2, vcc, s2, v2
	v_addc_co_u32_e32 v3, vcc, v4, v3, vcc
	v_lshlrev_b64 v[4:5], 4, v[0:1]
	v_add_co_u32_e32 v24, vcc, v2, v4
	v_addc_co_u32_e32 v25, vcc, v3, v5, vcc
	global_load_dwordx4 v[0:3], v[24:25], off
	v_mul_lo_u32 v78, v7, s26
	v_mul_lo_u32 v79, v6, s27
	v_mad_u64_u32 v[6:7], s[0:1], v6, s26, 0
	v_add3_u32 v7, v7, v79, v78
	v_lshlrev_b64 v[6:7], 4, v[6:7]
	v_mov_b32_e32 v80, s8
	v_add_co_u32_e32 v6, vcc, s7, v6
	v_addc_co_u32_e32 v7, vcc, v80, v7, vcc
	v_add_co_u32_e32 v4, vcc, v6, v4
	v_mul_f64 v[26:27], s[40:41], v[56:57]
	v_mul_f64 v[28:29], s[38:39], v[56:57]
	v_addc_co_u32_e32 v5, vcc, v7, v5, vcc
	v_fma_f64 v[26:27], s[38:39], v[54:55], -v[26:27]
	v_fmac_f64_e32 v[28:29], s[40:41], v[54:55]
	s_lshl_b64 s[0:1], s[20:21], 8
	s_lshl_b64 s[2:3], s[26:27], 8
	s_waitcnt vmcnt(0)
	v_mul_f64 v[6:7], s[16:17], v[2:3]
	v_mul_f64 v[2:3], s[14:15], v[2:3]
	v_fma_f64 v[6:7], s[14:15], v[0:1], -v[6:7]
	v_fmac_f64_e32 v[2:3], s[16:17], v[0:1]
	v_add_f64 v[0:1], v[26:27], v[6:7]
	v_add_f64 v[2:3], v[28:29], v[2:3]
	global_store_dwordx4 v[4:5], v[0:3], off
	global_load_dwordx4 v[0:3], v[24:25], off offset:256
	v_mul_f64 v[6:7], s[40:41], v[36:37]
	v_mul_f64 v[26:27], s[38:39], v[36:37]
	v_fma_f64 v[6:7], s[38:39], v[34:35], -v[6:7]
	v_fmac_f64_e32 v[26:27], s[40:41], v[34:35]
	s_waitcnt vmcnt(0)
	v_mul_f64 v[28:29], s[16:17], v[2:3]
	v_mul_f64 v[2:3], s[14:15], v[2:3]
	v_fma_f64 v[28:29], s[14:15], v[0:1], -v[28:29]
	v_fmac_f64_e32 v[2:3], s[16:17], v[0:1]
	v_add_f64 v[0:1], v[6:7], v[28:29]
	v_add_f64 v[2:3], v[26:27], v[2:3]
	global_store_dwordx4 v[4:5], v[0:3], off offset:256
	global_load_dwordx4 v[0:3], v[24:25], off offset:512
	v_mul_f64 v[6:7], s[40:41], v[32:33]
	v_mul_f64 v[26:27], s[38:39], v[32:33]
	v_fma_f64 v[6:7], s[38:39], v[30:31], -v[6:7]
	v_fmac_f64_e32 v[26:27], s[40:41], v[30:31]
	s_waitcnt vmcnt(0)
	v_mul_f64 v[28:29], s[16:17], v[2:3]
	v_mul_f64 v[2:3], s[14:15], v[2:3]
	v_fma_f64 v[28:29], s[14:15], v[0:1], -v[28:29]
	v_fmac_f64_e32 v[2:3], s[16:17], v[0:1]
	v_add_f64 v[0:1], v[6:7], v[28:29]
	v_add_f64 v[2:3], v[26:27], v[2:3]
	global_store_dwordx4 v[4:5], v[0:3], off offset:512
	global_load_dwordx4 v[0:3], v[24:25], off offset:768
	v_mul_f64 v[6:7], s[40:41], v[22:23]
	v_mul_f64 v[22:23], s[38:39], v[22:23]
	v_fma_f64 v[6:7], s[38:39], v[20:21], -v[6:7]
	v_fmac_f64_e32 v[22:23], s[40:41], v[20:21]
	v_mov_b32_e32 v26, s1
	v_add_co_u32_e32 v20, vcc, s0, v24
	v_addc_co_u32_e32 v21, vcc, v25, v26, vcc
	v_mov_b32_e32 v27, s3
	s_waitcnt vmcnt(0)
	v_mul_f64 v[24:25], s[16:17], v[2:3]
	v_mul_f64 v[2:3], s[14:15], v[2:3]
	v_fma_f64 v[24:25], s[14:15], v[0:1], -v[24:25]
	v_fmac_f64_e32 v[2:3], s[16:17], v[0:1]
	v_add_f64 v[0:1], v[6:7], v[24:25]
	v_add_f64 v[2:3], v[22:23], v[2:3]
	global_store_dwordx4 v[4:5], v[0:3], off offset:768
	global_load_dwordx4 v[0:3], v[20:21], off
	v_mul_f64 v[6:7], s[40:41], v[72:73]
	v_mul_f64 v[22:23], s[38:39], v[72:73]
	v_fma_f64 v[6:7], s[38:39], v[70:71], -v[6:7]
	v_fmac_f64_e32 v[22:23], s[40:41], v[70:71]
	v_add_co_u32_e32 v4, vcc, s2, v4
	v_addc_co_u32_e32 v5, vcc, v5, v27, vcc
	s_waitcnt vmcnt(0)
	v_mul_f64 v[24:25], s[16:17], v[2:3]
	v_mul_f64 v[2:3], s[14:15], v[2:3]
	v_fma_f64 v[24:25], s[14:15], v[0:1], -v[24:25]
	v_fmac_f64_e32 v[2:3], s[16:17], v[0:1]
	v_add_f64 v[0:1], v[6:7], v[24:25]
	v_add_f64 v[2:3], v[22:23], v[2:3]
	global_store_dwordx4 v[4:5], v[0:3], off
	global_load_dwordx4 v[0:3], v[20:21], off offset:256
	v_mul_f64 v[6:7], s[40:41], v[64:65]
	v_mul_f64 v[22:23], s[38:39], v[64:65]
	v_fma_f64 v[6:7], s[38:39], v[60:61], -v[6:7]
	v_fmac_f64_e32 v[22:23], s[40:41], v[60:61]
	s_waitcnt vmcnt(0)
	v_mul_f64 v[24:25], s[16:17], v[2:3]
	v_mul_f64 v[2:3], s[14:15], v[2:3]
	v_fma_f64 v[24:25], s[14:15], v[0:1], -v[24:25]
	v_fmac_f64_e32 v[2:3], s[16:17], v[0:1]
	v_add_f64 v[0:1], v[6:7], v[24:25]
	v_add_f64 v[2:3], v[22:23], v[2:3]
	global_store_dwordx4 v[4:5], v[0:3], off offset:256
	global_load_dwordx4 v[0:3], v[20:21], off offset:512
	v_mul_f64 v[6:7], s[40:41], v[52:53]
	v_mul_f64 v[22:23], s[38:39], v[52:53]
	v_fma_f64 v[6:7], s[38:39], v[48:49], -v[6:7]
	v_fmac_f64_e32 v[22:23], s[40:41], v[48:49]
	s_waitcnt vmcnt(0)
	v_mul_f64 v[24:25], s[16:17], v[2:3]
	v_mul_f64 v[2:3], s[14:15], v[2:3]
	v_fma_f64 v[24:25], s[14:15], v[0:1], -v[24:25]
	v_fmac_f64_e32 v[2:3], s[16:17], v[0:1]
	v_add_f64 v[0:1], v[6:7], v[24:25]
	v_add_f64 v[2:3], v[22:23], v[2:3]
	global_store_dwordx4 v[4:5], v[0:3], off offset:512
	global_load_dwordx4 v[0:3], v[20:21], off offset:768
	v_mul_f64 v[6:7], s[40:41], v[44:45]
	v_mul_f64 v[22:23], s[38:39], v[44:45]
	v_fma_f64 v[6:7], s[38:39], v[40:41], -v[6:7]
	v_fmac_f64_e32 v[22:23], s[40:41], v[40:41]
	v_add_co_u32_e32 v20, vcc, s0, v20
	v_addc_co_u32_e32 v21, vcc, v21, v26, vcc
	s_waitcnt vmcnt(0)
	v_mul_f64 v[24:25], s[16:17], v[2:3]
	v_mul_f64 v[2:3], s[14:15], v[2:3]
	v_fma_f64 v[24:25], s[14:15], v[0:1], -v[24:25]
	v_fmac_f64_e32 v[2:3], s[16:17], v[0:1]
	v_add_f64 v[0:1], v[6:7], v[24:25]
	v_add_f64 v[2:3], v[22:23], v[2:3]
	global_store_dwordx4 v[4:5], v[0:3], off offset:768
	global_load_dwordx4 v[0:3], v[20:21], off
	v_mul_f64 v[6:7], s[40:41], v[68:69]
	v_mul_f64 v[22:23], s[38:39], v[68:69]
	v_fma_f64 v[6:7], s[38:39], v[66:67], -v[6:7]
	v_fmac_f64_e32 v[22:23], s[40:41], v[66:67]
	v_add_co_u32_e32 v4, vcc, s2, v4
	v_addc_co_u32_e32 v5, vcc, v5, v27, vcc
	s_waitcnt vmcnt(0)
	v_mul_f64 v[24:25], s[16:17], v[2:3]
	v_mul_f64 v[2:3], s[14:15], v[2:3]
	v_fma_f64 v[24:25], s[14:15], v[0:1], -v[24:25]
	v_fmac_f64_e32 v[2:3], s[16:17], v[0:1]
	v_add_f64 v[0:1], v[6:7], v[24:25]
	v_add_f64 v[2:3], v[22:23], v[2:3]
	global_store_dwordx4 v[4:5], v[0:3], off
	global_load_dwordx4 v[0:3], v[20:21], off offset:256
	v_mul_f64 v[6:7], s[40:41], v[62:63]
	v_mul_f64 v[22:23], s[38:39], v[62:63]
	v_fma_f64 v[6:7], s[38:39], v[58:59], -v[6:7]
	v_fmac_f64_e32 v[22:23], s[40:41], v[58:59]
	s_waitcnt vmcnt(0)
	v_mul_f64 v[24:25], s[16:17], v[2:3]
	v_mul_f64 v[2:3], s[14:15], v[2:3]
	v_fma_f64 v[24:25], s[14:15], v[0:1], -v[24:25]
	v_fmac_f64_e32 v[2:3], s[16:17], v[0:1]
	v_add_f64 v[0:1], v[6:7], v[24:25]
	v_add_f64 v[2:3], v[22:23], v[2:3]
	global_store_dwordx4 v[4:5], v[0:3], off offset:256
	global_load_dwordx4 v[0:3], v[20:21], off offset:512
	v_mul_f64 v[6:7], s[40:41], v[50:51]
	v_mul_f64 v[22:23], s[38:39], v[50:51]
	v_fma_f64 v[6:7], s[38:39], v[46:47], -v[6:7]
	v_fmac_f64_e32 v[22:23], s[40:41], v[46:47]
	s_waitcnt vmcnt(0)
	v_mul_f64 v[24:25], s[16:17], v[2:3]
	v_mul_f64 v[2:3], s[14:15], v[2:3]
	v_fma_f64 v[24:25], s[14:15], v[0:1], -v[24:25]
	v_fmac_f64_e32 v[2:3], s[16:17], v[0:1]
	v_add_f64 v[0:1], v[6:7], v[24:25]
	v_add_f64 v[2:3], v[22:23], v[2:3]
	global_store_dwordx4 v[4:5], v[0:3], off offset:512
	global_load_dwordx4 v[0:3], v[20:21], off offset:768
	v_mul_f64 v[6:7], s[40:41], v[42:43]
	v_mul_f64 v[22:23], s[38:39], v[42:43]
	v_fma_f64 v[6:7], s[38:39], v[38:39], -v[6:7]
	v_fmac_f64_e32 v[22:23], s[40:41], v[38:39]
	v_add_co_u32_e32 v20, vcc, s0, v20
	v_addc_co_u32_e32 v21, vcc, v21, v26, vcc
	s_waitcnt vmcnt(0)
	v_mul_f64 v[24:25], s[16:17], v[2:3]
	v_mul_f64 v[2:3], s[14:15], v[2:3]
	v_fma_f64 v[24:25], s[14:15], v[0:1], -v[24:25]
	v_fmac_f64_e32 v[2:3], s[16:17], v[0:1]
	v_add_f64 v[0:1], v[6:7], v[24:25]
	v_add_f64 v[2:3], v[22:23], v[2:3]
	global_store_dwordx4 v[4:5], v[0:3], off offset:768
	global_load_dwordx4 v[0:3], v[20:21], off
	v_add_co_u32_e32 v24, vcc, s2, v4
	v_mul_f64 v[6:7], s[40:41], v[76:77]
	v_mul_f64 v[22:23], s[38:39], v[76:77]
	v_addc_co_u32_e32 v25, vcc, v5, v27, vcc
	v_fma_f64 v[6:7], s[38:39], v[74:75], -v[6:7]
	v_fmac_f64_e32 v[22:23], s[40:41], v[74:75]
	s_waitcnt vmcnt(0)
	v_mul_f64 v[4:5], s[16:17], v[2:3]
	v_mul_f64 v[2:3], s[14:15], v[2:3]
	v_fma_f64 v[4:5], s[14:15], v[0:1], -v[4:5]
	v_fmac_f64_e32 v[2:3], s[16:17], v[0:1]
	v_add_f64 v[0:1], v[6:7], v[4:5]
	v_add_f64 v[2:3], v[22:23], v[2:3]
	global_store_dwordx4 v[24:25], v[0:3], off
	global_load_dwordx4 v[0:3], v[20:21], off offset:256
	v_mul_f64 v[4:5], s[40:41], v[18:19]
	v_mul_f64 v[6:7], s[38:39], v[18:19]
	v_fma_f64 v[4:5], s[38:39], v[16:17], -v[4:5]
	v_fmac_f64_e32 v[6:7], s[40:41], v[16:17]
	s_waitcnt vmcnt(0)
	v_mul_f64 v[16:17], s[16:17], v[2:3]
	v_mul_f64 v[2:3], s[14:15], v[2:3]
	v_fma_f64 v[16:17], s[14:15], v[0:1], -v[16:17]
	v_fmac_f64_e32 v[2:3], s[16:17], v[0:1]
	v_add_f64 v[0:1], v[4:5], v[16:17]
	v_add_f64 v[2:3], v[6:7], v[2:3]
	global_store_dwordx4 v[24:25], v[0:3], off offset:256
	global_load_dwordx4 v[0:3], v[20:21], off offset:512
	v_mul_f64 v[4:5], s[40:41], v[14:15]
	v_mul_f64 v[6:7], s[38:39], v[14:15]
	v_fma_f64 v[4:5], s[38:39], v[12:13], -v[4:5]
	v_fmac_f64_e32 v[6:7], s[40:41], v[12:13]
	s_waitcnt vmcnt(0)
	v_mul_f64 v[12:13], s[16:17], v[2:3]
	v_mul_f64 v[2:3], s[14:15], v[2:3]
	v_fma_f64 v[12:13], s[14:15], v[0:1], -v[12:13]
	v_fmac_f64_e32 v[2:3], s[16:17], v[0:1]
	v_add_f64 v[0:1], v[4:5], v[12:13]
	v_add_f64 v[2:3], v[6:7], v[2:3]
	global_store_dwordx4 v[24:25], v[0:3], off offset:512
	global_load_dwordx4 v[4:7], v[20:21], off offset:768
	v_mul_f64 v[0:1], s[40:41], v[8:9]
	v_mul_f64 v[8:9], s[38:39], v[8:9]
	v_fma_f64 v[0:1], s[38:39], v[10:11], -v[0:1]
	v_fmac_f64_e32 v[8:9], s[40:41], v[10:11]
	v_add_co_u32_e32 v2, vcc, 0x300, v24
	v_addc_co_u32_e32 v3, vcc, 0, v25, vcc
	s_waitcnt vmcnt(0)
	v_mul_f64 v[10:11], s[16:17], v[6:7]
	v_mul_f64 v[6:7], s[14:15], v[6:7]
	v_fma_f64 v[10:11], s[14:15], v[4:5], -v[10:11]
	v_fmac_f64_e32 v[6:7], s[16:17], v[4:5]
	v_add_f64 v[0:1], v[0:1], v[10:11]
	v_add_f64 v[4:5], v[8:9], v[6:7]
	global_store_dwordx2 v[24:25], v[0:1], off offset:768
.LBB268_8:
	global_store_dwordx2 v[2:3], v[4:5], off offset:8
	s_endpgm
	.section	.rodata,"a",@progbits
	.p2align	6, 0x0
	.amdhsa_kernel _ZN12_GLOBAL__N_127rocblas_gemm_batched_kernelI19rocblas_complex_numIdELi16ELi16ELi64ELi64ELi4ELi64ELi4ELi4ELi64ELc67ELc78EKPKS2_S5_KPS2_EEvlllT_PT11_llSA_llS8_PT12_llPT13_lli
		.amdhsa_group_segment_fixed_size 8192
		.amdhsa_private_segment_fixed_size 0
		.amdhsa_kernarg_size 156
		.amdhsa_user_sgpr_count 6
		.amdhsa_user_sgpr_private_segment_buffer 1
		.amdhsa_user_sgpr_dispatch_ptr 0
		.amdhsa_user_sgpr_queue_ptr 0
		.amdhsa_user_sgpr_kernarg_segment_ptr 1
		.amdhsa_user_sgpr_dispatch_id 0
		.amdhsa_user_sgpr_flat_scratch_init 0
		.amdhsa_user_sgpr_kernarg_preload_length 0
		.amdhsa_user_sgpr_kernarg_preload_offset 0
		.amdhsa_user_sgpr_private_segment_size 0
		.amdhsa_uses_dynamic_stack 0
		.amdhsa_system_sgpr_private_segment_wavefront_offset 0
		.amdhsa_system_sgpr_workgroup_id_x 1
		.amdhsa_system_sgpr_workgroup_id_y 1
		.amdhsa_system_sgpr_workgroup_id_z 1
		.amdhsa_system_sgpr_workgroup_info 0
		.amdhsa_system_vgpr_workitem_id 1
		.amdhsa_next_free_vgpr 136
		.amdhsa_next_free_sgpr 52
		.amdhsa_accum_offset 136
		.amdhsa_reserve_vcc 1
		.amdhsa_reserve_flat_scratch 0
		.amdhsa_float_round_mode_32 0
		.amdhsa_float_round_mode_16_64 0
		.amdhsa_float_denorm_mode_32 3
		.amdhsa_float_denorm_mode_16_64 3
		.amdhsa_dx10_clamp 1
		.amdhsa_ieee_mode 1
		.amdhsa_fp16_overflow 0
		.amdhsa_tg_split 0
		.amdhsa_exception_fp_ieee_invalid_op 0
		.amdhsa_exception_fp_denorm_src 0
		.amdhsa_exception_fp_ieee_div_zero 0
		.amdhsa_exception_fp_ieee_overflow 0
		.amdhsa_exception_fp_ieee_underflow 0
		.amdhsa_exception_fp_ieee_inexact 0
		.amdhsa_exception_int_div_zero 0
	.end_amdhsa_kernel
	.section	.text._ZN12_GLOBAL__N_127rocblas_gemm_batched_kernelI19rocblas_complex_numIdELi16ELi16ELi64ELi64ELi4ELi64ELi4ELi4ELi64ELc67ELc78EKPKS2_S5_KPS2_EEvlllT_PT11_llSA_llS8_PT12_llPT13_lli,"axG",@progbits,_ZN12_GLOBAL__N_127rocblas_gemm_batched_kernelI19rocblas_complex_numIdELi16ELi16ELi64ELi64ELi4ELi64ELi4ELi4ELi64ELc67ELc78EKPKS2_S5_KPS2_EEvlllT_PT11_llSA_llS8_PT12_llPT13_lli,comdat
.Lfunc_end268:
	.size	_ZN12_GLOBAL__N_127rocblas_gemm_batched_kernelI19rocblas_complex_numIdELi16ELi16ELi64ELi64ELi4ELi64ELi4ELi4ELi64ELc67ELc78EKPKS2_S5_KPS2_EEvlllT_PT11_llSA_llS8_PT12_llPT13_lli, .Lfunc_end268-_ZN12_GLOBAL__N_127rocblas_gemm_batched_kernelI19rocblas_complex_numIdELi16ELi16ELi64ELi64ELi4ELi64ELi4ELi4ELi64ELc67ELc78EKPKS2_S5_KPS2_EEvlllT_PT11_llSA_llS8_PT12_llPT13_lli
                                        ; -- End function
	.section	.AMDGPU.csdata,"",@progbits
; Kernel info:
; codeLenInByte = 6744
; NumSgprs: 56
; NumVgprs: 136
; NumAgprs: 0
; TotalNumVgprs: 136
; ScratchSize: 0
; MemoryBound: 0
; FloatMode: 240
; IeeeMode: 1
; LDSByteSize: 8192 bytes/workgroup (compile time only)
; SGPRBlocks: 6
; VGPRBlocks: 16
; NumSGPRsForWavesPerEU: 56
; NumVGPRsForWavesPerEU: 136
; AccumOffset: 136
; Occupancy: 3
; WaveLimiterHint : 1
; COMPUTE_PGM_RSRC2:SCRATCH_EN: 0
; COMPUTE_PGM_RSRC2:USER_SGPR: 6
; COMPUTE_PGM_RSRC2:TRAP_HANDLER: 0
; COMPUTE_PGM_RSRC2:TGID_X_EN: 1
; COMPUTE_PGM_RSRC2:TGID_Y_EN: 1
; COMPUTE_PGM_RSRC2:TGID_Z_EN: 1
; COMPUTE_PGM_RSRC2:TIDIG_COMP_CNT: 1
; COMPUTE_PGM_RSRC3_GFX90A:ACCUM_OFFSET: 33
; COMPUTE_PGM_RSRC3_GFX90A:TG_SPLIT: 0
	.section	.text._ZN12_GLOBAL__N_127rocblas_gemm_batched_kernelI19rocblas_complex_numIdELi16ELi16ELi64ELi64ELi4ELi64ELi4ELi4ELi64ELc67ELc84EKPKS2_S5_KPS2_EEvlllT_PT11_llSA_llS8_PT12_llPT13_lli,"axG",@progbits,_ZN12_GLOBAL__N_127rocblas_gemm_batched_kernelI19rocblas_complex_numIdELi16ELi16ELi64ELi64ELi4ELi64ELi4ELi4ELi64ELc67ELc84EKPKS2_S5_KPS2_EEvlllT_PT11_llSA_llS8_PT12_llPT13_lli,comdat
	.globl	_ZN12_GLOBAL__N_127rocblas_gemm_batched_kernelI19rocblas_complex_numIdELi16ELi16ELi64ELi64ELi4ELi64ELi4ELi4ELi64ELc67ELc84EKPKS2_S5_KPS2_EEvlllT_PT11_llSA_llS8_PT12_llPT13_lli ; -- Begin function _ZN12_GLOBAL__N_127rocblas_gemm_batched_kernelI19rocblas_complex_numIdELi16ELi16ELi64ELi64ELi4ELi64ELi4ELi4ELi64ELc67ELc84EKPKS2_S5_KPS2_EEvlllT_PT11_llSA_llS8_PT12_llPT13_lli
	.p2align	8
	.type	_ZN12_GLOBAL__N_127rocblas_gemm_batched_kernelI19rocblas_complex_numIdELi16ELi16ELi64ELi64ELi4ELi64ELi4ELi4ELi64ELc67ELc84EKPKS2_S5_KPS2_EEvlllT_PT11_llSA_llS8_PT12_llPT13_lli,@function
_ZN12_GLOBAL__N_127rocblas_gemm_batched_kernelI19rocblas_complex_numIdELi16ELi16ELi64ELi64ELi4ELi64ELi4ELi4ELi64ELc67ELc84EKPKS2_S5_KPS2_EEvlllT_PT11_llSA_llS8_PT12_llPT13_lli: ; @_ZN12_GLOBAL__N_127rocblas_gemm_batched_kernelI19rocblas_complex_numIdELi16ELi16ELi64ELi64ELi4ELi64ELi4ELi4ELi64ELc67ELc84EKPKS2_S5_KPS2_EEvlllT_PT11_llSA_llS8_PT12_llPT13_lli
; %bb.0:
	s_load_dwordx16 s[36:51], s[4:5], 0x10
	s_load_dwordx16 s[12:27], s[4:5], 0x50
	s_mov_b32 s9, 0
	s_lshl_b64 s[28:29], s[8:9], 3
	s_mov_b32 s10, s7
	v_bfe_u32 v107, v0, 10, 10
	s_waitcnt lgkmcnt(0)
	s_add_u32 s0, s18, s28
	s_addc_u32 s1, s19, s29
	s_add_u32 s2, s24, s28
	s_addc_u32 s3, s25, s29
	s_load_dwordx2 s[0:1], s[0:1], 0x0
	s_ashr_i32 s7, s6, 31
	s_load_dwordx2 s[8:9], s[2:3], 0x0
	s_ashr_i32 s11, s10, 31
	v_cmp_lt_i64_e64 s[18:19], s[36:37], 1
	v_and_b32_e32 v106, 0x3ff, v0
	s_lshl_b64 s[2:3], s[6:7], 6
	s_lshl_b64 s[6:7], s[10:11], 6
	s_mov_b64 s[10:11], 0
	s_and_b64 vcc, exec, s[18:19]
	s_cbranch_vccnz .LBB269_3
; %bb.1:
	v_lshl_add_u32 v4, v107, 4, v106
	s_add_u32 s18, s42, s28
	v_lshrrev_b32_e32 v5, 2, v4
	s_addc_u32 s19, s43, s29
	v_mov_b32_e32 v1, s7
	v_add_co_u32_e32 v0, vcc, s6, v5
	s_add_u32 s24, s48, s28
	v_addc_co_u32_e32 v1, vcc, 0, v1, vcc
	v_and_b32_e32 v6, 3, v106
	s_addc_u32 s25, s49, s29
	v_mad_u64_u32 v[0:1], s[28:29], v6, s50, v[0:1]
	v_mov_b32_e32 v2, v1
	v_mad_u64_u32 v[2:3], s[28:29], v6, s51, v[2:3]
	v_mov_b32_e32 v1, v2
	v_and_b32_e32 v2, 63, v4
	v_lshrrev_b32_e32 v4, 6, v4
	v_lshlrev_b32_e32 v3, 4, v2
	v_lshl_or_b32 v108, v4, 10, v3
	v_lshlrev_b32_e32 v3, 4, v6
	v_lshl_or_b32 v3, v5, 6, v3
	v_add_u32_e32 v109, 0x1000, v3
	v_mov_b32_e32 v3, 0x1000
	v_lshl_add_u32 v111, v107, 6, v3
	v_mov_b32_e32 v3, s3
	v_add_co_u32_e32 v2, vcc, s2, v2
	v_addc_co_u32_e32 v3, vcc, 0, v3, vcc
	v_mul_lo_u32 v5, s45, v2
	v_mul_lo_u32 v6, s44, v3
	v_mad_u64_u32 v[2:3], s[28:29], s44, v2, 0
	v_add3_u32 v3, v3, v6, v5
	s_load_dwordx2 s[18:19], s[18:19], 0x0
	v_lshlrev_b64 v[2:3], 4, v[2:3]
	s_lshl_b64 s[28:29], s[46:47], 4
	v_mov_b32_e32 v5, s29
	v_add_co_u32_e32 v2, vcc, s28, v2
	s_load_dwordx2 s[24:25], s[24:25], 0x0
	v_addc_co_u32_e32 v3, vcc, v3, v5, vcc
	v_lshlrev_b32_e32 v4, 4, v4
	v_add_co_u32_e32 v2, vcc, v2, v4
	v_addc_co_u32_e32 v3, vcc, 0, v3, vcc
	s_waitcnt lgkmcnt(0)
	v_mov_b32_e32 v4, s19
	v_add_co_u32_e32 v2, vcc, s18, v2
	v_addc_co_u32_e32 v3, vcc, v3, v4, vcc
	s_lshl_b64 s[12:13], s[12:13], 4
	v_add_co_u32_e32 v24, vcc, 8, v2
	s_add_u32 s12, s24, s12
	v_addc_co_u32_e32 v25, vcc, 0, v3, vcc
	v_lshlrev_b64 v[0:1], 4, v[0:1]
	s_addc_u32 s13, s25, s13
	v_mov_b32_e32 v2, s13
	v_add_co_u32_e32 v26, vcc, s12, v0
	s_lshl_b64 s[12:13], s[50:51], 6
	v_lshlrev_b32_e32 v110, 4, v106
	v_addc_co_u32_e32 v27, vcc, v2, v1, vcc
	v_pk_mov_b32 v[8:9], 0, 0
	v_mov_b32_e32 v112, s13
	v_pk_mov_b32 v[28:29], s[36:37], s[36:37] op_sel:[0,1]
	v_pk_mov_b32 v[10:11], 0, 0
	v_pk_mov_b32 v[14:15], 0, 0
	;; [unrolled: 1-line block ×31, first 2 shown]
.LBB269_2:                              ; =>This Inner Loop Header: Depth=1
	global_load_dwordx4 v[0:3], v[24:25], off offset:-8
	v_add_co_u32_e32 v24, vcc, 64, v24
	v_addc_co_u32_e32 v25, vcc, 0, v25, vcc
	s_add_u32 s10, s10, 4
	s_addc_u32 s11, s11, 0
	s_waitcnt vmcnt(0)
	v_xor_b32_e32 v3, 0x80000000, v3
	ds_write_b128 v108, v[0:3]
	global_load_dwordx4 v[0:3], v[26:27], off
	v_add_co_u32_e32 v26, vcc, s12, v26
	v_addc_co_u32_e32 v27, vcc, v27, v112, vcc
	v_cmp_lt_i64_e32 vcc, s[10:11], v[28:29]
	s_and_b64 vcc, exec, vcc
	s_waitcnt vmcnt(0)
	ds_write2_b64 v109, v[0:1], v[2:3] offset1:1
	s_waitcnt lgkmcnt(0)
	s_barrier
	ds_read_b128 v[78:81], v111
	ds_read_b128 v[114:117], v111 offset:16
	ds_read_b128 v[4:7], v111 offset:32
	;; [unrolled: 1-line block ×3, first 2 shown]
	ds_read_b128 v[118:121], v110
	s_waitcnt lgkmcnt(0)
	v_mul_f64 v[82:83], v[80:81], v[120:121]
	v_mul_f64 v[84:85], v[78:79], v[120:121]
	v_fma_f64 v[82:83], v[78:79], v[118:119], -v[82:83]
	v_fmac_f64_e32 v[84:85], v[80:81], v[118:119]
	v_add_f64 v[122:123], v[54:55], v[82:83]
	v_add_f64 v[124:125], v[56:57], v[84:85]
	ds_read_b128 v[54:57], v110 offset:256
	s_waitcnt lgkmcnt(0)
	v_mul_f64 v[82:83], v[80:81], v[56:57]
	v_mul_f64 v[84:85], v[78:79], v[56:57]
	v_fma_f64 v[82:83], v[78:79], v[54:55], -v[82:83]
	v_fmac_f64_e32 v[84:85], v[80:81], v[54:55]
	v_add_f64 v[126:127], v[34:35], v[82:83]
	v_add_f64 v[128:129], v[36:37], v[84:85]
	ds_read_b128 v[34:37], v110 offset:512
	;; [unrolled: 8-line block ×3, first 2 shown]
	s_waitcnt lgkmcnt(0)
	v_mul_f64 v[82:83], v[80:81], v[32:33]
	v_fma_f64 v[82:83], v[78:79], v[30:31], -v[82:83]
	v_mul_f64 v[78:79], v[78:79], v[32:33]
	v_fmac_f64_e32 v[78:79], v[80:81], v[30:31]
	v_add_f64 v[134:135], v[20:21], v[82:83]
	v_add_f64 v[136:137], v[22:23], v[78:79]
	ds_read_b128 v[20:23], v111 offset:1024
	s_waitcnt lgkmcnt(0)
	v_mul_f64 v[78:79], v[22:23], v[120:121]
	v_fma_f64 v[78:79], v[20:21], v[118:119], -v[78:79]
	v_add_f64 v[70:71], v[70:71], v[78:79]
	v_mul_f64 v[78:79], v[22:23], v[56:57]
	v_mul_f64 v[80:81], v[20:21], v[120:121]
	v_fma_f64 v[78:79], v[20:21], v[54:55], -v[78:79]
	v_fmac_f64_e32 v[80:81], v[22:23], v[118:119]
	v_add_f64 v[94:95], v[60:61], v[78:79]
	v_mul_f64 v[60:61], v[22:23], v[36:37]
	v_add_f64 v[72:73], v[72:73], v[80:81]
	v_mul_f64 v[80:81], v[20:21], v[56:57]
	v_fma_f64 v[60:61], v[20:21], v[34:35], -v[60:61]
	v_fmac_f64_e32 v[80:81], v[22:23], v[54:55]
	v_add_f64 v[98:99], v[48:49], v[60:61]
	v_mul_f64 v[48:49], v[22:23], v[32:33]
	v_add_f64 v[96:97], v[64:65], v[80:81]
	v_mul_f64 v[64:65], v[20:21], v[36:37]
	v_fma_f64 v[48:49], v[20:21], v[30:31], -v[48:49]
	v_mul_f64 v[20:21], v[20:21], v[32:33]
	v_fmac_f64_e32 v[20:21], v[22:23], v[30:31]
	v_fmac_f64_e32 v[64:65], v[22:23], v[34:35]
	v_add_f64 v[104:105], v[44:45], v[20:21]
	ds_read_b128 v[20:23], v111 offset:2048
	v_add_f64 v[102:103], v[40:41], v[48:49]
	v_add_f64 v[100:101], v[52:53], v[64:65]
	s_waitcnt lgkmcnt(0)
	v_mul_f64 v[40:41], v[22:23], v[120:121]
	v_fma_f64 v[40:41], v[20:21], v[118:119], -v[40:41]
	v_add_f64 v[78:79], v[66:67], v[40:41]
	v_mul_f64 v[40:41], v[22:23], v[56:57]
	v_mul_f64 v[44:45], v[20:21], v[120:121]
	v_fma_f64 v[40:41], v[20:21], v[54:55], -v[40:41]
	v_fmac_f64_e32 v[44:45], v[22:23], v[118:119]
	v_add_f64 v[82:83], v[58:59], v[40:41]
	v_mul_f64 v[40:41], v[22:23], v[36:37]
	v_add_f64 v[80:81], v[68:69], v[44:45]
	v_mul_f64 v[44:45], v[20:21], v[56:57]
	v_fma_f64 v[40:41], v[20:21], v[34:35], -v[40:41]
	v_fmac_f64_e32 v[44:45], v[22:23], v[54:55]
	v_add_f64 v[86:87], v[46:47], v[40:41]
	v_mul_f64 v[40:41], v[22:23], v[32:33]
	v_add_f64 v[84:85], v[62:63], v[44:45]
	v_mul_f64 v[44:45], v[20:21], v[36:37]
	v_fma_f64 v[40:41], v[20:21], v[30:31], -v[40:41]
	v_mul_f64 v[20:21], v[20:21], v[32:33]
	v_fmac_f64_e32 v[20:21], v[22:23], v[30:31]
	v_fmac_f64_e32 v[44:45], v[22:23], v[34:35]
	v_add_f64 v[92:93], v[42:43], v[20:21]
	ds_read_b128 v[20:23], v111 offset:3072
	v_add_f64 v[90:91], v[38:39], v[40:41]
	v_add_f64 v[88:89], v[50:51], v[44:45]
	s_waitcnt lgkmcnt(0)
	v_mul_f64 v[38:39], v[22:23], v[120:121]
	v_mul_f64 v[40:41], v[20:21], v[120:121]
	v_fma_f64 v[38:39], v[20:21], v[118:119], -v[38:39]
	v_fmac_f64_e32 v[40:41], v[22:23], v[118:119]
	v_add_f64 v[58:59], v[74:75], v[38:39]
	v_add_f64 v[60:61], v[76:77], v[40:41]
	v_mul_f64 v[38:39], v[22:23], v[56:57]
	v_mul_f64 v[40:41], v[20:21], v[56:57]
	v_fma_f64 v[38:39], v[20:21], v[54:55], -v[38:39]
	v_fmac_f64_e32 v[40:41], v[22:23], v[54:55]
	v_add_f64 v[54:55], v[16:17], v[38:39]
	v_add_f64 v[56:57], v[18:19], v[40:41]
	;; [unrolled: 6-line block ×3, first 2 shown]
	v_mul_f64 v[12:13], v[22:23], v[32:33]
	v_mul_f64 v[14:15], v[20:21], v[32:33]
	v_fma_f64 v[12:13], v[20:21], v[30:31], -v[12:13]
	v_fmac_f64_e32 v[14:15], v[22:23], v[30:31]
	ds_read_b128 v[20:23], v110 offset:1024
	ds_read_b128 v[16:19], v110 offset:1280
	v_add_f64 v[46:47], v[10:11], v[12:13]
	v_add_f64 v[48:49], v[8:9], v[14:15]
	ds_read_b128 v[12:15], v110 offset:1536
	ds_read_b128 v[74:77], v111 offset:1040
	s_waitcnt lgkmcnt(3)
	v_mul_f64 v[8:9], v[116:117], v[22:23]
	v_mul_f64 v[10:11], v[114:115], v[22:23]
	v_fma_f64 v[8:9], v[114:115], v[20:21], -v[8:9]
	v_fmac_f64_e32 v[10:11], v[116:117], v[20:21]
	v_add_f64 v[42:43], v[122:123], v[8:9]
	v_add_f64 v[44:45], v[124:125], v[10:11]
	s_waitcnt lgkmcnt(2)
	v_mul_f64 v[8:9], v[116:117], v[18:19]
	v_mul_f64 v[10:11], v[114:115], v[18:19]
	v_fma_f64 v[8:9], v[114:115], v[16:17], -v[8:9]
	v_fmac_f64_e32 v[10:11], v[116:117], v[16:17]
	v_add_f64 v[38:39], v[126:127], v[8:9]
	v_add_f64 v[40:41], v[128:129], v[10:11]
	;; [unrolled: 7-line block ×3, first 2 shown]
	ds_read_b128 v[8:11], v110 offset:1792
	s_waitcnt lgkmcnt(1)
	v_mul_f64 v[66:67], v[76:77], v[18:19]
	v_mul_f64 v[68:69], v[74:75], v[18:19]
	;; [unrolled: 1-line block ×4, first 2 shown]
	v_fma_f64 v[66:67], v[74:75], v[16:17], -v[66:67]
	v_fmac_f64_e32 v[68:69], v[76:77], v[16:17]
	v_fma_f64 v[62:63], v[74:75], v[20:21], -v[62:63]
	v_fmac_f64_e32 v[64:65], v[76:77], v[20:21]
	v_add_f64 v[66:67], v[94:95], v[66:67]
	v_add_f64 v[68:69], v[96:97], v[68:69]
	s_waitcnt lgkmcnt(0)
	v_mul_f64 v[94:95], v[76:77], v[10:11]
	v_mul_f64 v[96:97], v[74:75], v[10:11]
	v_add_f64 v[62:63], v[70:71], v[62:63]
	v_add_f64 v[64:65], v[72:73], v[64:65]
	v_mul_f64 v[70:71], v[76:77], v[14:15]
	v_mul_f64 v[72:73], v[74:75], v[14:15]
	v_fma_f64 v[94:95], v[74:75], v[8:9], -v[94:95]
	v_fmac_f64_e32 v[96:97], v[76:77], v[8:9]
	v_fma_f64 v[70:71], v[74:75], v[12:13], -v[70:71]
	v_fmac_f64_e32 v[72:73], v[76:77], v[12:13]
	v_add_f64 v[74:75], v[102:103], v[94:95]
	v_add_f64 v[76:77], v[104:105], v[96:97]
	ds_read_b128 v[94:97], v111 offset:2064
	v_add_f64 v[70:71], v[98:99], v[70:71]
	v_add_f64 v[72:73], v[100:101], v[72:73]
	v_mul_f64 v[30:31], v[116:117], v[10:11]
	v_mul_f64 v[32:33], v[114:115], v[10:11]
	s_waitcnt lgkmcnt(0)
	v_mul_f64 v[98:99], v[96:97], v[22:23]
	v_mul_f64 v[100:101], v[94:95], v[22:23]
	v_fma_f64 v[98:99], v[94:95], v[20:21], -v[98:99]
	v_fmac_f64_e32 v[100:101], v[96:97], v[20:21]
	v_add_f64 v[78:79], v[78:79], v[98:99]
	v_add_f64 v[80:81], v[80:81], v[100:101]
	v_mul_f64 v[98:99], v[96:97], v[18:19]
	v_mul_f64 v[100:101], v[94:95], v[18:19]
	v_fma_f64 v[98:99], v[94:95], v[16:17], -v[98:99]
	v_fmac_f64_e32 v[100:101], v[96:97], v[16:17]
	v_add_f64 v[82:83], v[82:83], v[98:99]
	v_add_f64 v[84:85], v[84:85], v[100:101]
	;; [unrolled: 6-line block ×4, first 2 shown]
	ds_read_b128 v[90:93], v111 offset:3088
	v_fma_f64 v[30:31], v[114:115], v[8:9], -v[30:31]
	v_fmac_f64_e32 v[32:33], v[116:117], v[8:9]
	v_add_f64 v[32:33], v[136:137], v[32:33]
	v_add_f64 v[30:31], v[134:135], v[30:31]
	s_waitcnt lgkmcnt(0)
	v_mul_f64 v[98:99], v[92:93], v[22:23]
	v_mul_f64 v[22:23], v[90:91], v[22:23]
	v_fma_f64 v[98:99], v[90:91], v[20:21], -v[98:99]
	v_fmac_f64_e32 v[22:23], v[92:93], v[20:21]
	v_mul_f64 v[20:21], v[92:93], v[18:19]
	v_mul_f64 v[18:19], v[90:91], v[18:19]
	v_fma_f64 v[20:21], v[90:91], v[16:17], -v[20:21]
	v_fmac_f64_e32 v[18:19], v[92:93], v[16:17]
	;; [unrolled: 4-line block ×3, first 2 shown]
	v_mul_f64 v[12:13], v[92:93], v[10:11]
	v_mul_f64 v[10:11], v[90:91], v[10:11]
	v_fmac_f64_e32 v[10:11], v[92:93], v[8:9]
	v_fma_f64 v[12:13], v[90:91], v[8:9], -v[12:13]
	v_add_f64 v[114:115], v[48:49], v[10:11]
	ds_read_b128 v[8:11], v110 offset:2048
	v_add_f64 v[102:103], v[52:53], v[14:15]
	v_add_f64 v[104:105], v[46:47], v[12:13]
	;; [unrolled: 1-line block ×4, first 2 shown]
	s_waitcnt lgkmcnt(0)
	v_mul_f64 v[12:13], v[6:7], v[10:11]
	v_mul_f64 v[14:15], v[4:5], v[10:11]
	v_fma_f64 v[12:13], v[4:5], v[8:9], -v[12:13]
	v_fmac_f64_e32 v[14:15], v[6:7], v[8:9]
	v_add_f64 v[116:117], v[42:43], v[12:13]
	v_add_f64 v[118:119], v[44:45], v[14:15]
	ds_read_b128 v[12:15], v110 offset:2304
	v_add_f64 v[60:61], v[60:61], v[22:23]
	v_add_f64 v[54:55], v[54:55], v[20:21]
	;; [unrolled: 1-line block ×3, first 2 shown]
	s_waitcnt lgkmcnt(0)
	v_mul_f64 v[16:17], v[6:7], v[14:15]
	v_mul_f64 v[18:19], v[4:5], v[14:15]
	v_fma_f64 v[16:17], v[4:5], v[12:13], -v[16:17]
	v_fmac_f64_e32 v[18:19], v[6:7], v[12:13]
	v_add_f64 v[120:121], v[38:39], v[16:17]
	v_add_f64 v[122:123], v[40:41], v[18:19]
	ds_read_b128 v[16:19], v110 offset:2560
	s_waitcnt lgkmcnt(0)
	v_mul_f64 v[20:21], v[6:7], v[18:19]
	v_mul_f64 v[22:23], v[4:5], v[18:19]
	v_fma_f64 v[20:21], v[4:5], v[16:17], -v[20:21]
	v_fmac_f64_e32 v[22:23], v[6:7], v[16:17]
	v_add_f64 v[124:125], v[34:35], v[20:21]
	v_add_f64 v[126:127], v[36:37], v[22:23]
	ds_read_b128 v[20:23], v110 offset:2816
	s_waitcnt lgkmcnt(0)
	v_mul_f64 v[34:35], v[6:7], v[22:23]
	v_fma_f64 v[34:35], v[4:5], v[20:21], -v[34:35]
	v_mul_f64 v[4:5], v[4:5], v[22:23]
	v_fmac_f64_e32 v[4:5], v[6:7], v[20:21]
	v_add_f64 v[130:131], v[32:33], v[4:5]
	ds_read_b128 v[4:7], v111 offset:1056
	v_add_f64 v[128:129], v[30:31], v[34:35]
	s_waitcnt lgkmcnt(0)
	v_mul_f64 v[30:31], v[6:7], v[10:11]
	v_fma_f64 v[30:31], v[4:5], v[8:9], -v[30:31]
	v_add_f64 v[40:41], v[62:63], v[30:31]
	v_mul_f64 v[30:31], v[6:7], v[14:15]
	v_mul_f64 v[32:33], v[4:5], v[10:11]
	v_fma_f64 v[30:31], v[4:5], v[12:13], -v[30:31]
	v_fmac_f64_e32 v[32:33], v[6:7], v[8:9]
	v_add_f64 v[48:49], v[66:67], v[30:31]
	v_mul_f64 v[30:31], v[6:7], v[18:19]
	v_add_f64 v[44:45], v[64:65], v[32:33]
	v_mul_f64 v[32:33], v[4:5], v[14:15]
	v_fma_f64 v[30:31], v[4:5], v[16:17], -v[30:31]
	v_fmac_f64_e32 v[32:33], v[6:7], v[12:13]
	v_add_f64 v[58:59], v[70:71], v[30:31]
	v_mul_f64 v[30:31], v[6:7], v[22:23]
	v_add_f64 v[52:53], v[68:69], v[32:33]
	v_mul_f64 v[32:33], v[4:5], v[18:19]
	v_fma_f64 v[30:31], v[4:5], v[20:21], -v[30:31]
	v_mul_f64 v[4:5], v[4:5], v[22:23]
	v_fmac_f64_e32 v[4:5], v[6:7], v[20:21]
	v_fmac_f64_e32 v[32:33], v[6:7], v[16:17]
	v_add_f64 v[68:69], v[76:77], v[4:5]
	ds_read_b128 v[4:7], v111 offset:2080
	v_add_f64 v[66:67], v[74:75], v[30:31]
	v_add_f64 v[62:63], v[72:73], v[32:33]
	s_waitcnt lgkmcnt(0)
	v_mul_f64 v[30:31], v[6:7], v[10:11]
	v_fma_f64 v[30:31], v[4:5], v[8:9], -v[30:31]
	v_add_f64 v[38:39], v[78:79], v[30:31]
	v_mul_f64 v[30:31], v[6:7], v[14:15]
	v_mul_f64 v[32:33], v[4:5], v[10:11]
	v_fma_f64 v[30:31], v[4:5], v[12:13], -v[30:31]
	v_fmac_f64_e32 v[32:33], v[6:7], v[8:9]
	v_add_f64 v[46:47], v[82:83], v[30:31]
	v_mul_f64 v[30:31], v[6:7], v[18:19]
	v_add_f64 v[42:43], v[80:81], v[32:33]
	v_mul_f64 v[32:33], v[4:5], v[14:15]
	v_fma_f64 v[30:31], v[4:5], v[16:17], -v[30:31]
	v_fmac_f64_e32 v[32:33], v[6:7], v[12:13]
	v_add_f64 v[90:91], v[86:87], v[30:31]
	v_mul_f64 v[30:31], v[6:7], v[22:23]
	v_add_f64 v[50:51], v[84:85], v[32:33]
	v_mul_f64 v[32:33], v[4:5], v[18:19]
	v_fma_f64 v[30:31], v[4:5], v[20:21], -v[30:31]
	v_mul_f64 v[4:5], v[4:5], v[22:23]
	v_fmac_f64_e32 v[4:5], v[6:7], v[20:21]
	v_fmac_f64_e32 v[32:33], v[6:7], v[16:17]
	v_add_f64 v[96:97], v[96:97], v[4:5]
	ds_read_b128 v[4:7], v111 offset:3104
	v_add_f64 v[94:95], v[94:95], v[30:31]
	v_add_f64 v[92:93], v[88:89], v[32:33]
	s_waitcnt lgkmcnt(0)
	v_mul_f64 v[30:31], v[6:7], v[10:11]
	v_mul_f64 v[10:11], v[4:5], v[10:11]
	v_fmac_f64_e32 v[10:11], v[6:7], v[8:9]
	v_fma_f64 v[30:31], v[4:5], v[8:9], -v[30:31]
	v_add_f64 v[76:77], v[60:61], v[10:11]
	v_mul_f64 v[8:9], v[6:7], v[14:15]
	v_mul_f64 v[10:11], v[4:5], v[14:15]
	v_fma_f64 v[8:9], v[4:5], v[12:13], -v[8:9]
	v_fmac_f64_e32 v[10:11], v[6:7], v[12:13]
	v_add_f64 v[86:87], v[54:55], v[8:9]
	v_add_f64 v[88:89], v[56:57], v[10:11]
	v_mul_f64 v[8:9], v[6:7], v[18:19]
	v_mul_f64 v[10:11], v[4:5], v[18:19]
	v_fma_f64 v[8:9], v[4:5], v[16:17], -v[8:9]
	v_fmac_f64_e32 v[10:11], v[6:7], v[16:17]
	ds_read_b128 v[16:19], v110 offset:3072
	ds_read_b128 v[12:15], v110 offset:3328
	v_add_f64 v[82:83], v[100:101], v[8:9]
	v_mul_f64 v[8:9], v[6:7], v[22:23]
	v_fma_f64 v[8:9], v[4:5], v[20:21], -v[8:9]
	v_mul_f64 v[4:5], v[4:5], v[22:23]
	v_add_f64 v[84:85], v[102:103], v[10:11]
	v_fmac_f64_e32 v[4:5], v[6:7], v[20:21]
	v_add_f64 v[78:79], v[104:105], v[8:9]
	ds_read_b128 v[8:11], v110 offset:3584
	v_add_f64 v[80:81], v[114:115], v[4:5]
	s_waitcnt lgkmcnt(2)
	v_mul_f64 v[4:5], v[2:3], v[18:19]
	v_mul_f64 v[6:7], v[0:1], v[18:19]
	v_fma_f64 v[4:5], v[0:1], v[16:17], -v[4:5]
	v_fmac_f64_e32 v[6:7], v[2:3], v[16:17]
	v_add_f64 v[54:55], v[116:117], v[4:5]
	v_add_f64 v[56:57], v[118:119], v[6:7]
	s_waitcnt lgkmcnt(1)
	v_mul_f64 v[4:5], v[2:3], v[14:15]
	v_mul_f64 v[6:7], v[0:1], v[14:15]
	v_fma_f64 v[4:5], v[0:1], v[12:13], -v[4:5]
	v_fmac_f64_e32 v[6:7], v[2:3], v[12:13]
	v_add_f64 v[34:35], v[120:121], v[4:5]
	;; [unrolled: 7-line block ×3, first 2 shown]
	v_add_f64 v[30:31], v[124:125], v[4:5]
	v_add_f64 v[32:33], v[126:127], v[6:7]
	ds_read_b128 v[4:7], v110 offset:3840
	s_waitcnt lgkmcnt(0)
	v_mul_f64 v[20:21], v[2:3], v[6:7]
	v_fma_f64 v[20:21], v[0:1], v[4:5], -v[20:21]
	v_mul_f64 v[0:1], v[0:1], v[6:7]
	v_fmac_f64_e32 v[0:1], v[2:3], v[4:5]
	v_add_f64 v[22:23], v[130:131], v[0:1]
	ds_read_b128 v[0:3], v111 offset:1072
	v_add_f64 v[20:21], v[128:129], v[20:21]
	s_waitcnt lgkmcnt(0)
	v_mul_f64 v[60:61], v[2:3], v[18:19]
	v_fma_f64 v[60:61], v[0:1], v[16:17], -v[60:61]
	v_add_f64 v[70:71], v[40:41], v[60:61]
	v_mul_f64 v[40:41], v[2:3], v[14:15]
	v_mul_f64 v[64:65], v[0:1], v[18:19]
	v_fma_f64 v[40:41], v[0:1], v[12:13], -v[40:41]
	v_fmac_f64_e32 v[64:65], v[2:3], v[16:17]
	v_add_f64 v[60:61], v[48:49], v[40:41]
	v_mul_f64 v[40:41], v[2:3], v[10:11]
	v_add_f64 v[72:73], v[44:45], v[64:65]
	v_mul_f64 v[44:45], v[0:1], v[14:15]
	v_fma_f64 v[40:41], v[0:1], v[8:9], -v[40:41]
	v_fmac_f64_e32 v[44:45], v[2:3], v[12:13]
	v_add_f64 v[48:49], v[58:59], v[40:41]
	v_mul_f64 v[40:41], v[2:3], v[6:7]
	v_add_f64 v[64:65], v[52:53], v[44:45]
	v_mul_f64 v[44:45], v[0:1], v[10:11]
	v_fma_f64 v[40:41], v[0:1], v[4:5], -v[40:41]
	v_mul_f64 v[0:1], v[0:1], v[6:7]
	v_fmac_f64_e32 v[44:45], v[2:3], v[8:9]
	v_fmac_f64_e32 v[0:1], v[2:3], v[4:5]
	v_add_f64 v[52:53], v[62:63], v[44:45]
	v_add_f64 v[44:45], v[68:69], v[0:1]
	ds_read_b128 v[0:3], v111 offset:2096
	v_add_f64 v[40:41], v[66:67], v[40:41]
	s_waitcnt lgkmcnt(0)
	v_mul_f64 v[58:59], v[2:3], v[18:19]
	v_fma_f64 v[58:59], v[0:1], v[16:17], -v[58:59]
	v_add_f64 v[66:67], v[38:39], v[58:59]
	v_mul_f64 v[38:39], v[2:3], v[14:15]
	v_mul_f64 v[62:63], v[0:1], v[18:19]
	v_fma_f64 v[38:39], v[0:1], v[12:13], -v[38:39]
	v_fmac_f64_e32 v[62:63], v[2:3], v[16:17]
	v_add_f64 v[58:59], v[46:47], v[38:39]
	v_mul_f64 v[38:39], v[2:3], v[10:11]
	v_add_f64 v[68:69], v[42:43], v[62:63]
	v_mul_f64 v[42:43], v[0:1], v[14:15]
	v_fma_f64 v[38:39], v[0:1], v[8:9], -v[38:39]
	v_fmac_f64_e32 v[42:43], v[2:3], v[12:13]
	v_add_f64 v[46:47], v[90:91], v[38:39]
	v_mul_f64 v[38:39], v[2:3], v[6:7]
	v_add_f64 v[62:63], v[50:51], v[42:43]
	v_mul_f64 v[42:43], v[0:1], v[10:11]
	v_fma_f64 v[38:39], v[0:1], v[4:5], -v[38:39]
	v_mul_f64 v[0:1], v[0:1], v[6:7]
	v_fmac_f64_e32 v[42:43], v[2:3], v[8:9]
	v_fmac_f64_e32 v[0:1], v[2:3], v[4:5]
	v_add_f64 v[50:51], v[92:93], v[42:43]
	v_add_f64 v[42:43], v[96:97], v[0:1]
	ds_read_b128 v[0:3], v111 offset:3120
	v_add_f64 v[38:39], v[94:95], v[38:39]
	s_waitcnt lgkmcnt(0)
	s_barrier
	v_mul_f64 v[90:91], v[2:3], v[18:19]
	v_mul_f64 v[18:19], v[0:1], v[18:19]
	v_fma_f64 v[90:91], v[0:1], v[16:17], -v[90:91]
	v_fmac_f64_e32 v[18:19], v[2:3], v[16:17]
	v_mul_f64 v[16:17], v[2:3], v[14:15]
	v_mul_f64 v[14:15], v[0:1], v[14:15]
	v_fma_f64 v[16:17], v[0:1], v[12:13], -v[16:17]
	v_fmac_f64_e32 v[14:15], v[2:3], v[12:13]
	;; [unrolled: 4-line block ×3, first 2 shown]
	v_mul_f64 v[8:9], v[2:3], v[6:7]
	v_fma_f64 v[8:9], v[0:1], v[4:5], -v[8:9]
	v_mul_f64 v[0:1], v[0:1], v[6:7]
	v_fmac_f64_e32 v[0:1], v[2:3], v[4:5]
	v_add_f64 v[74:75], v[74:75], v[90:91]
	v_add_f64 v[76:77], v[76:77], v[18:19]
	;; [unrolled: 1-line block ×8, first 2 shown]
	s_cbranch_vccnz .LBB269_2
	s_branch .LBB269_4
.LBB269_3:
	v_pk_mov_b32 v[54:55], 0, 0
	v_pk_mov_b32 v[56:57], 0, 0
	;; [unrolled: 1-line block ×32, first 2 shown]
.LBB269_4:
	s_load_dwordx2 s[4:5], s[4:5], 0x90
	v_mov_b32_e32 v0, s7
	v_add_co_u32_e32 v6, vcc, s6, v107
	v_addc_co_u32_e32 v7, vcc, 0, v0, vcc
	s_waitcnt lgkmcnt(0)
	s_lshl_b64 s[4:5], s[4:5], 4
	s_add_u32 s7, s8, s4
	v_cmp_neq_f64_e64 s[10:11], s[14:15], 0
	v_cmp_neq_f64_e64 s[12:13], s[16:17], 0
	v_mov_b32_e32 v1, s3
	v_add_co_u32_e32 v0, vcc, s2, v106
	s_addc_u32 s8, s9, s5
	s_or_b64 s[10:11], s[10:11], s[12:13]
	v_addc_co_u32_e32 v1, vcc, 0, v1, vcc
	s_mov_b64 s[4:5], 0
	s_and_b64 vcc, exec, s[10:11]
	s_cbranch_vccnz .LBB269_6
; %bb.5:
	v_mul_lo_u32 v4, v7, s26
	v_mul_lo_u32 v5, v6, s27
	v_mad_u64_u32 v[2:3], s[2:3], v6, s26, 0
	v_add3_u32 v3, v3, v5, v4
	v_lshlrev_b64 v[2:3], 4, v[2:3]
	v_mov_b32_e32 v4, s8
	v_add_co_u32_e32 v26, vcc, s7, v2
	v_addc_co_u32_e32 v27, vcc, v4, v3, vcc
	v_lshlrev_b64 v[24:25], 4, v[0:1]
	v_mul_f64 v[2:3], s[40:41], v[56:57]
	v_mul_f64 v[4:5], s[38:39], v[56:57]
	v_add_co_u32_e32 v24, vcc, v26, v24
	v_fma_f64 v[2:3], s[38:39], v[54:55], -v[2:3]
	v_fmac_f64_e32 v[4:5], s[40:41], v[54:55]
	v_addc_co_u32_e32 v25, vcc, v27, v25, vcc
	global_store_dwordx4 v[24:25], v[2:5], off
	s_lshl_b64 s[2:3], s[26:27], 8
	v_mul_f64 v[2:3], s[40:41], v[36:37]
	v_mul_f64 v[4:5], s[38:39], v[36:37]
	v_fma_f64 v[2:3], s[38:39], v[34:35], -v[2:3]
	v_fmac_f64_e32 v[4:5], s[40:41], v[34:35]
	global_store_dwordx4 v[24:25], v[2:5], off offset:256
	v_mov_b32_e32 v26, s3
	v_mul_f64 v[2:3], s[40:41], v[32:33]
	v_mul_f64 v[4:5], s[38:39], v[32:33]
	v_fma_f64 v[2:3], s[38:39], v[30:31], -v[2:3]
	v_fmac_f64_e32 v[4:5], s[40:41], v[30:31]
	global_store_dwordx4 v[24:25], v[2:5], off offset:512
	s_nop 0
	v_mul_f64 v[2:3], s[40:41], v[22:23]
	v_mul_f64 v[4:5], s[38:39], v[22:23]
	v_fma_f64 v[2:3], s[38:39], v[20:21], -v[2:3]
	v_fmac_f64_e32 v[4:5], s[40:41], v[20:21]
	global_store_dwordx4 v[24:25], v[2:5], off offset:768
	v_add_co_u32_e32 v24, vcc, s2, v24
	v_mul_f64 v[2:3], s[40:41], v[72:73]
	v_mul_f64 v[4:5], s[38:39], v[72:73]
	v_fma_f64 v[2:3], s[38:39], v[70:71], -v[2:3]
	v_fmac_f64_e32 v[4:5], s[40:41], v[70:71]
	v_addc_co_u32_e32 v25, vcc, v25, v26, vcc
	global_store_dwordx4 v[24:25], v[2:5], off
	s_nop 0
	v_mul_f64 v[2:3], s[40:41], v[64:65]
	v_mul_f64 v[4:5], s[38:39], v[64:65]
	v_fma_f64 v[2:3], s[38:39], v[60:61], -v[2:3]
	v_fmac_f64_e32 v[4:5], s[40:41], v[60:61]
	global_store_dwordx4 v[24:25], v[2:5], off offset:256
	s_nop 0
	v_mul_f64 v[2:3], s[40:41], v[52:53]
	v_mul_f64 v[4:5], s[38:39], v[52:53]
	v_fma_f64 v[2:3], s[38:39], v[48:49], -v[2:3]
	v_fmac_f64_e32 v[4:5], s[40:41], v[48:49]
	global_store_dwordx4 v[24:25], v[2:5], off offset:512
	s_nop 0
	v_mul_f64 v[2:3], s[40:41], v[44:45]
	v_mul_f64 v[4:5], s[38:39], v[44:45]
	v_fma_f64 v[2:3], s[38:39], v[40:41], -v[2:3]
	v_fmac_f64_e32 v[4:5], s[40:41], v[40:41]
	global_store_dwordx4 v[24:25], v[2:5], off offset:768
	v_add_co_u32_e32 v24, vcc, s2, v24
	v_mul_f64 v[2:3], s[40:41], v[68:69]
	v_mul_f64 v[4:5], s[38:39], v[68:69]
	v_fma_f64 v[2:3], s[38:39], v[66:67], -v[2:3]
	v_fmac_f64_e32 v[4:5], s[40:41], v[66:67]
	v_addc_co_u32_e32 v25, vcc, v25, v26, vcc
	global_store_dwordx4 v[24:25], v[2:5], off
	s_nop 0
	v_mul_f64 v[2:3], s[40:41], v[62:63]
	v_mul_f64 v[4:5], s[38:39], v[62:63]
	v_fma_f64 v[2:3], s[38:39], v[58:59], -v[2:3]
	v_fmac_f64_e32 v[4:5], s[40:41], v[58:59]
	global_store_dwordx4 v[24:25], v[2:5], off offset:256
	s_nop 0
	;; [unrolled: 25-line block ×3, first 2 shown]
	v_mul_f64 v[2:3], s[40:41], v[14:15]
	v_mul_f64 v[4:5], s[38:39], v[14:15]
	v_fma_f64 v[2:3], s[38:39], v[12:13], -v[2:3]
	v_fmac_f64_e32 v[4:5], s[40:41], v[12:13]
	global_store_dwordx4 v[24:25], v[2:5], off offset:512
	s_nop 0
	v_mul_f64 v[2:3], s[40:41], v[8:9]
	v_fma_f64 v[26:27], s[38:39], v[10:11], -v[2:3]
	v_mul_f64 v[4:5], s[38:39], v[8:9]
	v_add_co_u32_e32 v2, vcc, 0x300, v24
	v_fmac_f64_e32 v[4:5], s[40:41], v[10:11]
	v_addc_co_u32_e32 v3, vcc, 0, v25, vcc
	global_store_dwordx2 v[24:25], v[26:27], off offset:768
	s_andn2_b64 vcc, exec, s[4:5]
	s_cbranch_vccz .LBB269_7
	s_branch .LBB269_8
.LBB269_6:
                                        ; implicit-def: $vgpr4_vgpr5
                                        ; implicit-def: $vgpr2_vgpr3
.LBB269_7:
	s_lshl_b64 s[2:3], s[22:23], 4
	s_add_u32 s2, s0, s2
	s_addc_u32 s3, s1, s3
	v_mul_lo_u32 v4, v7, s20
	v_mul_lo_u32 v5, v6, s21
	v_mad_u64_u32 v[2:3], s[0:1], v6, s20, 0
	v_add3_u32 v3, v3, v5, v4
	v_lshlrev_b64 v[2:3], 4, v[2:3]
	v_mov_b32_e32 v4, s3
	v_add_co_u32_e32 v2, vcc, s2, v2
	v_addc_co_u32_e32 v3, vcc, v4, v3, vcc
	v_lshlrev_b64 v[4:5], 4, v[0:1]
	v_add_co_u32_e32 v24, vcc, v2, v4
	v_addc_co_u32_e32 v25, vcc, v3, v5, vcc
	global_load_dwordx4 v[0:3], v[24:25], off
	v_mul_lo_u32 v78, v7, s26
	v_mul_lo_u32 v79, v6, s27
	v_mad_u64_u32 v[6:7], s[0:1], v6, s26, 0
	v_add3_u32 v7, v7, v79, v78
	v_lshlrev_b64 v[6:7], 4, v[6:7]
	v_mov_b32_e32 v80, s8
	v_add_co_u32_e32 v6, vcc, s7, v6
	v_addc_co_u32_e32 v7, vcc, v80, v7, vcc
	v_add_co_u32_e32 v4, vcc, v6, v4
	v_mul_f64 v[26:27], s[40:41], v[56:57]
	v_mul_f64 v[28:29], s[38:39], v[56:57]
	v_addc_co_u32_e32 v5, vcc, v7, v5, vcc
	v_fma_f64 v[26:27], s[38:39], v[54:55], -v[26:27]
	v_fmac_f64_e32 v[28:29], s[40:41], v[54:55]
	s_lshl_b64 s[0:1], s[20:21], 8
	s_lshl_b64 s[2:3], s[26:27], 8
	s_waitcnt vmcnt(0)
	v_mul_f64 v[6:7], s[16:17], v[2:3]
	v_mul_f64 v[2:3], s[14:15], v[2:3]
	v_fma_f64 v[6:7], s[14:15], v[0:1], -v[6:7]
	v_fmac_f64_e32 v[2:3], s[16:17], v[0:1]
	v_add_f64 v[0:1], v[26:27], v[6:7]
	v_add_f64 v[2:3], v[28:29], v[2:3]
	global_store_dwordx4 v[4:5], v[0:3], off
	global_load_dwordx4 v[0:3], v[24:25], off offset:256
	v_mul_f64 v[6:7], s[40:41], v[36:37]
	v_mul_f64 v[26:27], s[38:39], v[36:37]
	v_fma_f64 v[6:7], s[38:39], v[34:35], -v[6:7]
	v_fmac_f64_e32 v[26:27], s[40:41], v[34:35]
	s_waitcnt vmcnt(0)
	v_mul_f64 v[28:29], s[16:17], v[2:3]
	v_mul_f64 v[2:3], s[14:15], v[2:3]
	v_fma_f64 v[28:29], s[14:15], v[0:1], -v[28:29]
	v_fmac_f64_e32 v[2:3], s[16:17], v[0:1]
	v_add_f64 v[0:1], v[6:7], v[28:29]
	v_add_f64 v[2:3], v[26:27], v[2:3]
	global_store_dwordx4 v[4:5], v[0:3], off offset:256
	global_load_dwordx4 v[0:3], v[24:25], off offset:512
	v_mul_f64 v[6:7], s[40:41], v[32:33]
	v_mul_f64 v[26:27], s[38:39], v[32:33]
	v_fma_f64 v[6:7], s[38:39], v[30:31], -v[6:7]
	v_fmac_f64_e32 v[26:27], s[40:41], v[30:31]
	s_waitcnt vmcnt(0)
	v_mul_f64 v[28:29], s[16:17], v[2:3]
	v_mul_f64 v[2:3], s[14:15], v[2:3]
	v_fma_f64 v[28:29], s[14:15], v[0:1], -v[28:29]
	v_fmac_f64_e32 v[2:3], s[16:17], v[0:1]
	v_add_f64 v[0:1], v[6:7], v[28:29]
	v_add_f64 v[2:3], v[26:27], v[2:3]
	global_store_dwordx4 v[4:5], v[0:3], off offset:512
	global_load_dwordx4 v[0:3], v[24:25], off offset:768
	v_mul_f64 v[6:7], s[40:41], v[22:23]
	v_mul_f64 v[22:23], s[38:39], v[22:23]
	v_fma_f64 v[6:7], s[38:39], v[20:21], -v[6:7]
	v_fmac_f64_e32 v[22:23], s[40:41], v[20:21]
	v_mov_b32_e32 v26, s1
	v_add_co_u32_e32 v20, vcc, s0, v24
	v_addc_co_u32_e32 v21, vcc, v25, v26, vcc
	v_mov_b32_e32 v27, s3
	s_waitcnt vmcnt(0)
	v_mul_f64 v[24:25], s[16:17], v[2:3]
	v_mul_f64 v[2:3], s[14:15], v[2:3]
	v_fma_f64 v[24:25], s[14:15], v[0:1], -v[24:25]
	v_fmac_f64_e32 v[2:3], s[16:17], v[0:1]
	v_add_f64 v[0:1], v[6:7], v[24:25]
	v_add_f64 v[2:3], v[22:23], v[2:3]
	global_store_dwordx4 v[4:5], v[0:3], off offset:768
	global_load_dwordx4 v[0:3], v[20:21], off
	v_mul_f64 v[6:7], s[40:41], v[72:73]
	v_mul_f64 v[22:23], s[38:39], v[72:73]
	v_fma_f64 v[6:7], s[38:39], v[70:71], -v[6:7]
	v_fmac_f64_e32 v[22:23], s[40:41], v[70:71]
	v_add_co_u32_e32 v4, vcc, s2, v4
	v_addc_co_u32_e32 v5, vcc, v5, v27, vcc
	s_waitcnt vmcnt(0)
	v_mul_f64 v[24:25], s[16:17], v[2:3]
	v_mul_f64 v[2:3], s[14:15], v[2:3]
	v_fma_f64 v[24:25], s[14:15], v[0:1], -v[24:25]
	v_fmac_f64_e32 v[2:3], s[16:17], v[0:1]
	v_add_f64 v[0:1], v[6:7], v[24:25]
	v_add_f64 v[2:3], v[22:23], v[2:3]
	global_store_dwordx4 v[4:5], v[0:3], off
	global_load_dwordx4 v[0:3], v[20:21], off offset:256
	v_mul_f64 v[6:7], s[40:41], v[64:65]
	v_mul_f64 v[22:23], s[38:39], v[64:65]
	v_fma_f64 v[6:7], s[38:39], v[60:61], -v[6:7]
	v_fmac_f64_e32 v[22:23], s[40:41], v[60:61]
	s_waitcnt vmcnt(0)
	v_mul_f64 v[24:25], s[16:17], v[2:3]
	v_mul_f64 v[2:3], s[14:15], v[2:3]
	v_fma_f64 v[24:25], s[14:15], v[0:1], -v[24:25]
	v_fmac_f64_e32 v[2:3], s[16:17], v[0:1]
	v_add_f64 v[0:1], v[6:7], v[24:25]
	v_add_f64 v[2:3], v[22:23], v[2:3]
	global_store_dwordx4 v[4:5], v[0:3], off offset:256
	global_load_dwordx4 v[0:3], v[20:21], off offset:512
	v_mul_f64 v[6:7], s[40:41], v[52:53]
	v_mul_f64 v[22:23], s[38:39], v[52:53]
	v_fma_f64 v[6:7], s[38:39], v[48:49], -v[6:7]
	v_fmac_f64_e32 v[22:23], s[40:41], v[48:49]
	s_waitcnt vmcnt(0)
	v_mul_f64 v[24:25], s[16:17], v[2:3]
	v_mul_f64 v[2:3], s[14:15], v[2:3]
	v_fma_f64 v[24:25], s[14:15], v[0:1], -v[24:25]
	v_fmac_f64_e32 v[2:3], s[16:17], v[0:1]
	v_add_f64 v[0:1], v[6:7], v[24:25]
	v_add_f64 v[2:3], v[22:23], v[2:3]
	global_store_dwordx4 v[4:5], v[0:3], off offset:512
	global_load_dwordx4 v[0:3], v[20:21], off offset:768
	v_mul_f64 v[6:7], s[40:41], v[44:45]
	v_mul_f64 v[22:23], s[38:39], v[44:45]
	v_fma_f64 v[6:7], s[38:39], v[40:41], -v[6:7]
	v_fmac_f64_e32 v[22:23], s[40:41], v[40:41]
	v_add_co_u32_e32 v20, vcc, s0, v20
	v_addc_co_u32_e32 v21, vcc, v21, v26, vcc
	s_waitcnt vmcnt(0)
	v_mul_f64 v[24:25], s[16:17], v[2:3]
	v_mul_f64 v[2:3], s[14:15], v[2:3]
	v_fma_f64 v[24:25], s[14:15], v[0:1], -v[24:25]
	v_fmac_f64_e32 v[2:3], s[16:17], v[0:1]
	v_add_f64 v[0:1], v[6:7], v[24:25]
	v_add_f64 v[2:3], v[22:23], v[2:3]
	global_store_dwordx4 v[4:5], v[0:3], off offset:768
	global_load_dwordx4 v[0:3], v[20:21], off
	v_mul_f64 v[6:7], s[40:41], v[68:69]
	v_mul_f64 v[22:23], s[38:39], v[68:69]
	v_fma_f64 v[6:7], s[38:39], v[66:67], -v[6:7]
	v_fmac_f64_e32 v[22:23], s[40:41], v[66:67]
	v_add_co_u32_e32 v4, vcc, s2, v4
	v_addc_co_u32_e32 v5, vcc, v5, v27, vcc
	s_waitcnt vmcnt(0)
	v_mul_f64 v[24:25], s[16:17], v[2:3]
	v_mul_f64 v[2:3], s[14:15], v[2:3]
	v_fma_f64 v[24:25], s[14:15], v[0:1], -v[24:25]
	v_fmac_f64_e32 v[2:3], s[16:17], v[0:1]
	v_add_f64 v[0:1], v[6:7], v[24:25]
	v_add_f64 v[2:3], v[22:23], v[2:3]
	global_store_dwordx4 v[4:5], v[0:3], off
	global_load_dwordx4 v[0:3], v[20:21], off offset:256
	v_mul_f64 v[6:7], s[40:41], v[62:63]
	v_mul_f64 v[22:23], s[38:39], v[62:63]
	v_fma_f64 v[6:7], s[38:39], v[58:59], -v[6:7]
	v_fmac_f64_e32 v[22:23], s[40:41], v[58:59]
	s_waitcnt vmcnt(0)
	v_mul_f64 v[24:25], s[16:17], v[2:3]
	v_mul_f64 v[2:3], s[14:15], v[2:3]
	v_fma_f64 v[24:25], s[14:15], v[0:1], -v[24:25]
	v_fmac_f64_e32 v[2:3], s[16:17], v[0:1]
	v_add_f64 v[0:1], v[6:7], v[24:25]
	v_add_f64 v[2:3], v[22:23], v[2:3]
	global_store_dwordx4 v[4:5], v[0:3], off offset:256
	global_load_dwordx4 v[0:3], v[20:21], off offset:512
	v_mul_f64 v[6:7], s[40:41], v[50:51]
	v_mul_f64 v[22:23], s[38:39], v[50:51]
	v_fma_f64 v[6:7], s[38:39], v[46:47], -v[6:7]
	v_fmac_f64_e32 v[22:23], s[40:41], v[46:47]
	s_waitcnt vmcnt(0)
	v_mul_f64 v[24:25], s[16:17], v[2:3]
	v_mul_f64 v[2:3], s[14:15], v[2:3]
	v_fma_f64 v[24:25], s[14:15], v[0:1], -v[24:25]
	v_fmac_f64_e32 v[2:3], s[16:17], v[0:1]
	v_add_f64 v[0:1], v[6:7], v[24:25]
	v_add_f64 v[2:3], v[22:23], v[2:3]
	global_store_dwordx4 v[4:5], v[0:3], off offset:512
	global_load_dwordx4 v[0:3], v[20:21], off offset:768
	v_mul_f64 v[6:7], s[40:41], v[42:43]
	v_mul_f64 v[22:23], s[38:39], v[42:43]
	v_fma_f64 v[6:7], s[38:39], v[38:39], -v[6:7]
	v_fmac_f64_e32 v[22:23], s[40:41], v[38:39]
	v_add_co_u32_e32 v20, vcc, s0, v20
	v_addc_co_u32_e32 v21, vcc, v21, v26, vcc
	s_waitcnt vmcnt(0)
	v_mul_f64 v[24:25], s[16:17], v[2:3]
	v_mul_f64 v[2:3], s[14:15], v[2:3]
	v_fma_f64 v[24:25], s[14:15], v[0:1], -v[24:25]
	v_fmac_f64_e32 v[2:3], s[16:17], v[0:1]
	v_add_f64 v[0:1], v[6:7], v[24:25]
	v_add_f64 v[2:3], v[22:23], v[2:3]
	global_store_dwordx4 v[4:5], v[0:3], off offset:768
	global_load_dwordx4 v[0:3], v[20:21], off
	v_add_co_u32_e32 v24, vcc, s2, v4
	v_mul_f64 v[6:7], s[40:41], v[76:77]
	v_mul_f64 v[22:23], s[38:39], v[76:77]
	v_addc_co_u32_e32 v25, vcc, v5, v27, vcc
	v_fma_f64 v[6:7], s[38:39], v[74:75], -v[6:7]
	v_fmac_f64_e32 v[22:23], s[40:41], v[74:75]
	s_waitcnt vmcnt(0)
	v_mul_f64 v[4:5], s[16:17], v[2:3]
	v_mul_f64 v[2:3], s[14:15], v[2:3]
	v_fma_f64 v[4:5], s[14:15], v[0:1], -v[4:5]
	v_fmac_f64_e32 v[2:3], s[16:17], v[0:1]
	v_add_f64 v[0:1], v[6:7], v[4:5]
	v_add_f64 v[2:3], v[22:23], v[2:3]
	global_store_dwordx4 v[24:25], v[0:3], off
	global_load_dwordx4 v[0:3], v[20:21], off offset:256
	v_mul_f64 v[4:5], s[40:41], v[18:19]
	v_mul_f64 v[6:7], s[38:39], v[18:19]
	v_fma_f64 v[4:5], s[38:39], v[16:17], -v[4:5]
	v_fmac_f64_e32 v[6:7], s[40:41], v[16:17]
	s_waitcnt vmcnt(0)
	v_mul_f64 v[16:17], s[16:17], v[2:3]
	v_mul_f64 v[2:3], s[14:15], v[2:3]
	v_fma_f64 v[16:17], s[14:15], v[0:1], -v[16:17]
	v_fmac_f64_e32 v[2:3], s[16:17], v[0:1]
	v_add_f64 v[0:1], v[4:5], v[16:17]
	v_add_f64 v[2:3], v[6:7], v[2:3]
	global_store_dwordx4 v[24:25], v[0:3], off offset:256
	global_load_dwordx4 v[0:3], v[20:21], off offset:512
	v_mul_f64 v[4:5], s[40:41], v[14:15]
	v_mul_f64 v[6:7], s[38:39], v[14:15]
	v_fma_f64 v[4:5], s[38:39], v[12:13], -v[4:5]
	v_fmac_f64_e32 v[6:7], s[40:41], v[12:13]
	s_waitcnt vmcnt(0)
	v_mul_f64 v[12:13], s[16:17], v[2:3]
	v_mul_f64 v[2:3], s[14:15], v[2:3]
	v_fma_f64 v[12:13], s[14:15], v[0:1], -v[12:13]
	v_fmac_f64_e32 v[2:3], s[16:17], v[0:1]
	v_add_f64 v[0:1], v[4:5], v[12:13]
	v_add_f64 v[2:3], v[6:7], v[2:3]
	global_store_dwordx4 v[24:25], v[0:3], off offset:512
	global_load_dwordx4 v[4:7], v[20:21], off offset:768
	v_mul_f64 v[0:1], s[40:41], v[8:9]
	v_mul_f64 v[8:9], s[38:39], v[8:9]
	v_fma_f64 v[0:1], s[38:39], v[10:11], -v[0:1]
	v_fmac_f64_e32 v[8:9], s[40:41], v[10:11]
	v_add_co_u32_e32 v2, vcc, 0x300, v24
	v_addc_co_u32_e32 v3, vcc, 0, v25, vcc
	s_waitcnt vmcnt(0)
	v_mul_f64 v[10:11], s[16:17], v[6:7]
	v_mul_f64 v[6:7], s[14:15], v[6:7]
	v_fma_f64 v[10:11], s[14:15], v[4:5], -v[10:11]
	v_fmac_f64_e32 v[6:7], s[16:17], v[4:5]
	v_add_f64 v[0:1], v[0:1], v[10:11]
	v_add_f64 v[4:5], v[8:9], v[6:7]
	global_store_dwordx2 v[24:25], v[0:1], off offset:768
.LBB269_8:
	global_store_dwordx2 v[2:3], v[4:5], off offset:8
	s_endpgm
	.section	.rodata,"a",@progbits
	.p2align	6, 0x0
	.amdhsa_kernel _ZN12_GLOBAL__N_127rocblas_gemm_batched_kernelI19rocblas_complex_numIdELi16ELi16ELi64ELi64ELi4ELi64ELi4ELi4ELi64ELc67ELc84EKPKS2_S5_KPS2_EEvlllT_PT11_llSA_llS8_PT12_llPT13_lli
		.amdhsa_group_segment_fixed_size 8192
		.amdhsa_private_segment_fixed_size 0
		.amdhsa_kernarg_size 156
		.amdhsa_user_sgpr_count 6
		.amdhsa_user_sgpr_private_segment_buffer 1
		.amdhsa_user_sgpr_dispatch_ptr 0
		.amdhsa_user_sgpr_queue_ptr 0
		.amdhsa_user_sgpr_kernarg_segment_ptr 1
		.amdhsa_user_sgpr_dispatch_id 0
		.amdhsa_user_sgpr_flat_scratch_init 0
		.amdhsa_user_sgpr_kernarg_preload_length 0
		.amdhsa_user_sgpr_kernarg_preload_offset 0
		.amdhsa_user_sgpr_private_segment_size 0
		.amdhsa_uses_dynamic_stack 0
		.amdhsa_system_sgpr_private_segment_wavefront_offset 0
		.amdhsa_system_sgpr_workgroup_id_x 1
		.amdhsa_system_sgpr_workgroup_id_y 1
		.amdhsa_system_sgpr_workgroup_id_z 1
		.amdhsa_system_sgpr_workgroup_info 0
		.amdhsa_system_vgpr_workitem_id 1
		.amdhsa_next_free_vgpr 138
		.amdhsa_next_free_sgpr 52
		.amdhsa_accum_offset 140
		.amdhsa_reserve_vcc 1
		.amdhsa_reserve_flat_scratch 0
		.amdhsa_float_round_mode_32 0
		.amdhsa_float_round_mode_16_64 0
		.amdhsa_float_denorm_mode_32 3
		.amdhsa_float_denorm_mode_16_64 3
		.amdhsa_dx10_clamp 1
		.amdhsa_ieee_mode 1
		.amdhsa_fp16_overflow 0
		.amdhsa_tg_split 0
		.amdhsa_exception_fp_ieee_invalid_op 0
		.amdhsa_exception_fp_denorm_src 0
		.amdhsa_exception_fp_ieee_div_zero 0
		.amdhsa_exception_fp_ieee_overflow 0
		.amdhsa_exception_fp_ieee_underflow 0
		.amdhsa_exception_fp_ieee_inexact 0
		.amdhsa_exception_int_div_zero 0
	.end_amdhsa_kernel
	.section	.text._ZN12_GLOBAL__N_127rocblas_gemm_batched_kernelI19rocblas_complex_numIdELi16ELi16ELi64ELi64ELi4ELi64ELi4ELi4ELi64ELc67ELc84EKPKS2_S5_KPS2_EEvlllT_PT11_llSA_llS8_PT12_llPT13_lli,"axG",@progbits,_ZN12_GLOBAL__N_127rocblas_gemm_batched_kernelI19rocblas_complex_numIdELi16ELi16ELi64ELi64ELi4ELi64ELi4ELi4ELi64ELc67ELc84EKPKS2_S5_KPS2_EEvlllT_PT11_llSA_llS8_PT12_llPT13_lli,comdat
.Lfunc_end269:
	.size	_ZN12_GLOBAL__N_127rocblas_gemm_batched_kernelI19rocblas_complex_numIdELi16ELi16ELi64ELi64ELi4ELi64ELi4ELi4ELi64ELc67ELc84EKPKS2_S5_KPS2_EEvlllT_PT11_llSA_llS8_PT12_llPT13_lli, .Lfunc_end269-_ZN12_GLOBAL__N_127rocblas_gemm_batched_kernelI19rocblas_complex_numIdELi16ELi16ELi64ELi64ELi4ELi64ELi4ELi4ELi64ELc67ELc84EKPKS2_S5_KPS2_EEvlllT_PT11_llSA_llS8_PT12_llPT13_lli
                                        ; -- End function
	.section	.AMDGPU.csdata,"",@progbits
; Kernel info:
; codeLenInByte = 6728
; NumSgprs: 56
; NumVgprs: 138
; NumAgprs: 0
; TotalNumVgprs: 138
; ScratchSize: 0
; MemoryBound: 0
; FloatMode: 240
; IeeeMode: 1
; LDSByteSize: 8192 bytes/workgroup (compile time only)
; SGPRBlocks: 6
; VGPRBlocks: 17
; NumSGPRsForWavesPerEU: 56
; NumVGPRsForWavesPerEU: 138
; AccumOffset: 140
; Occupancy: 3
; WaveLimiterHint : 1
; COMPUTE_PGM_RSRC2:SCRATCH_EN: 0
; COMPUTE_PGM_RSRC2:USER_SGPR: 6
; COMPUTE_PGM_RSRC2:TRAP_HANDLER: 0
; COMPUTE_PGM_RSRC2:TGID_X_EN: 1
; COMPUTE_PGM_RSRC2:TGID_Y_EN: 1
; COMPUTE_PGM_RSRC2:TGID_Z_EN: 1
; COMPUTE_PGM_RSRC2:TIDIG_COMP_CNT: 1
; COMPUTE_PGM_RSRC3_GFX90A:ACCUM_OFFSET: 34
; COMPUTE_PGM_RSRC3_GFX90A:TG_SPLIT: 0
	.section	.text._ZN12_GLOBAL__N_127rocblas_gemm_batched_kernelI19rocblas_complex_numIdELi16ELi16ELi64ELi64ELi4ELi64ELi4ELi4ELi64ELc78ELc67EKPKS2_S5_KPS2_EEvlllT_PT11_llSA_llS8_PT12_llPT13_lli,"axG",@progbits,_ZN12_GLOBAL__N_127rocblas_gemm_batched_kernelI19rocblas_complex_numIdELi16ELi16ELi64ELi64ELi4ELi64ELi4ELi4ELi64ELc78ELc67EKPKS2_S5_KPS2_EEvlllT_PT11_llSA_llS8_PT12_llPT13_lli,comdat
	.globl	_ZN12_GLOBAL__N_127rocblas_gemm_batched_kernelI19rocblas_complex_numIdELi16ELi16ELi64ELi64ELi4ELi64ELi4ELi4ELi64ELc78ELc67EKPKS2_S5_KPS2_EEvlllT_PT11_llSA_llS8_PT12_llPT13_lli ; -- Begin function _ZN12_GLOBAL__N_127rocblas_gemm_batched_kernelI19rocblas_complex_numIdELi16ELi16ELi64ELi64ELi4ELi64ELi4ELi4ELi64ELc78ELc67EKPKS2_S5_KPS2_EEvlllT_PT11_llSA_llS8_PT12_llPT13_lli
	.p2align	8
	.type	_ZN12_GLOBAL__N_127rocblas_gemm_batched_kernelI19rocblas_complex_numIdELi16ELi16ELi64ELi64ELi4ELi64ELi4ELi4ELi64ELc78ELc67EKPKS2_S5_KPS2_EEvlllT_PT11_llSA_llS8_PT12_llPT13_lli,@function
_ZN12_GLOBAL__N_127rocblas_gemm_batched_kernelI19rocblas_complex_numIdELi16ELi16ELi64ELi64ELi4ELi64ELi4ELi4ELi64ELc78ELc67EKPKS2_S5_KPS2_EEvlllT_PT11_llSA_llS8_PT12_llPT13_lli: ; @_ZN12_GLOBAL__N_127rocblas_gemm_batched_kernelI19rocblas_complex_numIdELi16ELi16ELi64ELi64ELi4ELi64ELi4ELi4ELi64ELc78ELc67EKPKS2_S5_KPS2_EEvlllT_PT11_llSA_llS8_PT12_llPT13_lli
; %bb.0:
	s_load_dwordx16 s[36:51], s[4:5], 0x10
	s_load_dwordx16 s[12:27], s[4:5], 0x50
	s_mov_b32 s9, 0
	s_lshl_b64 s[28:29], s[8:9], 3
	s_mov_b32 s10, s7
	v_bfe_u32 v107, v0, 10, 10
	s_waitcnt lgkmcnt(0)
	s_add_u32 s0, s18, s28
	s_addc_u32 s1, s19, s29
	s_add_u32 s2, s24, s28
	s_addc_u32 s3, s25, s29
	s_load_dwordx2 s[0:1], s[0:1], 0x0
	s_ashr_i32 s7, s6, 31
	s_load_dwordx2 s[8:9], s[2:3], 0x0
	s_ashr_i32 s11, s10, 31
	v_cmp_lt_i64_e64 s[18:19], s[36:37], 1
	v_and_b32_e32 v106, 0x3ff, v0
	s_lshl_b64 s[2:3], s[6:7], 6
	s_lshl_b64 s[6:7], s[10:11], 6
	s_mov_b64 s[10:11], 0
	s_and_b64 vcc, exec, s[18:19]
	s_cbranch_vccnz .LBB270_3
; %bb.1:
	v_lshl_add_u32 v4, v107, 4, v106
	s_add_u32 s18, s42, s28
	v_lshrrev_b32_e32 v5, 2, v4
	s_addc_u32 s19, s43, s29
	v_mov_b32_e32 v1, s7
	v_add_co_u32_e32 v0, vcc, s6, v5
	s_add_u32 s24, s48, s28
	v_addc_co_u32_e32 v1, vcc, 0, v1, vcc
	v_and_b32_e32 v6, 3, v106
	s_addc_u32 s25, s49, s29
	v_mad_u64_u32 v[0:1], s[28:29], v6, s50, v[0:1]
	v_mov_b32_e32 v2, v1
	v_mad_u64_u32 v[2:3], s[28:29], v6, s51, v[2:3]
	v_and_b32_e32 v7, 63, v4
	v_mov_b32_e32 v1, v2
	v_lshrrev_b32_e32 v8, 6, v4
	v_lshlrev_b32_e32 v2, 4, v7
	v_lshl_or_b32 v108, v8, 10, v2
	v_lshlrev_b32_e32 v2, 4, v6
	v_lshl_or_b32 v2, v5, 6, v2
	v_add_u32_e32 v109, 0x1000, v2
	v_mov_b32_e32 v2, 0x1000
	s_load_dwordx2 s[18:19], s[18:19], 0x0
	v_lshl_add_u32 v111, v107, 6, v2
	v_pk_mov_b32 v[2:3], s[2:3], s[2:3] op_sel:[0,1]
	v_mad_u64_u32 v[2:3], s[30:31], v8, s44, v[2:3]
	v_mov_b32_e32 v4, v3
	s_load_dwordx2 s[24:25], s[24:25], 0x0
	v_mad_u64_u32 v[4:5], s[30:31], v8, s45, v[4:5]
	s_lshl_b64 s[28:29], s[46:47], 4
	v_mov_b32_e32 v3, v4
	v_add_co_u32_e32 v2, vcc, v2, v7
	v_addc_co_u32_e32 v3, vcc, 0, v3, vcc
	s_waitcnt lgkmcnt(0)
	s_add_u32 s18, s18, s28
	v_lshlrev_b64 v[2:3], 4, v[2:3]
	s_addc_u32 s19, s19, s29
	v_mov_b32_e32 v4, s19
	v_add_co_u32_e32 v24, vcc, s18, v2
	s_lshl_b64 s[18:19], s[44:45], 6
	s_lshl_b64 s[12:13], s[12:13], 4
	s_add_u32 s12, s24, s12
	v_addc_co_u32_e32 v25, vcc, v4, v3, vcc
	v_lshlrev_b64 v[0:1], 4, v[0:1]
	s_addc_u32 s13, s25, s13
	v_mov_b32_e32 v2, s13
	v_add_co_u32_e32 v0, vcc, s12, v0
	v_addc_co_u32_e32 v1, vcc, v2, v1, vcc
	v_add_co_u32_e32 v26, vcc, 8, v0
	s_lshl_b64 s[12:13], s[50:51], 6
	v_lshlrev_b32_e32 v110, 4, v106
	v_addc_co_u32_e32 v27, vcc, 0, v1, vcc
	v_pk_mov_b32 v[8:9], 0, 0
	v_mov_b32_e32 v112, s19
	v_mov_b32_e32 v113, s13
	v_pk_mov_b32 v[28:29], s[36:37], s[36:37] op_sel:[0,1]
	v_pk_mov_b32 v[10:11], 0, 0
	v_pk_mov_b32 v[14:15], 0, 0
	;; [unrolled: 1-line block ×31, first 2 shown]
.LBB270_2:                              ; =>This Inner Loop Header: Depth=1
	global_load_dwordx4 v[0:3], v[24:25], off
	v_add_co_u32_e32 v24, vcc, s18, v24
	v_addc_co_u32_e32 v25, vcc, v25, v112, vcc
	s_add_u32 s10, s10, 4
	s_addc_u32 s11, s11, 0
	s_waitcnt vmcnt(0)
	ds_write2_b64 v108, v[0:1], v[2:3] offset1:1
	global_load_dwordx4 v[0:3], v[26:27], off offset:-8
	v_add_co_u32_e32 v26, vcc, s12, v26
	v_addc_co_u32_e32 v27, vcc, v27, v113, vcc
	v_cmp_lt_i64_e32 vcc, s[10:11], v[28:29]
	s_and_b64 vcc, exec, vcc
	s_waitcnt vmcnt(0)
	v_xor_b32_e32 v3, 0x80000000, v3
	ds_write_b128 v109, v[0:3]
	s_waitcnt lgkmcnt(0)
	s_barrier
	ds_read_b128 v[78:81], v111
	ds_read_b128 v[114:117], v111 offset:16
	ds_read_b128 v[4:7], v111 offset:32
	ds_read_b128 v[0:3], v111 offset:48
	ds_read_b128 v[118:121], v110
	s_waitcnt lgkmcnt(0)
	v_mul_f64 v[82:83], v[80:81], v[120:121]
	v_mul_f64 v[84:85], v[78:79], v[120:121]
	v_fma_f64 v[82:83], v[78:79], v[118:119], -v[82:83]
	v_fmac_f64_e32 v[84:85], v[80:81], v[118:119]
	v_add_f64 v[122:123], v[54:55], v[82:83]
	v_add_f64 v[124:125], v[56:57], v[84:85]
	ds_read_b128 v[54:57], v110 offset:256
	s_waitcnt lgkmcnt(0)
	v_mul_f64 v[82:83], v[80:81], v[56:57]
	v_mul_f64 v[84:85], v[78:79], v[56:57]
	v_fma_f64 v[82:83], v[78:79], v[54:55], -v[82:83]
	v_fmac_f64_e32 v[84:85], v[80:81], v[54:55]
	v_add_f64 v[126:127], v[34:35], v[82:83]
	v_add_f64 v[128:129], v[36:37], v[84:85]
	ds_read_b128 v[34:37], v110 offset:512
	;; [unrolled: 8-line block ×3, first 2 shown]
	s_waitcnt lgkmcnt(0)
	v_mul_f64 v[82:83], v[80:81], v[32:33]
	v_fma_f64 v[82:83], v[78:79], v[30:31], -v[82:83]
	v_mul_f64 v[78:79], v[78:79], v[32:33]
	v_fmac_f64_e32 v[78:79], v[80:81], v[30:31]
	v_add_f64 v[134:135], v[20:21], v[82:83]
	v_add_f64 v[136:137], v[22:23], v[78:79]
	ds_read_b128 v[20:23], v111 offset:1024
	s_waitcnt lgkmcnt(0)
	v_mul_f64 v[78:79], v[22:23], v[120:121]
	v_fma_f64 v[78:79], v[20:21], v[118:119], -v[78:79]
	v_add_f64 v[70:71], v[70:71], v[78:79]
	v_mul_f64 v[78:79], v[22:23], v[56:57]
	v_mul_f64 v[80:81], v[20:21], v[120:121]
	v_fma_f64 v[78:79], v[20:21], v[54:55], -v[78:79]
	v_fmac_f64_e32 v[80:81], v[22:23], v[118:119]
	v_add_f64 v[94:95], v[60:61], v[78:79]
	v_mul_f64 v[60:61], v[22:23], v[36:37]
	v_add_f64 v[72:73], v[72:73], v[80:81]
	v_mul_f64 v[80:81], v[20:21], v[56:57]
	v_fma_f64 v[60:61], v[20:21], v[34:35], -v[60:61]
	v_fmac_f64_e32 v[80:81], v[22:23], v[54:55]
	v_add_f64 v[98:99], v[48:49], v[60:61]
	v_mul_f64 v[48:49], v[22:23], v[32:33]
	v_add_f64 v[96:97], v[64:65], v[80:81]
	v_mul_f64 v[64:65], v[20:21], v[36:37]
	v_fma_f64 v[48:49], v[20:21], v[30:31], -v[48:49]
	v_mul_f64 v[20:21], v[20:21], v[32:33]
	v_fmac_f64_e32 v[20:21], v[22:23], v[30:31]
	v_fmac_f64_e32 v[64:65], v[22:23], v[34:35]
	v_add_f64 v[104:105], v[44:45], v[20:21]
	ds_read_b128 v[20:23], v111 offset:2048
	v_add_f64 v[102:103], v[40:41], v[48:49]
	v_add_f64 v[100:101], v[52:53], v[64:65]
	s_waitcnt lgkmcnt(0)
	v_mul_f64 v[40:41], v[22:23], v[120:121]
	v_fma_f64 v[40:41], v[20:21], v[118:119], -v[40:41]
	v_add_f64 v[78:79], v[66:67], v[40:41]
	v_mul_f64 v[40:41], v[22:23], v[56:57]
	v_mul_f64 v[44:45], v[20:21], v[120:121]
	v_fma_f64 v[40:41], v[20:21], v[54:55], -v[40:41]
	v_fmac_f64_e32 v[44:45], v[22:23], v[118:119]
	v_add_f64 v[82:83], v[58:59], v[40:41]
	v_mul_f64 v[40:41], v[22:23], v[36:37]
	v_add_f64 v[80:81], v[68:69], v[44:45]
	v_mul_f64 v[44:45], v[20:21], v[56:57]
	v_fma_f64 v[40:41], v[20:21], v[34:35], -v[40:41]
	v_fmac_f64_e32 v[44:45], v[22:23], v[54:55]
	v_add_f64 v[86:87], v[46:47], v[40:41]
	v_mul_f64 v[40:41], v[22:23], v[32:33]
	v_add_f64 v[84:85], v[62:63], v[44:45]
	v_mul_f64 v[44:45], v[20:21], v[36:37]
	v_fma_f64 v[40:41], v[20:21], v[30:31], -v[40:41]
	v_mul_f64 v[20:21], v[20:21], v[32:33]
	v_fmac_f64_e32 v[20:21], v[22:23], v[30:31]
	v_fmac_f64_e32 v[44:45], v[22:23], v[34:35]
	v_add_f64 v[92:93], v[42:43], v[20:21]
	ds_read_b128 v[20:23], v111 offset:3072
	v_add_f64 v[90:91], v[38:39], v[40:41]
	v_add_f64 v[88:89], v[50:51], v[44:45]
	s_waitcnt lgkmcnt(0)
	v_mul_f64 v[38:39], v[22:23], v[120:121]
	v_mul_f64 v[40:41], v[20:21], v[120:121]
	v_fma_f64 v[38:39], v[20:21], v[118:119], -v[38:39]
	v_fmac_f64_e32 v[40:41], v[22:23], v[118:119]
	v_add_f64 v[58:59], v[74:75], v[38:39]
	v_add_f64 v[60:61], v[76:77], v[40:41]
	v_mul_f64 v[38:39], v[22:23], v[56:57]
	v_mul_f64 v[40:41], v[20:21], v[56:57]
	v_fma_f64 v[38:39], v[20:21], v[54:55], -v[38:39]
	v_fmac_f64_e32 v[40:41], v[22:23], v[54:55]
	v_add_f64 v[54:55], v[16:17], v[38:39]
	v_add_f64 v[56:57], v[18:19], v[40:41]
	;; [unrolled: 6-line block ×3, first 2 shown]
	v_mul_f64 v[12:13], v[22:23], v[32:33]
	v_mul_f64 v[14:15], v[20:21], v[32:33]
	v_fma_f64 v[12:13], v[20:21], v[30:31], -v[12:13]
	v_fmac_f64_e32 v[14:15], v[22:23], v[30:31]
	ds_read_b128 v[20:23], v110 offset:1024
	ds_read_b128 v[16:19], v110 offset:1280
	v_add_f64 v[46:47], v[10:11], v[12:13]
	v_add_f64 v[48:49], v[8:9], v[14:15]
	ds_read_b128 v[12:15], v110 offset:1536
	ds_read_b128 v[74:77], v111 offset:1040
	s_waitcnt lgkmcnt(3)
	v_mul_f64 v[8:9], v[116:117], v[22:23]
	v_mul_f64 v[10:11], v[114:115], v[22:23]
	v_fma_f64 v[8:9], v[114:115], v[20:21], -v[8:9]
	v_fmac_f64_e32 v[10:11], v[116:117], v[20:21]
	v_add_f64 v[42:43], v[122:123], v[8:9]
	v_add_f64 v[44:45], v[124:125], v[10:11]
	s_waitcnt lgkmcnt(2)
	v_mul_f64 v[8:9], v[116:117], v[18:19]
	v_mul_f64 v[10:11], v[114:115], v[18:19]
	v_fma_f64 v[8:9], v[114:115], v[16:17], -v[8:9]
	v_fmac_f64_e32 v[10:11], v[116:117], v[16:17]
	v_add_f64 v[38:39], v[126:127], v[8:9]
	v_add_f64 v[40:41], v[128:129], v[10:11]
	;; [unrolled: 7-line block ×3, first 2 shown]
	ds_read_b128 v[8:11], v110 offset:1792
	s_waitcnt lgkmcnt(1)
	v_mul_f64 v[66:67], v[76:77], v[18:19]
	v_mul_f64 v[68:69], v[74:75], v[18:19]
	;; [unrolled: 1-line block ×4, first 2 shown]
	v_fma_f64 v[66:67], v[74:75], v[16:17], -v[66:67]
	v_fmac_f64_e32 v[68:69], v[76:77], v[16:17]
	v_fma_f64 v[62:63], v[74:75], v[20:21], -v[62:63]
	v_fmac_f64_e32 v[64:65], v[76:77], v[20:21]
	v_add_f64 v[66:67], v[94:95], v[66:67]
	v_add_f64 v[68:69], v[96:97], v[68:69]
	s_waitcnt lgkmcnt(0)
	v_mul_f64 v[94:95], v[76:77], v[10:11]
	v_mul_f64 v[96:97], v[74:75], v[10:11]
	v_add_f64 v[62:63], v[70:71], v[62:63]
	v_add_f64 v[64:65], v[72:73], v[64:65]
	v_mul_f64 v[70:71], v[76:77], v[14:15]
	v_mul_f64 v[72:73], v[74:75], v[14:15]
	v_fma_f64 v[94:95], v[74:75], v[8:9], -v[94:95]
	v_fmac_f64_e32 v[96:97], v[76:77], v[8:9]
	v_fma_f64 v[70:71], v[74:75], v[12:13], -v[70:71]
	v_fmac_f64_e32 v[72:73], v[76:77], v[12:13]
	v_add_f64 v[74:75], v[102:103], v[94:95]
	v_add_f64 v[76:77], v[104:105], v[96:97]
	ds_read_b128 v[94:97], v111 offset:2064
	v_add_f64 v[70:71], v[98:99], v[70:71]
	v_add_f64 v[72:73], v[100:101], v[72:73]
	v_mul_f64 v[30:31], v[116:117], v[10:11]
	v_mul_f64 v[32:33], v[114:115], v[10:11]
	s_waitcnt lgkmcnt(0)
	v_mul_f64 v[98:99], v[96:97], v[22:23]
	v_mul_f64 v[100:101], v[94:95], v[22:23]
	v_fma_f64 v[98:99], v[94:95], v[20:21], -v[98:99]
	v_fmac_f64_e32 v[100:101], v[96:97], v[20:21]
	v_add_f64 v[78:79], v[78:79], v[98:99]
	v_add_f64 v[80:81], v[80:81], v[100:101]
	v_mul_f64 v[98:99], v[96:97], v[18:19]
	v_mul_f64 v[100:101], v[94:95], v[18:19]
	v_fma_f64 v[98:99], v[94:95], v[16:17], -v[98:99]
	v_fmac_f64_e32 v[100:101], v[96:97], v[16:17]
	v_add_f64 v[82:83], v[82:83], v[98:99]
	v_add_f64 v[84:85], v[84:85], v[100:101]
	;; [unrolled: 6-line block ×4, first 2 shown]
	ds_read_b128 v[90:93], v111 offset:3088
	v_fma_f64 v[30:31], v[114:115], v[8:9], -v[30:31]
	v_fmac_f64_e32 v[32:33], v[116:117], v[8:9]
	v_add_f64 v[32:33], v[136:137], v[32:33]
	v_add_f64 v[30:31], v[134:135], v[30:31]
	s_waitcnt lgkmcnt(0)
	v_mul_f64 v[98:99], v[92:93], v[22:23]
	v_mul_f64 v[22:23], v[90:91], v[22:23]
	v_fma_f64 v[98:99], v[90:91], v[20:21], -v[98:99]
	v_fmac_f64_e32 v[22:23], v[92:93], v[20:21]
	v_mul_f64 v[20:21], v[92:93], v[18:19]
	v_mul_f64 v[18:19], v[90:91], v[18:19]
	v_fma_f64 v[20:21], v[90:91], v[16:17], -v[20:21]
	v_fmac_f64_e32 v[18:19], v[92:93], v[16:17]
	;; [unrolled: 4-line block ×3, first 2 shown]
	v_mul_f64 v[12:13], v[92:93], v[10:11]
	v_mul_f64 v[10:11], v[90:91], v[10:11]
	v_fmac_f64_e32 v[10:11], v[92:93], v[8:9]
	v_fma_f64 v[12:13], v[90:91], v[8:9], -v[12:13]
	v_add_f64 v[114:115], v[48:49], v[10:11]
	ds_read_b128 v[8:11], v110 offset:2048
	v_add_f64 v[102:103], v[52:53], v[14:15]
	v_add_f64 v[104:105], v[46:47], v[12:13]
	;; [unrolled: 1-line block ×4, first 2 shown]
	s_waitcnt lgkmcnt(0)
	v_mul_f64 v[12:13], v[6:7], v[10:11]
	v_mul_f64 v[14:15], v[4:5], v[10:11]
	v_fma_f64 v[12:13], v[4:5], v[8:9], -v[12:13]
	v_fmac_f64_e32 v[14:15], v[6:7], v[8:9]
	v_add_f64 v[116:117], v[42:43], v[12:13]
	v_add_f64 v[118:119], v[44:45], v[14:15]
	ds_read_b128 v[12:15], v110 offset:2304
	v_add_f64 v[60:61], v[60:61], v[22:23]
	v_add_f64 v[54:55], v[54:55], v[20:21]
	;; [unrolled: 1-line block ×3, first 2 shown]
	s_waitcnt lgkmcnt(0)
	v_mul_f64 v[16:17], v[6:7], v[14:15]
	v_mul_f64 v[18:19], v[4:5], v[14:15]
	v_fma_f64 v[16:17], v[4:5], v[12:13], -v[16:17]
	v_fmac_f64_e32 v[18:19], v[6:7], v[12:13]
	v_add_f64 v[120:121], v[38:39], v[16:17]
	v_add_f64 v[122:123], v[40:41], v[18:19]
	ds_read_b128 v[16:19], v110 offset:2560
	s_waitcnt lgkmcnt(0)
	v_mul_f64 v[20:21], v[6:7], v[18:19]
	v_mul_f64 v[22:23], v[4:5], v[18:19]
	v_fma_f64 v[20:21], v[4:5], v[16:17], -v[20:21]
	v_fmac_f64_e32 v[22:23], v[6:7], v[16:17]
	v_add_f64 v[124:125], v[34:35], v[20:21]
	v_add_f64 v[126:127], v[36:37], v[22:23]
	ds_read_b128 v[20:23], v110 offset:2816
	s_waitcnt lgkmcnt(0)
	v_mul_f64 v[34:35], v[6:7], v[22:23]
	v_fma_f64 v[34:35], v[4:5], v[20:21], -v[34:35]
	v_mul_f64 v[4:5], v[4:5], v[22:23]
	v_fmac_f64_e32 v[4:5], v[6:7], v[20:21]
	v_add_f64 v[130:131], v[32:33], v[4:5]
	ds_read_b128 v[4:7], v111 offset:1056
	v_add_f64 v[128:129], v[30:31], v[34:35]
	s_waitcnt lgkmcnt(0)
	v_mul_f64 v[30:31], v[6:7], v[10:11]
	v_fma_f64 v[30:31], v[4:5], v[8:9], -v[30:31]
	v_add_f64 v[40:41], v[62:63], v[30:31]
	v_mul_f64 v[30:31], v[6:7], v[14:15]
	v_mul_f64 v[32:33], v[4:5], v[10:11]
	v_fma_f64 v[30:31], v[4:5], v[12:13], -v[30:31]
	v_fmac_f64_e32 v[32:33], v[6:7], v[8:9]
	v_add_f64 v[48:49], v[66:67], v[30:31]
	v_mul_f64 v[30:31], v[6:7], v[18:19]
	v_add_f64 v[44:45], v[64:65], v[32:33]
	v_mul_f64 v[32:33], v[4:5], v[14:15]
	v_fma_f64 v[30:31], v[4:5], v[16:17], -v[30:31]
	v_fmac_f64_e32 v[32:33], v[6:7], v[12:13]
	v_add_f64 v[58:59], v[70:71], v[30:31]
	v_mul_f64 v[30:31], v[6:7], v[22:23]
	v_add_f64 v[52:53], v[68:69], v[32:33]
	v_mul_f64 v[32:33], v[4:5], v[18:19]
	v_fma_f64 v[30:31], v[4:5], v[20:21], -v[30:31]
	v_mul_f64 v[4:5], v[4:5], v[22:23]
	v_fmac_f64_e32 v[4:5], v[6:7], v[20:21]
	v_fmac_f64_e32 v[32:33], v[6:7], v[16:17]
	v_add_f64 v[68:69], v[76:77], v[4:5]
	ds_read_b128 v[4:7], v111 offset:2080
	v_add_f64 v[66:67], v[74:75], v[30:31]
	v_add_f64 v[62:63], v[72:73], v[32:33]
	s_waitcnt lgkmcnt(0)
	v_mul_f64 v[30:31], v[6:7], v[10:11]
	v_fma_f64 v[30:31], v[4:5], v[8:9], -v[30:31]
	v_add_f64 v[38:39], v[78:79], v[30:31]
	v_mul_f64 v[30:31], v[6:7], v[14:15]
	v_mul_f64 v[32:33], v[4:5], v[10:11]
	v_fma_f64 v[30:31], v[4:5], v[12:13], -v[30:31]
	v_fmac_f64_e32 v[32:33], v[6:7], v[8:9]
	v_add_f64 v[46:47], v[82:83], v[30:31]
	v_mul_f64 v[30:31], v[6:7], v[18:19]
	v_add_f64 v[42:43], v[80:81], v[32:33]
	v_mul_f64 v[32:33], v[4:5], v[14:15]
	v_fma_f64 v[30:31], v[4:5], v[16:17], -v[30:31]
	v_fmac_f64_e32 v[32:33], v[6:7], v[12:13]
	v_add_f64 v[90:91], v[86:87], v[30:31]
	v_mul_f64 v[30:31], v[6:7], v[22:23]
	v_add_f64 v[50:51], v[84:85], v[32:33]
	v_mul_f64 v[32:33], v[4:5], v[18:19]
	v_fma_f64 v[30:31], v[4:5], v[20:21], -v[30:31]
	v_mul_f64 v[4:5], v[4:5], v[22:23]
	v_fmac_f64_e32 v[4:5], v[6:7], v[20:21]
	v_fmac_f64_e32 v[32:33], v[6:7], v[16:17]
	v_add_f64 v[96:97], v[96:97], v[4:5]
	ds_read_b128 v[4:7], v111 offset:3104
	v_add_f64 v[94:95], v[94:95], v[30:31]
	v_add_f64 v[92:93], v[88:89], v[32:33]
	s_waitcnt lgkmcnt(0)
	v_mul_f64 v[30:31], v[6:7], v[10:11]
	v_mul_f64 v[10:11], v[4:5], v[10:11]
	v_fmac_f64_e32 v[10:11], v[6:7], v[8:9]
	v_fma_f64 v[30:31], v[4:5], v[8:9], -v[30:31]
	v_add_f64 v[76:77], v[60:61], v[10:11]
	v_mul_f64 v[8:9], v[6:7], v[14:15]
	v_mul_f64 v[10:11], v[4:5], v[14:15]
	v_fma_f64 v[8:9], v[4:5], v[12:13], -v[8:9]
	v_fmac_f64_e32 v[10:11], v[6:7], v[12:13]
	v_add_f64 v[86:87], v[54:55], v[8:9]
	v_add_f64 v[88:89], v[56:57], v[10:11]
	v_mul_f64 v[8:9], v[6:7], v[18:19]
	v_mul_f64 v[10:11], v[4:5], v[18:19]
	v_fma_f64 v[8:9], v[4:5], v[16:17], -v[8:9]
	v_fmac_f64_e32 v[10:11], v[6:7], v[16:17]
	ds_read_b128 v[16:19], v110 offset:3072
	ds_read_b128 v[12:15], v110 offset:3328
	v_add_f64 v[82:83], v[100:101], v[8:9]
	v_mul_f64 v[8:9], v[6:7], v[22:23]
	v_fma_f64 v[8:9], v[4:5], v[20:21], -v[8:9]
	v_mul_f64 v[4:5], v[4:5], v[22:23]
	v_add_f64 v[84:85], v[102:103], v[10:11]
	v_fmac_f64_e32 v[4:5], v[6:7], v[20:21]
	v_add_f64 v[78:79], v[104:105], v[8:9]
	ds_read_b128 v[8:11], v110 offset:3584
	v_add_f64 v[80:81], v[114:115], v[4:5]
	s_waitcnt lgkmcnt(2)
	v_mul_f64 v[4:5], v[2:3], v[18:19]
	v_mul_f64 v[6:7], v[0:1], v[18:19]
	v_fma_f64 v[4:5], v[0:1], v[16:17], -v[4:5]
	v_fmac_f64_e32 v[6:7], v[2:3], v[16:17]
	v_add_f64 v[54:55], v[116:117], v[4:5]
	v_add_f64 v[56:57], v[118:119], v[6:7]
	s_waitcnt lgkmcnt(1)
	v_mul_f64 v[4:5], v[2:3], v[14:15]
	v_mul_f64 v[6:7], v[0:1], v[14:15]
	v_fma_f64 v[4:5], v[0:1], v[12:13], -v[4:5]
	v_fmac_f64_e32 v[6:7], v[2:3], v[12:13]
	v_add_f64 v[34:35], v[120:121], v[4:5]
	;; [unrolled: 7-line block ×3, first 2 shown]
	v_add_f64 v[30:31], v[124:125], v[4:5]
	v_add_f64 v[32:33], v[126:127], v[6:7]
	ds_read_b128 v[4:7], v110 offset:3840
	s_waitcnt lgkmcnt(0)
	v_mul_f64 v[20:21], v[2:3], v[6:7]
	v_fma_f64 v[20:21], v[0:1], v[4:5], -v[20:21]
	v_mul_f64 v[0:1], v[0:1], v[6:7]
	v_fmac_f64_e32 v[0:1], v[2:3], v[4:5]
	v_add_f64 v[22:23], v[130:131], v[0:1]
	ds_read_b128 v[0:3], v111 offset:1072
	v_add_f64 v[20:21], v[128:129], v[20:21]
	s_waitcnt lgkmcnt(0)
	v_mul_f64 v[60:61], v[2:3], v[18:19]
	v_fma_f64 v[60:61], v[0:1], v[16:17], -v[60:61]
	v_add_f64 v[70:71], v[40:41], v[60:61]
	v_mul_f64 v[40:41], v[2:3], v[14:15]
	v_mul_f64 v[64:65], v[0:1], v[18:19]
	v_fma_f64 v[40:41], v[0:1], v[12:13], -v[40:41]
	v_fmac_f64_e32 v[64:65], v[2:3], v[16:17]
	v_add_f64 v[60:61], v[48:49], v[40:41]
	v_mul_f64 v[40:41], v[2:3], v[10:11]
	v_add_f64 v[72:73], v[44:45], v[64:65]
	v_mul_f64 v[44:45], v[0:1], v[14:15]
	v_fma_f64 v[40:41], v[0:1], v[8:9], -v[40:41]
	v_fmac_f64_e32 v[44:45], v[2:3], v[12:13]
	v_add_f64 v[48:49], v[58:59], v[40:41]
	v_mul_f64 v[40:41], v[2:3], v[6:7]
	v_add_f64 v[64:65], v[52:53], v[44:45]
	v_mul_f64 v[44:45], v[0:1], v[10:11]
	v_fma_f64 v[40:41], v[0:1], v[4:5], -v[40:41]
	v_mul_f64 v[0:1], v[0:1], v[6:7]
	v_fmac_f64_e32 v[44:45], v[2:3], v[8:9]
	v_fmac_f64_e32 v[0:1], v[2:3], v[4:5]
	v_add_f64 v[52:53], v[62:63], v[44:45]
	v_add_f64 v[44:45], v[68:69], v[0:1]
	ds_read_b128 v[0:3], v111 offset:2096
	v_add_f64 v[40:41], v[66:67], v[40:41]
	s_waitcnt lgkmcnt(0)
	v_mul_f64 v[58:59], v[2:3], v[18:19]
	v_fma_f64 v[58:59], v[0:1], v[16:17], -v[58:59]
	v_add_f64 v[66:67], v[38:39], v[58:59]
	v_mul_f64 v[38:39], v[2:3], v[14:15]
	v_mul_f64 v[62:63], v[0:1], v[18:19]
	v_fma_f64 v[38:39], v[0:1], v[12:13], -v[38:39]
	v_fmac_f64_e32 v[62:63], v[2:3], v[16:17]
	v_add_f64 v[58:59], v[46:47], v[38:39]
	v_mul_f64 v[38:39], v[2:3], v[10:11]
	v_add_f64 v[68:69], v[42:43], v[62:63]
	v_mul_f64 v[42:43], v[0:1], v[14:15]
	v_fma_f64 v[38:39], v[0:1], v[8:9], -v[38:39]
	v_fmac_f64_e32 v[42:43], v[2:3], v[12:13]
	v_add_f64 v[46:47], v[90:91], v[38:39]
	v_mul_f64 v[38:39], v[2:3], v[6:7]
	v_add_f64 v[62:63], v[50:51], v[42:43]
	v_mul_f64 v[42:43], v[0:1], v[10:11]
	v_fma_f64 v[38:39], v[0:1], v[4:5], -v[38:39]
	v_mul_f64 v[0:1], v[0:1], v[6:7]
	v_fmac_f64_e32 v[42:43], v[2:3], v[8:9]
	v_fmac_f64_e32 v[0:1], v[2:3], v[4:5]
	v_add_f64 v[50:51], v[92:93], v[42:43]
	v_add_f64 v[42:43], v[96:97], v[0:1]
	ds_read_b128 v[0:3], v111 offset:3120
	v_add_f64 v[38:39], v[94:95], v[38:39]
	s_waitcnt lgkmcnt(0)
	s_barrier
	v_mul_f64 v[90:91], v[2:3], v[18:19]
	v_mul_f64 v[18:19], v[0:1], v[18:19]
	v_fma_f64 v[90:91], v[0:1], v[16:17], -v[90:91]
	v_fmac_f64_e32 v[18:19], v[2:3], v[16:17]
	v_mul_f64 v[16:17], v[2:3], v[14:15]
	v_mul_f64 v[14:15], v[0:1], v[14:15]
	v_fma_f64 v[16:17], v[0:1], v[12:13], -v[16:17]
	v_fmac_f64_e32 v[14:15], v[2:3], v[12:13]
	;; [unrolled: 4-line block ×3, first 2 shown]
	v_mul_f64 v[8:9], v[2:3], v[6:7]
	v_fma_f64 v[8:9], v[0:1], v[4:5], -v[8:9]
	v_mul_f64 v[0:1], v[0:1], v[6:7]
	v_fmac_f64_e32 v[0:1], v[2:3], v[4:5]
	v_add_f64 v[74:75], v[74:75], v[90:91]
	v_add_f64 v[76:77], v[76:77], v[18:19]
	;; [unrolled: 1-line block ×8, first 2 shown]
	s_cbranch_vccnz .LBB270_2
	s_branch .LBB270_4
.LBB270_3:
	v_pk_mov_b32 v[54:55], 0, 0
	v_pk_mov_b32 v[56:57], 0, 0
	;; [unrolled: 1-line block ×32, first 2 shown]
.LBB270_4:
	s_load_dwordx2 s[4:5], s[4:5], 0x90
	v_mov_b32_e32 v0, s7
	v_add_co_u32_e32 v6, vcc, s6, v107
	v_addc_co_u32_e32 v7, vcc, 0, v0, vcc
	s_waitcnt lgkmcnt(0)
	s_lshl_b64 s[4:5], s[4:5], 4
	s_add_u32 s7, s8, s4
	v_cmp_neq_f64_e64 s[10:11], s[14:15], 0
	v_cmp_neq_f64_e64 s[12:13], s[16:17], 0
	v_mov_b32_e32 v1, s3
	v_add_co_u32_e32 v0, vcc, s2, v106
	s_addc_u32 s8, s9, s5
	s_or_b64 s[10:11], s[10:11], s[12:13]
	v_addc_co_u32_e32 v1, vcc, 0, v1, vcc
	s_mov_b64 s[4:5], 0
	s_and_b64 vcc, exec, s[10:11]
	s_cbranch_vccnz .LBB270_6
; %bb.5:
	v_mul_lo_u32 v4, v7, s26
	v_mul_lo_u32 v5, v6, s27
	v_mad_u64_u32 v[2:3], s[2:3], v6, s26, 0
	v_add3_u32 v3, v3, v5, v4
	v_lshlrev_b64 v[2:3], 4, v[2:3]
	v_mov_b32_e32 v4, s8
	v_add_co_u32_e32 v26, vcc, s7, v2
	v_addc_co_u32_e32 v27, vcc, v4, v3, vcc
	v_lshlrev_b64 v[24:25], 4, v[0:1]
	v_mul_f64 v[2:3], s[40:41], v[56:57]
	v_mul_f64 v[4:5], s[38:39], v[56:57]
	v_add_co_u32_e32 v24, vcc, v26, v24
	v_fma_f64 v[2:3], s[38:39], v[54:55], -v[2:3]
	v_fmac_f64_e32 v[4:5], s[40:41], v[54:55]
	v_addc_co_u32_e32 v25, vcc, v27, v25, vcc
	global_store_dwordx4 v[24:25], v[2:5], off
	s_lshl_b64 s[2:3], s[26:27], 8
	v_mul_f64 v[2:3], s[40:41], v[36:37]
	v_mul_f64 v[4:5], s[38:39], v[36:37]
	v_fma_f64 v[2:3], s[38:39], v[34:35], -v[2:3]
	v_fmac_f64_e32 v[4:5], s[40:41], v[34:35]
	global_store_dwordx4 v[24:25], v[2:5], off offset:256
	v_mov_b32_e32 v26, s3
	v_mul_f64 v[2:3], s[40:41], v[32:33]
	v_mul_f64 v[4:5], s[38:39], v[32:33]
	v_fma_f64 v[2:3], s[38:39], v[30:31], -v[2:3]
	v_fmac_f64_e32 v[4:5], s[40:41], v[30:31]
	global_store_dwordx4 v[24:25], v[2:5], off offset:512
	s_nop 0
	v_mul_f64 v[2:3], s[40:41], v[22:23]
	v_mul_f64 v[4:5], s[38:39], v[22:23]
	v_fma_f64 v[2:3], s[38:39], v[20:21], -v[2:3]
	v_fmac_f64_e32 v[4:5], s[40:41], v[20:21]
	global_store_dwordx4 v[24:25], v[2:5], off offset:768
	v_add_co_u32_e32 v24, vcc, s2, v24
	v_mul_f64 v[2:3], s[40:41], v[72:73]
	v_mul_f64 v[4:5], s[38:39], v[72:73]
	v_fma_f64 v[2:3], s[38:39], v[70:71], -v[2:3]
	v_fmac_f64_e32 v[4:5], s[40:41], v[70:71]
	v_addc_co_u32_e32 v25, vcc, v25, v26, vcc
	global_store_dwordx4 v[24:25], v[2:5], off
	s_nop 0
	v_mul_f64 v[2:3], s[40:41], v[64:65]
	v_mul_f64 v[4:5], s[38:39], v[64:65]
	v_fma_f64 v[2:3], s[38:39], v[60:61], -v[2:3]
	v_fmac_f64_e32 v[4:5], s[40:41], v[60:61]
	global_store_dwordx4 v[24:25], v[2:5], off offset:256
	s_nop 0
	v_mul_f64 v[2:3], s[40:41], v[52:53]
	v_mul_f64 v[4:5], s[38:39], v[52:53]
	v_fma_f64 v[2:3], s[38:39], v[48:49], -v[2:3]
	v_fmac_f64_e32 v[4:5], s[40:41], v[48:49]
	global_store_dwordx4 v[24:25], v[2:5], off offset:512
	s_nop 0
	v_mul_f64 v[2:3], s[40:41], v[44:45]
	v_mul_f64 v[4:5], s[38:39], v[44:45]
	v_fma_f64 v[2:3], s[38:39], v[40:41], -v[2:3]
	v_fmac_f64_e32 v[4:5], s[40:41], v[40:41]
	global_store_dwordx4 v[24:25], v[2:5], off offset:768
	v_add_co_u32_e32 v24, vcc, s2, v24
	v_mul_f64 v[2:3], s[40:41], v[68:69]
	v_mul_f64 v[4:5], s[38:39], v[68:69]
	v_fma_f64 v[2:3], s[38:39], v[66:67], -v[2:3]
	v_fmac_f64_e32 v[4:5], s[40:41], v[66:67]
	v_addc_co_u32_e32 v25, vcc, v25, v26, vcc
	global_store_dwordx4 v[24:25], v[2:5], off
	s_nop 0
	v_mul_f64 v[2:3], s[40:41], v[62:63]
	v_mul_f64 v[4:5], s[38:39], v[62:63]
	v_fma_f64 v[2:3], s[38:39], v[58:59], -v[2:3]
	v_fmac_f64_e32 v[4:5], s[40:41], v[58:59]
	global_store_dwordx4 v[24:25], v[2:5], off offset:256
	s_nop 0
	;; [unrolled: 25-line block ×3, first 2 shown]
	v_mul_f64 v[2:3], s[40:41], v[14:15]
	v_mul_f64 v[4:5], s[38:39], v[14:15]
	v_fma_f64 v[2:3], s[38:39], v[12:13], -v[2:3]
	v_fmac_f64_e32 v[4:5], s[40:41], v[12:13]
	global_store_dwordx4 v[24:25], v[2:5], off offset:512
	s_nop 0
	v_mul_f64 v[2:3], s[40:41], v[8:9]
	v_fma_f64 v[26:27], s[38:39], v[10:11], -v[2:3]
	v_mul_f64 v[4:5], s[38:39], v[8:9]
	v_add_co_u32_e32 v2, vcc, 0x300, v24
	v_fmac_f64_e32 v[4:5], s[40:41], v[10:11]
	v_addc_co_u32_e32 v3, vcc, 0, v25, vcc
	global_store_dwordx2 v[24:25], v[26:27], off offset:768
	s_andn2_b64 vcc, exec, s[4:5]
	s_cbranch_vccz .LBB270_7
	s_branch .LBB270_8
.LBB270_6:
                                        ; implicit-def: $vgpr4_vgpr5
                                        ; implicit-def: $vgpr2_vgpr3
.LBB270_7:
	s_lshl_b64 s[2:3], s[22:23], 4
	s_add_u32 s2, s0, s2
	s_addc_u32 s3, s1, s3
	v_mul_lo_u32 v4, v7, s20
	v_mul_lo_u32 v5, v6, s21
	v_mad_u64_u32 v[2:3], s[0:1], v6, s20, 0
	v_add3_u32 v3, v3, v5, v4
	v_lshlrev_b64 v[2:3], 4, v[2:3]
	v_mov_b32_e32 v4, s3
	v_add_co_u32_e32 v2, vcc, s2, v2
	v_addc_co_u32_e32 v3, vcc, v4, v3, vcc
	v_lshlrev_b64 v[4:5], 4, v[0:1]
	v_add_co_u32_e32 v24, vcc, v2, v4
	v_addc_co_u32_e32 v25, vcc, v3, v5, vcc
	global_load_dwordx4 v[0:3], v[24:25], off
	v_mul_lo_u32 v78, v7, s26
	v_mul_lo_u32 v79, v6, s27
	v_mad_u64_u32 v[6:7], s[0:1], v6, s26, 0
	v_add3_u32 v7, v7, v79, v78
	v_lshlrev_b64 v[6:7], 4, v[6:7]
	v_mov_b32_e32 v80, s8
	v_add_co_u32_e32 v6, vcc, s7, v6
	v_addc_co_u32_e32 v7, vcc, v80, v7, vcc
	v_add_co_u32_e32 v4, vcc, v6, v4
	v_mul_f64 v[26:27], s[40:41], v[56:57]
	v_mul_f64 v[28:29], s[38:39], v[56:57]
	v_addc_co_u32_e32 v5, vcc, v7, v5, vcc
	v_fma_f64 v[26:27], s[38:39], v[54:55], -v[26:27]
	v_fmac_f64_e32 v[28:29], s[40:41], v[54:55]
	s_lshl_b64 s[0:1], s[20:21], 8
	s_lshl_b64 s[2:3], s[26:27], 8
	s_waitcnt vmcnt(0)
	v_mul_f64 v[6:7], s[16:17], v[2:3]
	v_mul_f64 v[2:3], s[14:15], v[2:3]
	v_fma_f64 v[6:7], s[14:15], v[0:1], -v[6:7]
	v_fmac_f64_e32 v[2:3], s[16:17], v[0:1]
	v_add_f64 v[0:1], v[26:27], v[6:7]
	v_add_f64 v[2:3], v[28:29], v[2:3]
	global_store_dwordx4 v[4:5], v[0:3], off
	global_load_dwordx4 v[0:3], v[24:25], off offset:256
	v_mul_f64 v[6:7], s[40:41], v[36:37]
	v_mul_f64 v[26:27], s[38:39], v[36:37]
	v_fma_f64 v[6:7], s[38:39], v[34:35], -v[6:7]
	v_fmac_f64_e32 v[26:27], s[40:41], v[34:35]
	s_waitcnt vmcnt(0)
	v_mul_f64 v[28:29], s[16:17], v[2:3]
	v_mul_f64 v[2:3], s[14:15], v[2:3]
	v_fma_f64 v[28:29], s[14:15], v[0:1], -v[28:29]
	v_fmac_f64_e32 v[2:3], s[16:17], v[0:1]
	v_add_f64 v[0:1], v[6:7], v[28:29]
	v_add_f64 v[2:3], v[26:27], v[2:3]
	global_store_dwordx4 v[4:5], v[0:3], off offset:256
	global_load_dwordx4 v[0:3], v[24:25], off offset:512
	v_mul_f64 v[6:7], s[40:41], v[32:33]
	v_mul_f64 v[26:27], s[38:39], v[32:33]
	v_fma_f64 v[6:7], s[38:39], v[30:31], -v[6:7]
	v_fmac_f64_e32 v[26:27], s[40:41], v[30:31]
	s_waitcnt vmcnt(0)
	v_mul_f64 v[28:29], s[16:17], v[2:3]
	v_mul_f64 v[2:3], s[14:15], v[2:3]
	v_fma_f64 v[28:29], s[14:15], v[0:1], -v[28:29]
	v_fmac_f64_e32 v[2:3], s[16:17], v[0:1]
	v_add_f64 v[0:1], v[6:7], v[28:29]
	v_add_f64 v[2:3], v[26:27], v[2:3]
	global_store_dwordx4 v[4:5], v[0:3], off offset:512
	global_load_dwordx4 v[0:3], v[24:25], off offset:768
	v_mul_f64 v[6:7], s[40:41], v[22:23]
	v_mul_f64 v[22:23], s[38:39], v[22:23]
	v_fma_f64 v[6:7], s[38:39], v[20:21], -v[6:7]
	v_fmac_f64_e32 v[22:23], s[40:41], v[20:21]
	v_mov_b32_e32 v26, s1
	v_add_co_u32_e32 v20, vcc, s0, v24
	v_addc_co_u32_e32 v21, vcc, v25, v26, vcc
	v_mov_b32_e32 v27, s3
	s_waitcnt vmcnt(0)
	v_mul_f64 v[24:25], s[16:17], v[2:3]
	v_mul_f64 v[2:3], s[14:15], v[2:3]
	v_fma_f64 v[24:25], s[14:15], v[0:1], -v[24:25]
	v_fmac_f64_e32 v[2:3], s[16:17], v[0:1]
	v_add_f64 v[0:1], v[6:7], v[24:25]
	v_add_f64 v[2:3], v[22:23], v[2:3]
	global_store_dwordx4 v[4:5], v[0:3], off offset:768
	global_load_dwordx4 v[0:3], v[20:21], off
	v_mul_f64 v[6:7], s[40:41], v[72:73]
	v_mul_f64 v[22:23], s[38:39], v[72:73]
	v_fma_f64 v[6:7], s[38:39], v[70:71], -v[6:7]
	v_fmac_f64_e32 v[22:23], s[40:41], v[70:71]
	v_add_co_u32_e32 v4, vcc, s2, v4
	v_addc_co_u32_e32 v5, vcc, v5, v27, vcc
	s_waitcnt vmcnt(0)
	v_mul_f64 v[24:25], s[16:17], v[2:3]
	v_mul_f64 v[2:3], s[14:15], v[2:3]
	v_fma_f64 v[24:25], s[14:15], v[0:1], -v[24:25]
	v_fmac_f64_e32 v[2:3], s[16:17], v[0:1]
	v_add_f64 v[0:1], v[6:7], v[24:25]
	v_add_f64 v[2:3], v[22:23], v[2:3]
	global_store_dwordx4 v[4:5], v[0:3], off
	global_load_dwordx4 v[0:3], v[20:21], off offset:256
	v_mul_f64 v[6:7], s[40:41], v[64:65]
	v_mul_f64 v[22:23], s[38:39], v[64:65]
	v_fma_f64 v[6:7], s[38:39], v[60:61], -v[6:7]
	v_fmac_f64_e32 v[22:23], s[40:41], v[60:61]
	s_waitcnt vmcnt(0)
	v_mul_f64 v[24:25], s[16:17], v[2:3]
	v_mul_f64 v[2:3], s[14:15], v[2:3]
	v_fma_f64 v[24:25], s[14:15], v[0:1], -v[24:25]
	v_fmac_f64_e32 v[2:3], s[16:17], v[0:1]
	v_add_f64 v[0:1], v[6:7], v[24:25]
	v_add_f64 v[2:3], v[22:23], v[2:3]
	global_store_dwordx4 v[4:5], v[0:3], off offset:256
	global_load_dwordx4 v[0:3], v[20:21], off offset:512
	v_mul_f64 v[6:7], s[40:41], v[52:53]
	v_mul_f64 v[22:23], s[38:39], v[52:53]
	v_fma_f64 v[6:7], s[38:39], v[48:49], -v[6:7]
	v_fmac_f64_e32 v[22:23], s[40:41], v[48:49]
	s_waitcnt vmcnt(0)
	v_mul_f64 v[24:25], s[16:17], v[2:3]
	v_mul_f64 v[2:3], s[14:15], v[2:3]
	v_fma_f64 v[24:25], s[14:15], v[0:1], -v[24:25]
	v_fmac_f64_e32 v[2:3], s[16:17], v[0:1]
	v_add_f64 v[0:1], v[6:7], v[24:25]
	v_add_f64 v[2:3], v[22:23], v[2:3]
	global_store_dwordx4 v[4:5], v[0:3], off offset:512
	global_load_dwordx4 v[0:3], v[20:21], off offset:768
	v_mul_f64 v[6:7], s[40:41], v[44:45]
	v_mul_f64 v[22:23], s[38:39], v[44:45]
	v_fma_f64 v[6:7], s[38:39], v[40:41], -v[6:7]
	v_fmac_f64_e32 v[22:23], s[40:41], v[40:41]
	v_add_co_u32_e32 v20, vcc, s0, v20
	v_addc_co_u32_e32 v21, vcc, v21, v26, vcc
	s_waitcnt vmcnt(0)
	v_mul_f64 v[24:25], s[16:17], v[2:3]
	v_mul_f64 v[2:3], s[14:15], v[2:3]
	v_fma_f64 v[24:25], s[14:15], v[0:1], -v[24:25]
	v_fmac_f64_e32 v[2:3], s[16:17], v[0:1]
	v_add_f64 v[0:1], v[6:7], v[24:25]
	v_add_f64 v[2:3], v[22:23], v[2:3]
	global_store_dwordx4 v[4:5], v[0:3], off offset:768
	global_load_dwordx4 v[0:3], v[20:21], off
	v_mul_f64 v[6:7], s[40:41], v[68:69]
	v_mul_f64 v[22:23], s[38:39], v[68:69]
	v_fma_f64 v[6:7], s[38:39], v[66:67], -v[6:7]
	v_fmac_f64_e32 v[22:23], s[40:41], v[66:67]
	v_add_co_u32_e32 v4, vcc, s2, v4
	v_addc_co_u32_e32 v5, vcc, v5, v27, vcc
	s_waitcnt vmcnt(0)
	v_mul_f64 v[24:25], s[16:17], v[2:3]
	v_mul_f64 v[2:3], s[14:15], v[2:3]
	v_fma_f64 v[24:25], s[14:15], v[0:1], -v[24:25]
	v_fmac_f64_e32 v[2:3], s[16:17], v[0:1]
	v_add_f64 v[0:1], v[6:7], v[24:25]
	v_add_f64 v[2:3], v[22:23], v[2:3]
	global_store_dwordx4 v[4:5], v[0:3], off
	global_load_dwordx4 v[0:3], v[20:21], off offset:256
	v_mul_f64 v[6:7], s[40:41], v[62:63]
	v_mul_f64 v[22:23], s[38:39], v[62:63]
	v_fma_f64 v[6:7], s[38:39], v[58:59], -v[6:7]
	v_fmac_f64_e32 v[22:23], s[40:41], v[58:59]
	s_waitcnt vmcnt(0)
	v_mul_f64 v[24:25], s[16:17], v[2:3]
	v_mul_f64 v[2:3], s[14:15], v[2:3]
	v_fma_f64 v[24:25], s[14:15], v[0:1], -v[24:25]
	v_fmac_f64_e32 v[2:3], s[16:17], v[0:1]
	v_add_f64 v[0:1], v[6:7], v[24:25]
	v_add_f64 v[2:3], v[22:23], v[2:3]
	global_store_dwordx4 v[4:5], v[0:3], off offset:256
	global_load_dwordx4 v[0:3], v[20:21], off offset:512
	v_mul_f64 v[6:7], s[40:41], v[50:51]
	v_mul_f64 v[22:23], s[38:39], v[50:51]
	v_fma_f64 v[6:7], s[38:39], v[46:47], -v[6:7]
	v_fmac_f64_e32 v[22:23], s[40:41], v[46:47]
	s_waitcnt vmcnt(0)
	v_mul_f64 v[24:25], s[16:17], v[2:3]
	v_mul_f64 v[2:3], s[14:15], v[2:3]
	v_fma_f64 v[24:25], s[14:15], v[0:1], -v[24:25]
	v_fmac_f64_e32 v[2:3], s[16:17], v[0:1]
	v_add_f64 v[0:1], v[6:7], v[24:25]
	v_add_f64 v[2:3], v[22:23], v[2:3]
	global_store_dwordx4 v[4:5], v[0:3], off offset:512
	global_load_dwordx4 v[0:3], v[20:21], off offset:768
	v_mul_f64 v[6:7], s[40:41], v[42:43]
	v_mul_f64 v[22:23], s[38:39], v[42:43]
	v_fma_f64 v[6:7], s[38:39], v[38:39], -v[6:7]
	v_fmac_f64_e32 v[22:23], s[40:41], v[38:39]
	v_add_co_u32_e32 v20, vcc, s0, v20
	v_addc_co_u32_e32 v21, vcc, v21, v26, vcc
	s_waitcnt vmcnt(0)
	v_mul_f64 v[24:25], s[16:17], v[2:3]
	v_mul_f64 v[2:3], s[14:15], v[2:3]
	v_fma_f64 v[24:25], s[14:15], v[0:1], -v[24:25]
	v_fmac_f64_e32 v[2:3], s[16:17], v[0:1]
	v_add_f64 v[0:1], v[6:7], v[24:25]
	v_add_f64 v[2:3], v[22:23], v[2:3]
	global_store_dwordx4 v[4:5], v[0:3], off offset:768
	global_load_dwordx4 v[0:3], v[20:21], off
	v_add_co_u32_e32 v24, vcc, s2, v4
	v_mul_f64 v[6:7], s[40:41], v[76:77]
	v_mul_f64 v[22:23], s[38:39], v[76:77]
	v_addc_co_u32_e32 v25, vcc, v5, v27, vcc
	v_fma_f64 v[6:7], s[38:39], v[74:75], -v[6:7]
	v_fmac_f64_e32 v[22:23], s[40:41], v[74:75]
	s_waitcnt vmcnt(0)
	v_mul_f64 v[4:5], s[16:17], v[2:3]
	v_mul_f64 v[2:3], s[14:15], v[2:3]
	v_fma_f64 v[4:5], s[14:15], v[0:1], -v[4:5]
	v_fmac_f64_e32 v[2:3], s[16:17], v[0:1]
	v_add_f64 v[0:1], v[6:7], v[4:5]
	v_add_f64 v[2:3], v[22:23], v[2:3]
	global_store_dwordx4 v[24:25], v[0:3], off
	global_load_dwordx4 v[0:3], v[20:21], off offset:256
	v_mul_f64 v[4:5], s[40:41], v[18:19]
	v_mul_f64 v[6:7], s[38:39], v[18:19]
	v_fma_f64 v[4:5], s[38:39], v[16:17], -v[4:5]
	v_fmac_f64_e32 v[6:7], s[40:41], v[16:17]
	s_waitcnt vmcnt(0)
	v_mul_f64 v[16:17], s[16:17], v[2:3]
	v_mul_f64 v[2:3], s[14:15], v[2:3]
	v_fma_f64 v[16:17], s[14:15], v[0:1], -v[16:17]
	v_fmac_f64_e32 v[2:3], s[16:17], v[0:1]
	v_add_f64 v[0:1], v[4:5], v[16:17]
	v_add_f64 v[2:3], v[6:7], v[2:3]
	global_store_dwordx4 v[24:25], v[0:3], off offset:256
	global_load_dwordx4 v[0:3], v[20:21], off offset:512
	v_mul_f64 v[4:5], s[40:41], v[14:15]
	v_mul_f64 v[6:7], s[38:39], v[14:15]
	v_fma_f64 v[4:5], s[38:39], v[12:13], -v[4:5]
	v_fmac_f64_e32 v[6:7], s[40:41], v[12:13]
	s_waitcnt vmcnt(0)
	v_mul_f64 v[12:13], s[16:17], v[2:3]
	v_mul_f64 v[2:3], s[14:15], v[2:3]
	v_fma_f64 v[12:13], s[14:15], v[0:1], -v[12:13]
	v_fmac_f64_e32 v[2:3], s[16:17], v[0:1]
	v_add_f64 v[0:1], v[4:5], v[12:13]
	v_add_f64 v[2:3], v[6:7], v[2:3]
	global_store_dwordx4 v[24:25], v[0:3], off offset:512
	global_load_dwordx4 v[4:7], v[20:21], off offset:768
	v_mul_f64 v[0:1], s[40:41], v[8:9]
	v_mul_f64 v[8:9], s[38:39], v[8:9]
	v_fma_f64 v[0:1], s[38:39], v[10:11], -v[0:1]
	v_fmac_f64_e32 v[8:9], s[40:41], v[10:11]
	v_add_co_u32_e32 v2, vcc, 0x300, v24
	v_addc_co_u32_e32 v3, vcc, 0, v25, vcc
	s_waitcnt vmcnt(0)
	v_mul_f64 v[10:11], s[16:17], v[6:7]
	v_mul_f64 v[6:7], s[14:15], v[6:7]
	v_fma_f64 v[10:11], s[14:15], v[4:5], -v[10:11]
	v_fmac_f64_e32 v[6:7], s[16:17], v[4:5]
	v_add_f64 v[0:1], v[0:1], v[10:11]
	v_add_f64 v[4:5], v[8:9], v[6:7]
	global_store_dwordx2 v[24:25], v[0:1], off offset:768
.LBB270_8:
	global_store_dwordx2 v[2:3], v[4:5], off offset:8
	s_endpgm
	.section	.rodata,"a",@progbits
	.p2align	6, 0x0
	.amdhsa_kernel _ZN12_GLOBAL__N_127rocblas_gemm_batched_kernelI19rocblas_complex_numIdELi16ELi16ELi64ELi64ELi4ELi64ELi4ELi4ELi64ELc78ELc67EKPKS2_S5_KPS2_EEvlllT_PT11_llSA_llS8_PT12_llPT13_lli
		.amdhsa_group_segment_fixed_size 8192
		.amdhsa_private_segment_fixed_size 0
		.amdhsa_kernarg_size 156
		.amdhsa_user_sgpr_count 6
		.amdhsa_user_sgpr_private_segment_buffer 1
		.amdhsa_user_sgpr_dispatch_ptr 0
		.amdhsa_user_sgpr_queue_ptr 0
		.amdhsa_user_sgpr_kernarg_segment_ptr 1
		.amdhsa_user_sgpr_dispatch_id 0
		.amdhsa_user_sgpr_flat_scratch_init 0
		.amdhsa_user_sgpr_kernarg_preload_length 0
		.amdhsa_user_sgpr_kernarg_preload_offset 0
		.amdhsa_user_sgpr_private_segment_size 0
		.amdhsa_uses_dynamic_stack 0
		.amdhsa_system_sgpr_private_segment_wavefront_offset 0
		.amdhsa_system_sgpr_workgroup_id_x 1
		.amdhsa_system_sgpr_workgroup_id_y 1
		.amdhsa_system_sgpr_workgroup_id_z 1
		.amdhsa_system_sgpr_workgroup_info 0
		.amdhsa_system_vgpr_workitem_id 1
		.amdhsa_next_free_vgpr 138
		.amdhsa_next_free_sgpr 52
		.amdhsa_accum_offset 140
		.amdhsa_reserve_vcc 1
		.amdhsa_reserve_flat_scratch 0
		.amdhsa_float_round_mode_32 0
		.amdhsa_float_round_mode_16_64 0
		.amdhsa_float_denorm_mode_32 3
		.amdhsa_float_denorm_mode_16_64 3
		.amdhsa_dx10_clamp 1
		.amdhsa_ieee_mode 1
		.amdhsa_fp16_overflow 0
		.amdhsa_tg_split 0
		.amdhsa_exception_fp_ieee_invalid_op 0
		.amdhsa_exception_fp_denorm_src 0
		.amdhsa_exception_fp_ieee_div_zero 0
		.amdhsa_exception_fp_ieee_overflow 0
		.amdhsa_exception_fp_ieee_underflow 0
		.amdhsa_exception_fp_ieee_inexact 0
		.amdhsa_exception_int_div_zero 0
	.end_amdhsa_kernel
	.section	.text._ZN12_GLOBAL__N_127rocblas_gemm_batched_kernelI19rocblas_complex_numIdELi16ELi16ELi64ELi64ELi4ELi64ELi4ELi4ELi64ELc78ELc67EKPKS2_S5_KPS2_EEvlllT_PT11_llSA_llS8_PT12_llPT13_lli,"axG",@progbits,_ZN12_GLOBAL__N_127rocblas_gemm_batched_kernelI19rocblas_complex_numIdELi16ELi16ELi64ELi64ELi4ELi64ELi4ELi4ELi64ELc78ELc67EKPKS2_S5_KPS2_EEvlllT_PT11_llSA_llS8_PT12_llPT13_lli,comdat
.Lfunc_end270:
	.size	_ZN12_GLOBAL__N_127rocblas_gemm_batched_kernelI19rocblas_complex_numIdELi16ELi16ELi64ELi64ELi4ELi64ELi4ELi4ELi64ELc78ELc67EKPKS2_S5_KPS2_EEvlllT_PT11_llSA_llS8_PT12_llPT13_lli, .Lfunc_end270-_ZN12_GLOBAL__N_127rocblas_gemm_batched_kernelI19rocblas_complex_numIdELi16ELi16ELi64ELi64ELi4ELi64ELi4ELi4ELi64ELc78ELc67EKPKS2_S5_KPS2_EEvlllT_PT11_llSA_llS8_PT12_llPT13_lli
                                        ; -- End function
	.section	.AMDGPU.csdata,"",@progbits
; Kernel info:
; codeLenInByte = 6716
; NumSgprs: 56
; NumVgprs: 138
; NumAgprs: 0
; TotalNumVgprs: 138
; ScratchSize: 0
; MemoryBound: 0
; FloatMode: 240
; IeeeMode: 1
; LDSByteSize: 8192 bytes/workgroup (compile time only)
; SGPRBlocks: 6
; VGPRBlocks: 17
; NumSGPRsForWavesPerEU: 56
; NumVGPRsForWavesPerEU: 138
; AccumOffset: 140
; Occupancy: 3
; WaveLimiterHint : 1
; COMPUTE_PGM_RSRC2:SCRATCH_EN: 0
; COMPUTE_PGM_RSRC2:USER_SGPR: 6
; COMPUTE_PGM_RSRC2:TRAP_HANDLER: 0
; COMPUTE_PGM_RSRC2:TGID_X_EN: 1
; COMPUTE_PGM_RSRC2:TGID_Y_EN: 1
; COMPUTE_PGM_RSRC2:TGID_Z_EN: 1
; COMPUTE_PGM_RSRC2:TIDIG_COMP_CNT: 1
; COMPUTE_PGM_RSRC3_GFX90A:ACCUM_OFFSET: 34
; COMPUTE_PGM_RSRC3_GFX90A:TG_SPLIT: 0
	.section	.text._ZN12_GLOBAL__N_127rocblas_gemm_batched_kernelI19rocblas_complex_numIdELi16ELi16ELi64ELi64ELi4ELi64ELi4ELi4ELi64ELc84ELc67EKPKS2_S5_KPS2_EEvlllT_PT11_llSA_llS8_PT12_llPT13_lli,"axG",@progbits,_ZN12_GLOBAL__N_127rocblas_gemm_batched_kernelI19rocblas_complex_numIdELi16ELi16ELi64ELi64ELi4ELi64ELi4ELi4ELi64ELc84ELc67EKPKS2_S5_KPS2_EEvlllT_PT11_llSA_llS8_PT12_llPT13_lli,comdat
	.globl	_ZN12_GLOBAL__N_127rocblas_gemm_batched_kernelI19rocblas_complex_numIdELi16ELi16ELi64ELi64ELi4ELi64ELi4ELi4ELi64ELc84ELc67EKPKS2_S5_KPS2_EEvlllT_PT11_llSA_llS8_PT12_llPT13_lli ; -- Begin function _ZN12_GLOBAL__N_127rocblas_gemm_batched_kernelI19rocblas_complex_numIdELi16ELi16ELi64ELi64ELi4ELi64ELi4ELi4ELi64ELc84ELc67EKPKS2_S5_KPS2_EEvlllT_PT11_llSA_llS8_PT12_llPT13_lli
	.p2align	8
	.type	_ZN12_GLOBAL__N_127rocblas_gemm_batched_kernelI19rocblas_complex_numIdELi16ELi16ELi64ELi64ELi4ELi64ELi4ELi4ELi64ELc84ELc67EKPKS2_S5_KPS2_EEvlllT_PT11_llSA_llS8_PT12_llPT13_lli,@function
_ZN12_GLOBAL__N_127rocblas_gemm_batched_kernelI19rocblas_complex_numIdELi16ELi16ELi64ELi64ELi4ELi64ELi4ELi4ELi64ELc84ELc67EKPKS2_S5_KPS2_EEvlllT_PT11_llSA_llS8_PT12_llPT13_lli: ; @_ZN12_GLOBAL__N_127rocblas_gemm_batched_kernelI19rocblas_complex_numIdELi16ELi16ELi64ELi64ELi4ELi64ELi4ELi4ELi64ELc84ELc67EKPKS2_S5_KPS2_EEvlllT_PT11_llSA_llS8_PT12_llPT13_lli
; %bb.0:
	s_load_dwordx16 s[36:51], s[4:5], 0x10
	s_load_dwordx16 s[12:27], s[4:5], 0x50
	s_mov_b32 s9, 0
	s_lshl_b64 s[28:29], s[8:9], 3
	s_mov_b32 s10, s7
	v_bfe_u32 v107, v0, 10, 10
	s_waitcnt lgkmcnt(0)
	s_add_u32 s0, s18, s28
	s_addc_u32 s1, s19, s29
	s_add_u32 s2, s24, s28
	s_addc_u32 s3, s25, s29
	s_load_dwordx2 s[0:1], s[0:1], 0x0
	s_ashr_i32 s7, s6, 31
	s_load_dwordx2 s[8:9], s[2:3], 0x0
	s_ashr_i32 s11, s10, 31
	v_cmp_lt_i64_e64 s[18:19], s[36:37], 1
	v_and_b32_e32 v106, 0x3ff, v0
	s_lshl_b64 s[2:3], s[6:7], 6
	s_lshl_b64 s[6:7], s[10:11], 6
	s_mov_b64 s[10:11], 0
	s_and_b64 vcc, exec, s[18:19]
	s_cbranch_vccnz .LBB271_3
; %bb.1:
	v_lshl_add_u32 v4, v107, 4, v106
	s_add_u32 s18, s42, s28
	v_lshrrev_b32_e32 v5, 2, v4
	s_addc_u32 s19, s43, s29
	v_mov_b32_e32 v1, s7
	v_add_co_u32_e32 v0, vcc, s6, v5
	s_add_u32 s24, s48, s28
	v_addc_co_u32_e32 v1, vcc, 0, v1, vcc
	v_and_b32_e32 v6, 3, v106
	s_addc_u32 s25, s49, s29
	v_mad_u64_u32 v[0:1], s[28:29], v6, s50, v[0:1]
	v_mov_b32_e32 v2, v1
	v_mad_u64_u32 v[2:3], s[28:29], v6, s51, v[2:3]
	v_mov_b32_e32 v1, v2
	v_and_b32_e32 v2, 63, v4
	v_lshrrev_b32_e32 v4, 6, v4
	v_lshlrev_b32_e32 v3, 4, v2
	v_lshl_or_b32 v108, v4, 10, v3
	v_lshlrev_b32_e32 v3, 4, v6
	v_lshl_or_b32 v3, v5, 6, v3
	v_add_u32_e32 v109, 0x1000, v3
	v_mov_b32_e32 v3, 0x1000
	v_lshl_add_u32 v111, v107, 6, v3
	v_mov_b32_e32 v3, s3
	v_add_co_u32_e32 v2, vcc, s2, v2
	v_addc_co_u32_e32 v3, vcc, 0, v3, vcc
	v_mul_lo_u32 v5, s45, v2
	v_mul_lo_u32 v6, s44, v3
	v_mad_u64_u32 v[2:3], s[28:29], s44, v2, 0
	v_add3_u32 v3, v3, v6, v5
	s_load_dwordx2 s[18:19], s[18:19], 0x0
	v_lshlrev_b64 v[2:3], 4, v[2:3]
	s_load_dwordx2 s[24:25], s[24:25], 0x0
	s_lshl_b64 s[28:29], s[46:47], 4
	v_mov_b32_e32 v5, s29
	v_add_co_u32_e32 v2, vcc, s28, v2
	v_addc_co_u32_e32 v3, vcc, v3, v5, vcc
	v_lshlrev_b32_e32 v4, 4, v4
	v_add_co_u32_e32 v2, vcc, v2, v4
	v_addc_co_u32_e32 v3, vcc, 0, v3, vcc
	s_lshl_b64 s[12:13], s[12:13], 4
	s_waitcnt lgkmcnt(0)
	v_mov_b32_e32 v4, s19
	v_add_co_u32_e32 v24, vcc, s18, v2
	s_add_u32 s12, s24, s12
	v_addc_co_u32_e32 v25, vcc, v4, v3, vcc
	v_lshlrev_b64 v[0:1], 4, v[0:1]
	s_addc_u32 s13, s25, s13
	v_mov_b32_e32 v2, s13
	v_add_co_u32_e32 v0, vcc, s12, v0
	v_addc_co_u32_e32 v1, vcc, v2, v1, vcc
	v_add_co_u32_e32 v26, vcc, 8, v0
	s_lshl_b64 s[12:13], s[50:51], 6
	v_lshlrev_b32_e32 v110, 4, v106
	v_addc_co_u32_e32 v27, vcc, 0, v1, vcc
	v_pk_mov_b32 v[8:9], 0, 0
	v_mov_b32_e32 v112, s13
	v_pk_mov_b32 v[28:29], s[36:37], s[36:37] op_sel:[0,1]
	v_pk_mov_b32 v[10:11], 0, 0
	v_pk_mov_b32 v[14:15], 0, 0
	v_pk_mov_b32 v[12:13], 0, 0
	v_pk_mov_b32 v[18:19], 0, 0
	v_pk_mov_b32 v[16:17], 0, 0
	v_pk_mov_b32 v[76:77], 0, 0
	v_pk_mov_b32 v[74:75], 0, 0
	v_pk_mov_b32 v[42:43], 0, 0
	v_pk_mov_b32 v[38:39], 0, 0
	v_pk_mov_b32 v[50:51], 0, 0
	v_pk_mov_b32 v[46:47], 0, 0
	v_pk_mov_b32 v[62:63], 0, 0
	v_pk_mov_b32 v[58:59], 0, 0
	v_pk_mov_b32 v[68:69], 0, 0
	v_pk_mov_b32 v[66:67], 0, 0
	v_pk_mov_b32 v[44:45], 0, 0
	v_pk_mov_b32 v[40:41], 0, 0
	v_pk_mov_b32 v[52:53], 0, 0
	v_pk_mov_b32 v[48:49], 0, 0
	v_pk_mov_b32 v[64:65], 0, 0
	v_pk_mov_b32 v[60:61], 0, 0
	v_pk_mov_b32 v[72:73], 0, 0
	v_pk_mov_b32 v[70:71], 0, 0
	v_pk_mov_b32 v[22:23], 0, 0
	v_pk_mov_b32 v[20:21], 0, 0
	v_pk_mov_b32 v[32:33], 0, 0
	v_pk_mov_b32 v[30:31], 0, 0
	v_pk_mov_b32 v[36:37], 0, 0
	v_pk_mov_b32 v[34:35], 0, 0
	v_pk_mov_b32 v[56:57], 0, 0
	v_pk_mov_b32 v[54:55], 0, 0
.LBB271_2:                              ; =>This Inner Loop Header: Depth=1
	global_load_dwordx4 v[0:3], v[24:25], off
	v_add_co_u32_e32 v24, vcc, 64, v24
	v_addc_co_u32_e32 v25, vcc, 0, v25, vcc
	s_add_u32 s10, s10, 4
	s_addc_u32 s11, s11, 0
	s_waitcnt vmcnt(0)
	ds_write2_b64 v108, v[0:1], v[2:3] offset1:1
	global_load_dwordx4 v[0:3], v[26:27], off offset:-8
	v_add_co_u32_e32 v26, vcc, s12, v26
	v_addc_co_u32_e32 v27, vcc, v27, v112, vcc
	v_cmp_lt_i64_e32 vcc, s[10:11], v[28:29]
	s_and_b64 vcc, exec, vcc
	s_waitcnt vmcnt(0)
	v_xor_b32_e32 v3, 0x80000000, v3
	ds_write_b128 v109, v[0:3]
	s_waitcnt lgkmcnt(0)
	s_barrier
	ds_read_b128 v[78:81], v111
	ds_read_b128 v[114:117], v111 offset:16
	ds_read_b128 v[4:7], v111 offset:32
	;; [unrolled: 1-line block ×3, first 2 shown]
	ds_read_b128 v[118:121], v110
	s_waitcnt lgkmcnt(0)
	v_mul_f64 v[82:83], v[80:81], v[120:121]
	v_mul_f64 v[84:85], v[78:79], v[120:121]
	v_fma_f64 v[82:83], v[78:79], v[118:119], -v[82:83]
	v_fmac_f64_e32 v[84:85], v[80:81], v[118:119]
	v_add_f64 v[122:123], v[54:55], v[82:83]
	v_add_f64 v[124:125], v[56:57], v[84:85]
	ds_read_b128 v[54:57], v110 offset:256
	s_waitcnt lgkmcnt(0)
	v_mul_f64 v[82:83], v[80:81], v[56:57]
	v_mul_f64 v[84:85], v[78:79], v[56:57]
	v_fma_f64 v[82:83], v[78:79], v[54:55], -v[82:83]
	v_fmac_f64_e32 v[84:85], v[80:81], v[54:55]
	v_add_f64 v[126:127], v[34:35], v[82:83]
	v_add_f64 v[128:129], v[36:37], v[84:85]
	ds_read_b128 v[34:37], v110 offset:512
	;; [unrolled: 8-line block ×3, first 2 shown]
	s_waitcnt lgkmcnt(0)
	v_mul_f64 v[82:83], v[80:81], v[32:33]
	v_fma_f64 v[82:83], v[78:79], v[30:31], -v[82:83]
	v_mul_f64 v[78:79], v[78:79], v[32:33]
	v_fmac_f64_e32 v[78:79], v[80:81], v[30:31]
	v_add_f64 v[134:135], v[20:21], v[82:83]
	v_add_f64 v[136:137], v[22:23], v[78:79]
	ds_read_b128 v[20:23], v111 offset:1024
	s_waitcnt lgkmcnt(0)
	v_mul_f64 v[78:79], v[22:23], v[120:121]
	v_fma_f64 v[78:79], v[20:21], v[118:119], -v[78:79]
	v_add_f64 v[70:71], v[70:71], v[78:79]
	v_mul_f64 v[78:79], v[22:23], v[56:57]
	v_mul_f64 v[80:81], v[20:21], v[120:121]
	v_fma_f64 v[78:79], v[20:21], v[54:55], -v[78:79]
	v_fmac_f64_e32 v[80:81], v[22:23], v[118:119]
	v_add_f64 v[94:95], v[60:61], v[78:79]
	v_mul_f64 v[60:61], v[22:23], v[36:37]
	v_add_f64 v[72:73], v[72:73], v[80:81]
	v_mul_f64 v[80:81], v[20:21], v[56:57]
	v_fma_f64 v[60:61], v[20:21], v[34:35], -v[60:61]
	v_fmac_f64_e32 v[80:81], v[22:23], v[54:55]
	v_add_f64 v[98:99], v[48:49], v[60:61]
	v_mul_f64 v[48:49], v[22:23], v[32:33]
	v_add_f64 v[96:97], v[64:65], v[80:81]
	v_mul_f64 v[64:65], v[20:21], v[36:37]
	v_fma_f64 v[48:49], v[20:21], v[30:31], -v[48:49]
	v_mul_f64 v[20:21], v[20:21], v[32:33]
	v_fmac_f64_e32 v[20:21], v[22:23], v[30:31]
	v_fmac_f64_e32 v[64:65], v[22:23], v[34:35]
	v_add_f64 v[104:105], v[44:45], v[20:21]
	ds_read_b128 v[20:23], v111 offset:2048
	v_add_f64 v[102:103], v[40:41], v[48:49]
	v_add_f64 v[100:101], v[52:53], v[64:65]
	s_waitcnt lgkmcnt(0)
	v_mul_f64 v[40:41], v[22:23], v[120:121]
	v_fma_f64 v[40:41], v[20:21], v[118:119], -v[40:41]
	v_add_f64 v[78:79], v[66:67], v[40:41]
	v_mul_f64 v[40:41], v[22:23], v[56:57]
	v_mul_f64 v[44:45], v[20:21], v[120:121]
	v_fma_f64 v[40:41], v[20:21], v[54:55], -v[40:41]
	v_fmac_f64_e32 v[44:45], v[22:23], v[118:119]
	v_add_f64 v[82:83], v[58:59], v[40:41]
	v_mul_f64 v[40:41], v[22:23], v[36:37]
	v_add_f64 v[80:81], v[68:69], v[44:45]
	v_mul_f64 v[44:45], v[20:21], v[56:57]
	v_fma_f64 v[40:41], v[20:21], v[34:35], -v[40:41]
	v_fmac_f64_e32 v[44:45], v[22:23], v[54:55]
	v_add_f64 v[86:87], v[46:47], v[40:41]
	v_mul_f64 v[40:41], v[22:23], v[32:33]
	v_add_f64 v[84:85], v[62:63], v[44:45]
	v_mul_f64 v[44:45], v[20:21], v[36:37]
	v_fma_f64 v[40:41], v[20:21], v[30:31], -v[40:41]
	v_mul_f64 v[20:21], v[20:21], v[32:33]
	v_fmac_f64_e32 v[20:21], v[22:23], v[30:31]
	v_fmac_f64_e32 v[44:45], v[22:23], v[34:35]
	v_add_f64 v[92:93], v[42:43], v[20:21]
	ds_read_b128 v[20:23], v111 offset:3072
	v_add_f64 v[90:91], v[38:39], v[40:41]
	v_add_f64 v[88:89], v[50:51], v[44:45]
	s_waitcnt lgkmcnt(0)
	v_mul_f64 v[38:39], v[22:23], v[120:121]
	v_mul_f64 v[40:41], v[20:21], v[120:121]
	v_fma_f64 v[38:39], v[20:21], v[118:119], -v[38:39]
	v_fmac_f64_e32 v[40:41], v[22:23], v[118:119]
	v_add_f64 v[58:59], v[74:75], v[38:39]
	v_add_f64 v[60:61], v[76:77], v[40:41]
	v_mul_f64 v[38:39], v[22:23], v[56:57]
	v_mul_f64 v[40:41], v[20:21], v[56:57]
	v_fma_f64 v[38:39], v[20:21], v[54:55], -v[38:39]
	v_fmac_f64_e32 v[40:41], v[22:23], v[54:55]
	v_add_f64 v[54:55], v[16:17], v[38:39]
	v_add_f64 v[56:57], v[18:19], v[40:41]
	;; [unrolled: 6-line block ×3, first 2 shown]
	v_mul_f64 v[12:13], v[22:23], v[32:33]
	v_mul_f64 v[14:15], v[20:21], v[32:33]
	v_fma_f64 v[12:13], v[20:21], v[30:31], -v[12:13]
	v_fmac_f64_e32 v[14:15], v[22:23], v[30:31]
	ds_read_b128 v[20:23], v110 offset:1024
	ds_read_b128 v[16:19], v110 offset:1280
	v_add_f64 v[46:47], v[10:11], v[12:13]
	v_add_f64 v[48:49], v[8:9], v[14:15]
	ds_read_b128 v[12:15], v110 offset:1536
	ds_read_b128 v[74:77], v111 offset:1040
	s_waitcnt lgkmcnt(3)
	v_mul_f64 v[8:9], v[116:117], v[22:23]
	v_mul_f64 v[10:11], v[114:115], v[22:23]
	v_fma_f64 v[8:9], v[114:115], v[20:21], -v[8:9]
	v_fmac_f64_e32 v[10:11], v[116:117], v[20:21]
	v_add_f64 v[42:43], v[122:123], v[8:9]
	v_add_f64 v[44:45], v[124:125], v[10:11]
	s_waitcnt lgkmcnt(2)
	v_mul_f64 v[8:9], v[116:117], v[18:19]
	v_mul_f64 v[10:11], v[114:115], v[18:19]
	v_fma_f64 v[8:9], v[114:115], v[16:17], -v[8:9]
	v_fmac_f64_e32 v[10:11], v[116:117], v[16:17]
	v_add_f64 v[38:39], v[126:127], v[8:9]
	v_add_f64 v[40:41], v[128:129], v[10:11]
	;; [unrolled: 7-line block ×3, first 2 shown]
	ds_read_b128 v[8:11], v110 offset:1792
	s_waitcnt lgkmcnt(1)
	v_mul_f64 v[66:67], v[76:77], v[18:19]
	v_mul_f64 v[68:69], v[74:75], v[18:19]
	;; [unrolled: 1-line block ×4, first 2 shown]
	v_fma_f64 v[66:67], v[74:75], v[16:17], -v[66:67]
	v_fmac_f64_e32 v[68:69], v[76:77], v[16:17]
	v_fma_f64 v[62:63], v[74:75], v[20:21], -v[62:63]
	v_fmac_f64_e32 v[64:65], v[76:77], v[20:21]
	v_add_f64 v[66:67], v[94:95], v[66:67]
	v_add_f64 v[68:69], v[96:97], v[68:69]
	s_waitcnt lgkmcnt(0)
	v_mul_f64 v[94:95], v[76:77], v[10:11]
	v_mul_f64 v[96:97], v[74:75], v[10:11]
	v_add_f64 v[62:63], v[70:71], v[62:63]
	v_add_f64 v[64:65], v[72:73], v[64:65]
	v_mul_f64 v[70:71], v[76:77], v[14:15]
	v_mul_f64 v[72:73], v[74:75], v[14:15]
	v_fma_f64 v[94:95], v[74:75], v[8:9], -v[94:95]
	v_fmac_f64_e32 v[96:97], v[76:77], v[8:9]
	v_fma_f64 v[70:71], v[74:75], v[12:13], -v[70:71]
	v_fmac_f64_e32 v[72:73], v[76:77], v[12:13]
	v_add_f64 v[74:75], v[102:103], v[94:95]
	v_add_f64 v[76:77], v[104:105], v[96:97]
	ds_read_b128 v[94:97], v111 offset:2064
	v_add_f64 v[70:71], v[98:99], v[70:71]
	v_add_f64 v[72:73], v[100:101], v[72:73]
	v_mul_f64 v[30:31], v[116:117], v[10:11]
	v_mul_f64 v[32:33], v[114:115], v[10:11]
	s_waitcnt lgkmcnt(0)
	v_mul_f64 v[98:99], v[96:97], v[22:23]
	v_mul_f64 v[100:101], v[94:95], v[22:23]
	v_fma_f64 v[98:99], v[94:95], v[20:21], -v[98:99]
	v_fmac_f64_e32 v[100:101], v[96:97], v[20:21]
	v_add_f64 v[78:79], v[78:79], v[98:99]
	v_add_f64 v[80:81], v[80:81], v[100:101]
	v_mul_f64 v[98:99], v[96:97], v[18:19]
	v_mul_f64 v[100:101], v[94:95], v[18:19]
	v_fma_f64 v[98:99], v[94:95], v[16:17], -v[98:99]
	v_fmac_f64_e32 v[100:101], v[96:97], v[16:17]
	v_add_f64 v[82:83], v[82:83], v[98:99]
	v_add_f64 v[84:85], v[84:85], v[100:101]
	v_mul_f64 v[98:99], v[96:97], v[14:15]
	v_mul_f64 v[100:101], v[94:95], v[14:15]
	v_fma_f64 v[98:99], v[94:95], v[12:13], -v[98:99]
	v_fmac_f64_e32 v[100:101], v[96:97], v[12:13]
	v_add_f64 v[86:87], v[86:87], v[98:99]
	v_add_f64 v[88:89], v[88:89], v[100:101]
	v_mul_f64 v[98:99], v[96:97], v[10:11]
	v_mul_f64 v[100:101], v[94:95], v[10:11]
	v_fma_f64 v[98:99], v[94:95], v[8:9], -v[98:99]
	v_fmac_f64_e32 v[100:101], v[96:97], v[8:9]
	v_add_f64 v[94:95], v[90:91], v[98:99]
	v_add_f64 v[96:97], v[92:93], v[100:101]
	ds_read_b128 v[90:93], v111 offset:3088
	v_fma_f64 v[30:31], v[114:115], v[8:9], -v[30:31]
	v_fmac_f64_e32 v[32:33], v[116:117], v[8:9]
	v_add_f64 v[32:33], v[136:137], v[32:33]
	v_add_f64 v[30:31], v[134:135], v[30:31]
	s_waitcnt lgkmcnt(0)
	v_mul_f64 v[98:99], v[92:93], v[22:23]
	v_mul_f64 v[22:23], v[90:91], v[22:23]
	v_fma_f64 v[98:99], v[90:91], v[20:21], -v[98:99]
	v_fmac_f64_e32 v[22:23], v[92:93], v[20:21]
	v_mul_f64 v[20:21], v[92:93], v[18:19]
	v_mul_f64 v[18:19], v[90:91], v[18:19]
	v_fma_f64 v[20:21], v[90:91], v[16:17], -v[20:21]
	v_fmac_f64_e32 v[18:19], v[92:93], v[16:17]
	;; [unrolled: 4-line block ×3, first 2 shown]
	v_mul_f64 v[12:13], v[92:93], v[10:11]
	v_mul_f64 v[10:11], v[90:91], v[10:11]
	v_fmac_f64_e32 v[10:11], v[92:93], v[8:9]
	v_fma_f64 v[12:13], v[90:91], v[8:9], -v[12:13]
	v_add_f64 v[114:115], v[48:49], v[10:11]
	ds_read_b128 v[8:11], v110 offset:2048
	v_add_f64 v[102:103], v[52:53], v[14:15]
	v_add_f64 v[104:105], v[46:47], v[12:13]
	v_add_f64 v[56:57], v[56:57], v[18:19]
	v_add_f64 v[100:101], v[50:51], v[16:17]
	s_waitcnt lgkmcnt(0)
	v_mul_f64 v[12:13], v[6:7], v[10:11]
	v_mul_f64 v[14:15], v[4:5], v[10:11]
	v_fma_f64 v[12:13], v[4:5], v[8:9], -v[12:13]
	v_fmac_f64_e32 v[14:15], v[6:7], v[8:9]
	v_add_f64 v[116:117], v[42:43], v[12:13]
	v_add_f64 v[118:119], v[44:45], v[14:15]
	ds_read_b128 v[12:15], v110 offset:2304
	v_add_f64 v[60:61], v[60:61], v[22:23]
	v_add_f64 v[54:55], v[54:55], v[20:21]
	;; [unrolled: 1-line block ×3, first 2 shown]
	s_waitcnt lgkmcnt(0)
	v_mul_f64 v[16:17], v[6:7], v[14:15]
	v_mul_f64 v[18:19], v[4:5], v[14:15]
	v_fma_f64 v[16:17], v[4:5], v[12:13], -v[16:17]
	v_fmac_f64_e32 v[18:19], v[6:7], v[12:13]
	v_add_f64 v[120:121], v[38:39], v[16:17]
	v_add_f64 v[122:123], v[40:41], v[18:19]
	ds_read_b128 v[16:19], v110 offset:2560
	s_waitcnt lgkmcnt(0)
	v_mul_f64 v[20:21], v[6:7], v[18:19]
	v_mul_f64 v[22:23], v[4:5], v[18:19]
	v_fma_f64 v[20:21], v[4:5], v[16:17], -v[20:21]
	v_fmac_f64_e32 v[22:23], v[6:7], v[16:17]
	v_add_f64 v[124:125], v[34:35], v[20:21]
	v_add_f64 v[126:127], v[36:37], v[22:23]
	ds_read_b128 v[20:23], v110 offset:2816
	s_waitcnt lgkmcnt(0)
	v_mul_f64 v[34:35], v[6:7], v[22:23]
	v_fma_f64 v[34:35], v[4:5], v[20:21], -v[34:35]
	v_mul_f64 v[4:5], v[4:5], v[22:23]
	v_fmac_f64_e32 v[4:5], v[6:7], v[20:21]
	v_add_f64 v[130:131], v[32:33], v[4:5]
	ds_read_b128 v[4:7], v111 offset:1056
	v_add_f64 v[128:129], v[30:31], v[34:35]
	s_waitcnt lgkmcnt(0)
	v_mul_f64 v[30:31], v[6:7], v[10:11]
	v_fma_f64 v[30:31], v[4:5], v[8:9], -v[30:31]
	v_add_f64 v[40:41], v[62:63], v[30:31]
	v_mul_f64 v[30:31], v[6:7], v[14:15]
	v_mul_f64 v[32:33], v[4:5], v[10:11]
	v_fma_f64 v[30:31], v[4:5], v[12:13], -v[30:31]
	v_fmac_f64_e32 v[32:33], v[6:7], v[8:9]
	v_add_f64 v[48:49], v[66:67], v[30:31]
	v_mul_f64 v[30:31], v[6:7], v[18:19]
	v_add_f64 v[44:45], v[64:65], v[32:33]
	v_mul_f64 v[32:33], v[4:5], v[14:15]
	v_fma_f64 v[30:31], v[4:5], v[16:17], -v[30:31]
	v_fmac_f64_e32 v[32:33], v[6:7], v[12:13]
	v_add_f64 v[58:59], v[70:71], v[30:31]
	v_mul_f64 v[30:31], v[6:7], v[22:23]
	v_add_f64 v[52:53], v[68:69], v[32:33]
	v_mul_f64 v[32:33], v[4:5], v[18:19]
	v_fma_f64 v[30:31], v[4:5], v[20:21], -v[30:31]
	v_mul_f64 v[4:5], v[4:5], v[22:23]
	v_fmac_f64_e32 v[4:5], v[6:7], v[20:21]
	v_fmac_f64_e32 v[32:33], v[6:7], v[16:17]
	v_add_f64 v[68:69], v[76:77], v[4:5]
	ds_read_b128 v[4:7], v111 offset:2080
	v_add_f64 v[66:67], v[74:75], v[30:31]
	v_add_f64 v[62:63], v[72:73], v[32:33]
	s_waitcnt lgkmcnt(0)
	v_mul_f64 v[30:31], v[6:7], v[10:11]
	v_fma_f64 v[30:31], v[4:5], v[8:9], -v[30:31]
	v_add_f64 v[38:39], v[78:79], v[30:31]
	v_mul_f64 v[30:31], v[6:7], v[14:15]
	v_mul_f64 v[32:33], v[4:5], v[10:11]
	v_fma_f64 v[30:31], v[4:5], v[12:13], -v[30:31]
	v_fmac_f64_e32 v[32:33], v[6:7], v[8:9]
	v_add_f64 v[46:47], v[82:83], v[30:31]
	v_mul_f64 v[30:31], v[6:7], v[18:19]
	v_add_f64 v[42:43], v[80:81], v[32:33]
	v_mul_f64 v[32:33], v[4:5], v[14:15]
	v_fma_f64 v[30:31], v[4:5], v[16:17], -v[30:31]
	v_fmac_f64_e32 v[32:33], v[6:7], v[12:13]
	v_add_f64 v[90:91], v[86:87], v[30:31]
	v_mul_f64 v[30:31], v[6:7], v[22:23]
	v_add_f64 v[50:51], v[84:85], v[32:33]
	v_mul_f64 v[32:33], v[4:5], v[18:19]
	v_fma_f64 v[30:31], v[4:5], v[20:21], -v[30:31]
	v_mul_f64 v[4:5], v[4:5], v[22:23]
	v_fmac_f64_e32 v[4:5], v[6:7], v[20:21]
	v_fmac_f64_e32 v[32:33], v[6:7], v[16:17]
	v_add_f64 v[96:97], v[96:97], v[4:5]
	ds_read_b128 v[4:7], v111 offset:3104
	v_add_f64 v[94:95], v[94:95], v[30:31]
	v_add_f64 v[92:93], v[88:89], v[32:33]
	s_waitcnt lgkmcnt(0)
	v_mul_f64 v[30:31], v[6:7], v[10:11]
	v_mul_f64 v[10:11], v[4:5], v[10:11]
	v_fmac_f64_e32 v[10:11], v[6:7], v[8:9]
	v_fma_f64 v[30:31], v[4:5], v[8:9], -v[30:31]
	v_add_f64 v[76:77], v[60:61], v[10:11]
	v_mul_f64 v[8:9], v[6:7], v[14:15]
	v_mul_f64 v[10:11], v[4:5], v[14:15]
	v_fma_f64 v[8:9], v[4:5], v[12:13], -v[8:9]
	v_fmac_f64_e32 v[10:11], v[6:7], v[12:13]
	v_add_f64 v[86:87], v[54:55], v[8:9]
	v_add_f64 v[88:89], v[56:57], v[10:11]
	v_mul_f64 v[8:9], v[6:7], v[18:19]
	v_mul_f64 v[10:11], v[4:5], v[18:19]
	v_fma_f64 v[8:9], v[4:5], v[16:17], -v[8:9]
	v_fmac_f64_e32 v[10:11], v[6:7], v[16:17]
	ds_read_b128 v[16:19], v110 offset:3072
	ds_read_b128 v[12:15], v110 offset:3328
	v_add_f64 v[82:83], v[100:101], v[8:9]
	v_mul_f64 v[8:9], v[6:7], v[22:23]
	v_fma_f64 v[8:9], v[4:5], v[20:21], -v[8:9]
	v_mul_f64 v[4:5], v[4:5], v[22:23]
	v_add_f64 v[84:85], v[102:103], v[10:11]
	v_fmac_f64_e32 v[4:5], v[6:7], v[20:21]
	v_add_f64 v[78:79], v[104:105], v[8:9]
	ds_read_b128 v[8:11], v110 offset:3584
	v_add_f64 v[80:81], v[114:115], v[4:5]
	s_waitcnt lgkmcnt(2)
	v_mul_f64 v[4:5], v[2:3], v[18:19]
	v_mul_f64 v[6:7], v[0:1], v[18:19]
	v_fma_f64 v[4:5], v[0:1], v[16:17], -v[4:5]
	v_fmac_f64_e32 v[6:7], v[2:3], v[16:17]
	v_add_f64 v[54:55], v[116:117], v[4:5]
	v_add_f64 v[56:57], v[118:119], v[6:7]
	s_waitcnt lgkmcnt(1)
	v_mul_f64 v[4:5], v[2:3], v[14:15]
	v_mul_f64 v[6:7], v[0:1], v[14:15]
	v_fma_f64 v[4:5], v[0:1], v[12:13], -v[4:5]
	v_fmac_f64_e32 v[6:7], v[2:3], v[12:13]
	v_add_f64 v[34:35], v[120:121], v[4:5]
	;; [unrolled: 7-line block ×3, first 2 shown]
	v_add_f64 v[30:31], v[124:125], v[4:5]
	v_add_f64 v[32:33], v[126:127], v[6:7]
	ds_read_b128 v[4:7], v110 offset:3840
	s_waitcnt lgkmcnt(0)
	v_mul_f64 v[20:21], v[2:3], v[6:7]
	v_fma_f64 v[20:21], v[0:1], v[4:5], -v[20:21]
	v_mul_f64 v[0:1], v[0:1], v[6:7]
	v_fmac_f64_e32 v[0:1], v[2:3], v[4:5]
	v_add_f64 v[22:23], v[130:131], v[0:1]
	ds_read_b128 v[0:3], v111 offset:1072
	v_add_f64 v[20:21], v[128:129], v[20:21]
	s_waitcnt lgkmcnt(0)
	v_mul_f64 v[60:61], v[2:3], v[18:19]
	v_fma_f64 v[60:61], v[0:1], v[16:17], -v[60:61]
	v_add_f64 v[70:71], v[40:41], v[60:61]
	v_mul_f64 v[40:41], v[2:3], v[14:15]
	v_mul_f64 v[64:65], v[0:1], v[18:19]
	v_fma_f64 v[40:41], v[0:1], v[12:13], -v[40:41]
	v_fmac_f64_e32 v[64:65], v[2:3], v[16:17]
	v_add_f64 v[60:61], v[48:49], v[40:41]
	v_mul_f64 v[40:41], v[2:3], v[10:11]
	v_add_f64 v[72:73], v[44:45], v[64:65]
	v_mul_f64 v[44:45], v[0:1], v[14:15]
	v_fma_f64 v[40:41], v[0:1], v[8:9], -v[40:41]
	v_fmac_f64_e32 v[44:45], v[2:3], v[12:13]
	v_add_f64 v[48:49], v[58:59], v[40:41]
	v_mul_f64 v[40:41], v[2:3], v[6:7]
	v_add_f64 v[64:65], v[52:53], v[44:45]
	v_mul_f64 v[44:45], v[0:1], v[10:11]
	v_fma_f64 v[40:41], v[0:1], v[4:5], -v[40:41]
	v_mul_f64 v[0:1], v[0:1], v[6:7]
	v_fmac_f64_e32 v[44:45], v[2:3], v[8:9]
	v_fmac_f64_e32 v[0:1], v[2:3], v[4:5]
	v_add_f64 v[52:53], v[62:63], v[44:45]
	v_add_f64 v[44:45], v[68:69], v[0:1]
	ds_read_b128 v[0:3], v111 offset:2096
	v_add_f64 v[40:41], v[66:67], v[40:41]
	s_waitcnt lgkmcnt(0)
	v_mul_f64 v[58:59], v[2:3], v[18:19]
	v_fma_f64 v[58:59], v[0:1], v[16:17], -v[58:59]
	v_add_f64 v[66:67], v[38:39], v[58:59]
	v_mul_f64 v[38:39], v[2:3], v[14:15]
	v_mul_f64 v[62:63], v[0:1], v[18:19]
	v_fma_f64 v[38:39], v[0:1], v[12:13], -v[38:39]
	v_fmac_f64_e32 v[62:63], v[2:3], v[16:17]
	v_add_f64 v[58:59], v[46:47], v[38:39]
	v_mul_f64 v[38:39], v[2:3], v[10:11]
	v_add_f64 v[68:69], v[42:43], v[62:63]
	v_mul_f64 v[42:43], v[0:1], v[14:15]
	v_fma_f64 v[38:39], v[0:1], v[8:9], -v[38:39]
	v_fmac_f64_e32 v[42:43], v[2:3], v[12:13]
	v_add_f64 v[46:47], v[90:91], v[38:39]
	v_mul_f64 v[38:39], v[2:3], v[6:7]
	v_add_f64 v[62:63], v[50:51], v[42:43]
	v_mul_f64 v[42:43], v[0:1], v[10:11]
	v_fma_f64 v[38:39], v[0:1], v[4:5], -v[38:39]
	v_mul_f64 v[0:1], v[0:1], v[6:7]
	v_fmac_f64_e32 v[42:43], v[2:3], v[8:9]
	v_fmac_f64_e32 v[0:1], v[2:3], v[4:5]
	v_add_f64 v[50:51], v[92:93], v[42:43]
	v_add_f64 v[42:43], v[96:97], v[0:1]
	ds_read_b128 v[0:3], v111 offset:3120
	v_add_f64 v[38:39], v[94:95], v[38:39]
	s_waitcnt lgkmcnt(0)
	s_barrier
	v_mul_f64 v[90:91], v[2:3], v[18:19]
	v_mul_f64 v[18:19], v[0:1], v[18:19]
	v_fma_f64 v[90:91], v[0:1], v[16:17], -v[90:91]
	v_fmac_f64_e32 v[18:19], v[2:3], v[16:17]
	v_mul_f64 v[16:17], v[2:3], v[14:15]
	v_mul_f64 v[14:15], v[0:1], v[14:15]
	v_fma_f64 v[16:17], v[0:1], v[12:13], -v[16:17]
	v_fmac_f64_e32 v[14:15], v[2:3], v[12:13]
	;; [unrolled: 4-line block ×3, first 2 shown]
	v_mul_f64 v[8:9], v[2:3], v[6:7]
	v_fma_f64 v[8:9], v[0:1], v[4:5], -v[8:9]
	v_mul_f64 v[0:1], v[0:1], v[6:7]
	v_fmac_f64_e32 v[0:1], v[2:3], v[4:5]
	v_add_f64 v[74:75], v[74:75], v[90:91]
	v_add_f64 v[76:77], v[76:77], v[18:19]
	;; [unrolled: 1-line block ×8, first 2 shown]
	s_cbranch_vccnz .LBB271_2
	s_branch .LBB271_4
.LBB271_3:
	v_pk_mov_b32 v[54:55], 0, 0
	v_pk_mov_b32 v[56:57], 0, 0
	;; [unrolled: 1-line block ×32, first 2 shown]
.LBB271_4:
	s_load_dwordx2 s[4:5], s[4:5], 0x90
	v_mov_b32_e32 v0, s7
	v_add_co_u32_e32 v6, vcc, s6, v107
	v_addc_co_u32_e32 v7, vcc, 0, v0, vcc
	s_waitcnt lgkmcnt(0)
	s_lshl_b64 s[4:5], s[4:5], 4
	s_add_u32 s7, s8, s4
	v_cmp_neq_f64_e64 s[10:11], s[14:15], 0
	v_cmp_neq_f64_e64 s[12:13], s[16:17], 0
	v_mov_b32_e32 v1, s3
	v_add_co_u32_e32 v0, vcc, s2, v106
	s_addc_u32 s8, s9, s5
	s_or_b64 s[10:11], s[10:11], s[12:13]
	v_addc_co_u32_e32 v1, vcc, 0, v1, vcc
	s_mov_b64 s[4:5], 0
	s_and_b64 vcc, exec, s[10:11]
	s_cbranch_vccnz .LBB271_6
; %bb.5:
	v_mul_lo_u32 v4, v7, s26
	v_mul_lo_u32 v5, v6, s27
	v_mad_u64_u32 v[2:3], s[2:3], v6, s26, 0
	v_add3_u32 v3, v3, v5, v4
	v_lshlrev_b64 v[2:3], 4, v[2:3]
	v_mov_b32_e32 v4, s8
	v_add_co_u32_e32 v26, vcc, s7, v2
	v_addc_co_u32_e32 v27, vcc, v4, v3, vcc
	v_lshlrev_b64 v[24:25], 4, v[0:1]
	v_mul_f64 v[2:3], s[40:41], v[56:57]
	v_mul_f64 v[4:5], s[38:39], v[56:57]
	v_add_co_u32_e32 v24, vcc, v26, v24
	v_fma_f64 v[2:3], s[38:39], v[54:55], -v[2:3]
	v_fmac_f64_e32 v[4:5], s[40:41], v[54:55]
	v_addc_co_u32_e32 v25, vcc, v27, v25, vcc
	global_store_dwordx4 v[24:25], v[2:5], off
	s_lshl_b64 s[2:3], s[26:27], 8
	v_mul_f64 v[2:3], s[40:41], v[36:37]
	v_mul_f64 v[4:5], s[38:39], v[36:37]
	v_fma_f64 v[2:3], s[38:39], v[34:35], -v[2:3]
	v_fmac_f64_e32 v[4:5], s[40:41], v[34:35]
	global_store_dwordx4 v[24:25], v[2:5], off offset:256
	v_mov_b32_e32 v26, s3
	v_mul_f64 v[2:3], s[40:41], v[32:33]
	v_mul_f64 v[4:5], s[38:39], v[32:33]
	v_fma_f64 v[2:3], s[38:39], v[30:31], -v[2:3]
	v_fmac_f64_e32 v[4:5], s[40:41], v[30:31]
	global_store_dwordx4 v[24:25], v[2:5], off offset:512
	s_nop 0
	v_mul_f64 v[2:3], s[40:41], v[22:23]
	v_mul_f64 v[4:5], s[38:39], v[22:23]
	v_fma_f64 v[2:3], s[38:39], v[20:21], -v[2:3]
	v_fmac_f64_e32 v[4:5], s[40:41], v[20:21]
	global_store_dwordx4 v[24:25], v[2:5], off offset:768
	v_add_co_u32_e32 v24, vcc, s2, v24
	v_mul_f64 v[2:3], s[40:41], v[72:73]
	v_mul_f64 v[4:5], s[38:39], v[72:73]
	v_fma_f64 v[2:3], s[38:39], v[70:71], -v[2:3]
	v_fmac_f64_e32 v[4:5], s[40:41], v[70:71]
	v_addc_co_u32_e32 v25, vcc, v25, v26, vcc
	global_store_dwordx4 v[24:25], v[2:5], off
	s_nop 0
	v_mul_f64 v[2:3], s[40:41], v[64:65]
	v_mul_f64 v[4:5], s[38:39], v[64:65]
	v_fma_f64 v[2:3], s[38:39], v[60:61], -v[2:3]
	v_fmac_f64_e32 v[4:5], s[40:41], v[60:61]
	global_store_dwordx4 v[24:25], v[2:5], off offset:256
	s_nop 0
	v_mul_f64 v[2:3], s[40:41], v[52:53]
	v_mul_f64 v[4:5], s[38:39], v[52:53]
	v_fma_f64 v[2:3], s[38:39], v[48:49], -v[2:3]
	v_fmac_f64_e32 v[4:5], s[40:41], v[48:49]
	global_store_dwordx4 v[24:25], v[2:5], off offset:512
	s_nop 0
	v_mul_f64 v[2:3], s[40:41], v[44:45]
	v_mul_f64 v[4:5], s[38:39], v[44:45]
	v_fma_f64 v[2:3], s[38:39], v[40:41], -v[2:3]
	v_fmac_f64_e32 v[4:5], s[40:41], v[40:41]
	global_store_dwordx4 v[24:25], v[2:5], off offset:768
	v_add_co_u32_e32 v24, vcc, s2, v24
	v_mul_f64 v[2:3], s[40:41], v[68:69]
	v_mul_f64 v[4:5], s[38:39], v[68:69]
	v_fma_f64 v[2:3], s[38:39], v[66:67], -v[2:3]
	v_fmac_f64_e32 v[4:5], s[40:41], v[66:67]
	v_addc_co_u32_e32 v25, vcc, v25, v26, vcc
	global_store_dwordx4 v[24:25], v[2:5], off
	s_nop 0
	v_mul_f64 v[2:3], s[40:41], v[62:63]
	v_mul_f64 v[4:5], s[38:39], v[62:63]
	v_fma_f64 v[2:3], s[38:39], v[58:59], -v[2:3]
	v_fmac_f64_e32 v[4:5], s[40:41], v[58:59]
	global_store_dwordx4 v[24:25], v[2:5], off offset:256
	s_nop 0
	;; [unrolled: 25-line block ×3, first 2 shown]
	v_mul_f64 v[2:3], s[40:41], v[14:15]
	v_mul_f64 v[4:5], s[38:39], v[14:15]
	v_fma_f64 v[2:3], s[38:39], v[12:13], -v[2:3]
	v_fmac_f64_e32 v[4:5], s[40:41], v[12:13]
	global_store_dwordx4 v[24:25], v[2:5], off offset:512
	s_nop 0
	v_mul_f64 v[2:3], s[40:41], v[8:9]
	v_fma_f64 v[26:27], s[38:39], v[10:11], -v[2:3]
	v_mul_f64 v[4:5], s[38:39], v[8:9]
	v_add_co_u32_e32 v2, vcc, 0x300, v24
	v_fmac_f64_e32 v[4:5], s[40:41], v[10:11]
	v_addc_co_u32_e32 v3, vcc, 0, v25, vcc
	global_store_dwordx2 v[24:25], v[26:27], off offset:768
	s_andn2_b64 vcc, exec, s[4:5]
	s_cbranch_vccz .LBB271_7
	s_branch .LBB271_8
.LBB271_6:
                                        ; implicit-def: $vgpr4_vgpr5
                                        ; implicit-def: $vgpr2_vgpr3
.LBB271_7:
	s_lshl_b64 s[2:3], s[22:23], 4
	s_add_u32 s2, s0, s2
	s_addc_u32 s3, s1, s3
	v_mul_lo_u32 v4, v7, s20
	v_mul_lo_u32 v5, v6, s21
	v_mad_u64_u32 v[2:3], s[0:1], v6, s20, 0
	v_add3_u32 v3, v3, v5, v4
	v_lshlrev_b64 v[2:3], 4, v[2:3]
	v_mov_b32_e32 v4, s3
	v_add_co_u32_e32 v2, vcc, s2, v2
	v_addc_co_u32_e32 v3, vcc, v4, v3, vcc
	v_lshlrev_b64 v[4:5], 4, v[0:1]
	v_add_co_u32_e32 v24, vcc, v2, v4
	v_addc_co_u32_e32 v25, vcc, v3, v5, vcc
	global_load_dwordx4 v[0:3], v[24:25], off
	v_mul_lo_u32 v78, v7, s26
	v_mul_lo_u32 v79, v6, s27
	v_mad_u64_u32 v[6:7], s[0:1], v6, s26, 0
	v_add3_u32 v7, v7, v79, v78
	v_lshlrev_b64 v[6:7], 4, v[6:7]
	v_mov_b32_e32 v80, s8
	v_add_co_u32_e32 v6, vcc, s7, v6
	v_addc_co_u32_e32 v7, vcc, v80, v7, vcc
	v_add_co_u32_e32 v4, vcc, v6, v4
	v_mul_f64 v[26:27], s[40:41], v[56:57]
	v_mul_f64 v[28:29], s[38:39], v[56:57]
	v_addc_co_u32_e32 v5, vcc, v7, v5, vcc
	v_fma_f64 v[26:27], s[38:39], v[54:55], -v[26:27]
	v_fmac_f64_e32 v[28:29], s[40:41], v[54:55]
	s_lshl_b64 s[0:1], s[20:21], 8
	s_lshl_b64 s[2:3], s[26:27], 8
	s_waitcnt vmcnt(0)
	v_mul_f64 v[6:7], s[16:17], v[2:3]
	v_mul_f64 v[2:3], s[14:15], v[2:3]
	v_fma_f64 v[6:7], s[14:15], v[0:1], -v[6:7]
	v_fmac_f64_e32 v[2:3], s[16:17], v[0:1]
	v_add_f64 v[0:1], v[26:27], v[6:7]
	v_add_f64 v[2:3], v[28:29], v[2:3]
	global_store_dwordx4 v[4:5], v[0:3], off
	global_load_dwordx4 v[0:3], v[24:25], off offset:256
	v_mul_f64 v[6:7], s[40:41], v[36:37]
	v_mul_f64 v[26:27], s[38:39], v[36:37]
	v_fma_f64 v[6:7], s[38:39], v[34:35], -v[6:7]
	v_fmac_f64_e32 v[26:27], s[40:41], v[34:35]
	s_waitcnt vmcnt(0)
	v_mul_f64 v[28:29], s[16:17], v[2:3]
	v_mul_f64 v[2:3], s[14:15], v[2:3]
	v_fma_f64 v[28:29], s[14:15], v[0:1], -v[28:29]
	v_fmac_f64_e32 v[2:3], s[16:17], v[0:1]
	v_add_f64 v[0:1], v[6:7], v[28:29]
	v_add_f64 v[2:3], v[26:27], v[2:3]
	global_store_dwordx4 v[4:5], v[0:3], off offset:256
	global_load_dwordx4 v[0:3], v[24:25], off offset:512
	v_mul_f64 v[6:7], s[40:41], v[32:33]
	v_mul_f64 v[26:27], s[38:39], v[32:33]
	v_fma_f64 v[6:7], s[38:39], v[30:31], -v[6:7]
	v_fmac_f64_e32 v[26:27], s[40:41], v[30:31]
	s_waitcnt vmcnt(0)
	v_mul_f64 v[28:29], s[16:17], v[2:3]
	v_mul_f64 v[2:3], s[14:15], v[2:3]
	v_fma_f64 v[28:29], s[14:15], v[0:1], -v[28:29]
	v_fmac_f64_e32 v[2:3], s[16:17], v[0:1]
	v_add_f64 v[0:1], v[6:7], v[28:29]
	v_add_f64 v[2:3], v[26:27], v[2:3]
	global_store_dwordx4 v[4:5], v[0:3], off offset:512
	global_load_dwordx4 v[0:3], v[24:25], off offset:768
	v_mul_f64 v[6:7], s[40:41], v[22:23]
	v_mul_f64 v[22:23], s[38:39], v[22:23]
	v_fma_f64 v[6:7], s[38:39], v[20:21], -v[6:7]
	v_fmac_f64_e32 v[22:23], s[40:41], v[20:21]
	v_mov_b32_e32 v26, s1
	v_add_co_u32_e32 v20, vcc, s0, v24
	v_addc_co_u32_e32 v21, vcc, v25, v26, vcc
	v_mov_b32_e32 v27, s3
	s_waitcnt vmcnt(0)
	v_mul_f64 v[24:25], s[16:17], v[2:3]
	v_mul_f64 v[2:3], s[14:15], v[2:3]
	v_fma_f64 v[24:25], s[14:15], v[0:1], -v[24:25]
	v_fmac_f64_e32 v[2:3], s[16:17], v[0:1]
	v_add_f64 v[0:1], v[6:7], v[24:25]
	v_add_f64 v[2:3], v[22:23], v[2:3]
	global_store_dwordx4 v[4:5], v[0:3], off offset:768
	global_load_dwordx4 v[0:3], v[20:21], off
	v_mul_f64 v[6:7], s[40:41], v[72:73]
	v_mul_f64 v[22:23], s[38:39], v[72:73]
	v_fma_f64 v[6:7], s[38:39], v[70:71], -v[6:7]
	v_fmac_f64_e32 v[22:23], s[40:41], v[70:71]
	v_add_co_u32_e32 v4, vcc, s2, v4
	v_addc_co_u32_e32 v5, vcc, v5, v27, vcc
	s_waitcnt vmcnt(0)
	v_mul_f64 v[24:25], s[16:17], v[2:3]
	v_mul_f64 v[2:3], s[14:15], v[2:3]
	v_fma_f64 v[24:25], s[14:15], v[0:1], -v[24:25]
	v_fmac_f64_e32 v[2:3], s[16:17], v[0:1]
	v_add_f64 v[0:1], v[6:7], v[24:25]
	v_add_f64 v[2:3], v[22:23], v[2:3]
	global_store_dwordx4 v[4:5], v[0:3], off
	global_load_dwordx4 v[0:3], v[20:21], off offset:256
	v_mul_f64 v[6:7], s[40:41], v[64:65]
	v_mul_f64 v[22:23], s[38:39], v[64:65]
	v_fma_f64 v[6:7], s[38:39], v[60:61], -v[6:7]
	v_fmac_f64_e32 v[22:23], s[40:41], v[60:61]
	s_waitcnt vmcnt(0)
	v_mul_f64 v[24:25], s[16:17], v[2:3]
	v_mul_f64 v[2:3], s[14:15], v[2:3]
	v_fma_f64 v[24:25], s[14:15], v[0:1], -v[24:25]
	v_fmac_f64_e32 v[2:3], s[16:17], v[0:1]
	v_add_f64 v[0:1], v[6:7], v[24:25]
	v_add_f64 v[2:3], v[22:23], v[2:3]
	global_store_dwordx4 v[4:5], v[0:3], off offset:256
	global_load_dwordx4 v[0:3], v[20:21], off offset:512
	v_mul_f64 v[6:7], s[40:41], v[52:53]
	v_mul_f64 v[22:23], s[38:39], v[52:53]
	v_fma_f64 v[6:7], s[38:39], v[48:49], -v[6:7]
	v_fmac_f64_e32 v[22:23], s[40:41], v[48:49]
	s_waitcnt vmcnt(0)
	v_mul_f64 v[24:25], s[16:17], v[2:3]
	v_mul_f64 v[2:3], s[14:15], v[2:3]
	v_fma_f64 v[24:25], s[14:15], v[0:1], -v[24:25]
	v_fmac_f64_e32 v[2:3], s[16:17], v[0:1]
	v_add_f64 v[0:1], v[6:7], v[24:25]
	v_add_f64 v[2:3], v[22:23], v[2:3]
	global_store_dwordx4 v[4:5], v[0:3], off offset:512
	global_load_dwordx4 v[0:3], v[20:21], off offset:768
	v_mul_f64 v[6:7], s[40:41], v[44:45]
	v_mul_f64 v[22:23], s[38:39], v[44:45]
	v_fma_f64 v[6:7], s[38:39], v[40:41], -v[6:7]
	v_fmac_f64_e32 v[22:23], s[40:41], v[40:41]
	v_add_co_u32_e32 v20, vcc, s0, v20
	v_addc_co_u32_e32 v21, vcc, v21, v26, vcc
	s_waitcnt vmcnt(0)
	v_mul_f64 v[24:25], s[16:17], v[2:3]
	v_mul_f64 v[2:3], s[14:15], v[2:3]
	v_fma_f64 v[24:25], s[14:15], v[0:1], -v[24:25]
	v_fmac_f64_e32 v[2:3], s[16:17], v[0:1]
	v_add_f64 v[0:1], v[6:7], v[24:25]
	v_add_f64 v[2:3], v[22:23], v[2:3]
	global_store_dwordx4 v[4:5], v[0:3], off offset:768
	global_load_dwordx4 v[0:3], v[20:21], off
	v_mul_f64 v[6:7], s[40:41], v[68:69]
	v_mul_f64 v[22:23], s[38:39], v[68:69]
	v_fma_f64 v[6:7], s[38:39], v[66:67], -v[6:7]
	v_fmac_f64_e32 v[22:23], s[40:41], v[66:67]
	v_add_co_u32_e32 v4, vcc, s2, v4
	v_addc_co_u32_e32 v5, vcc, v5, v27, vcc
	s_waitcnt vmcnt(0)
	v_mul_f64 v[24:25], s[16:17], v[2:3]
	v_mul_f64 v[2:3], s[14:15], v[2:3]
	v_fma_f64 v[24:25], s[14:15], v[0:1], -v[24:25]
	v_fmac_f64_e32 v[2:3], s[16:17], v[0:1]
	v_add_f64 v[0:1], v[6:7], v[24:25]
	v_add_f64 v[2:3], v[22:23], v[2:3]
	global_store_dwordx4 v[4:5], v[0:3], off
	global_load_dwordx4 v[0:3], v[20:21], off offset:256
	v_mul_f64 v[6:7], s[40:41], v[62:63]
	v_mul_f64 v[22:23], s[38:39], v[62:63]
	v_fma_f64 v[6:7], s[38:39], v[58:59], -v[6:7]
	v_fmac_f64_e32 v[22:23], s[40:41], v[58:59]
	s_waitcnt vmcnt(0)
	v_mul_f64 v[24:25], s[16:17], v[2:3]
	v_mul_f64 v[2:3], s[14:15], v[2:3]
	v_fma_f64 v[24:25], s[14:15], v[0:1], -v[24:25]
	v_fmac_f64_e32 v[2:3], s[16:17], v[0:1]
	v_add_f64 v[0:1], v[6:7], v[24:25]
	v_add_f64 v[2:3], v[22:23], v[2:3]
	global_store_dwordx4 v[4:5], v[0:3], off offset:256
	global_load_dwordx4 v[0:3], v[20:21], off offset:512
	v_mul_f64 v[6:7], s[40:41], v[50:51]
	v_mul_f64 v[22:23], s[38:39], v[50:51]
	v_fma_f64 v[6:7], s[38:39], v[46:47], -v[6:7]
	v_fmac_f64_e32 v[22:23], s[40:41], v[46:47]
	s_waitcnt vmcnt(0)
	v_mul_f64 v[24:25], s[16:17], v[2:3]
	v_mul_f64 v[2:3], s[14:15], v[2:3]
	v_fma_f64 v[24:25], s[14:15], v[0:1], -v[24:25]
	v_fmac_f64_e32 v[2:3], s[16:17], v[0:1]
	v_add_f64 v[0:1], v[6:7], v[24:25]
	v_add_f64 v[2:3], v[22:23], v[2:3]
	global_store_dwordx4 v[4:5], v[0:3], off offset:512
	global_load_dwordx4 v[0:3], v[20:21], off offset:768
	v_mul_f64 v[6:7], s[40:41], v[42:43]
	v_mul_f64 v[22:23], s[38:39], v[42:43]
	v_fma_f64 v[6:7], s[38:39], v[38:39], -v[6:7]
	v_fmac_f64_e32 v[22:23], s[40:41], v[38:39]
	v_add_co_u32_e32 v20, vcc, s0, v20
	v_addc_co_u32_e32 v21, vcc, v21, v26, vcc
	s_waitcnt vmcnt(0)
	v_mul_f64 v[24:25], s[16:17], v[2:3]
	v_mul_f64 v[2:3], s[14:15], v[2:3]
	v_fma_f64 v[24:25], s[14:15], v[0:1], -v[24:25]
	v_fmac_f64_e32 v[2:3], s[16:17], v[0:1]
	v_add_f64 v[0:1], v[6:7], v[24:25]
	v_add_f64 v[2:3], v[22:23], v[2:3]
	global_store_dwordx4 v[4:5], v[0:3], off offset:768
	global_load_dwordx4 v[0:3], v[20:21], off
	v_add_co_u32_e32 v24, vcc, s2, v4
	v_mul_f64 v[6:7], s[40:41], v[76:77]
	v_mul_f64 v[22:23], s[38:39], v[76:77]
	v_addc_co_u32_e32 v25, vcc, v5, v27, vcc
	v_fma_f64 v[6:7], s[38:39], v[74:75], -v[6:7]
	v_fmac_f64_e32 v[22:23], s[40:41], v[74:75]
	s_waitcnt vmcnt(0)
	v_mul_f64 v[4:5], s[16:17], v[2:3]
	v_mul_f64 v[2:3], s[14:15], v[2:3]
	v_fma_f64 v[4:5], s[14:15], v[0:1], -v[4:5]
	v_fmac_f64_e32 v[2:3], s[16:17], v[0:1]
	v_add_f64 v[0:1], v[6:7], v[4:5]
	v_add_f64 v[2:3], v[22:23], v[2:3]
	global_store_dwordx4 v[24:25], v[0:3], off
	global_load_dwordx4 v[0:3], v[20:21], off offset:256
	v_mul_f64 v[4:5], s[40:41], v[18:19]
	v_mul_f64 v[6:7], s[38:39], v[18:19]
	v_fma_f64 v[4:5], s[38:39], v[16:17], -v[4:5]
	v_fmac_f64_e32 v[6:7], s[40:41], v[16:17]
	s_waitcnt vmcnt(0)
	v_mul_f64 v[16:17], s[16:17], v[2:3]
	v_mul_f64 v[2:3], s[14:15], v[2:3]
	v_fma_f64 v[16:17], s[14:15], v[0:1], -v[16:17]
	v_fmac_f64_e32 v[2:3], s[16:17], v[0:1]
	v_add_f64 v[0:1], v[4:5], v[16:17]
	v_add_f64 v[2:3], v[6:7], v[2:3]
	global_store_dwordx4 v[24:25], v[0:3], off offset:256
	global_load_dwordx4 v[0:3], v[20:21], off offset:512
	v_mul_f64 v[4:5], s[40:41], v[14:15]
	v_mul_f64 v[6:7], s[38:39], v[14:15]
	v_fma_f64 v[4:5], s[38:39], v[12:13], -v[4:5]
	v_fmac_f64_e32 v[6:7], s[40:41], v[12:13]
	s_waitcnt vmcnt(0)
	v_mul_f64 v[12:13], s[16:17], v[2:3]
	v_mul_f64 v[2:3], s[14:15], v[2:3]
	v_fma_f64 v[12:13], s[14:15], v[0:1], -v[12:13]
	v_fmac_f64_e32 v[2:3], s[16:17], v[0:1]
	v_add_f64 v[0:1], v[4:5], v[12:13]
	v_add_f64 v[2:3], v[6:7], v[2:3]
	global_store_dwordx4 v[24:25], v[0:3], off offset:512
	global_load_dwordx4 v[4:7], v[20:21], off offset:768
	v_mul_f64 v[0:1], s[40:41], v[8:9]
	v_mul_f64 v[8:9], s[38:39], v[8:9]
	v_fma_f64 v[0:1], s[38:39], v[10:11], -v[0:1]
	v_fmac_f64_e32 v[8:9], s[40:41], v[10:11]
	v_add_co_u32_e32 v2, vcc, 0x300, v24
	v_addc_co_u32_e32 v3, vcc, 0, v25, vcc
	s_waitcnt vmcnt(0)
	v_mul_f64 v[10:11], s[16:17], v[6:7]
	v_mul_f64 v[6:7], s[14:15], v[6:7]
	v_fma_f64 v[10:11], s[14:15], v[4:5], -v[10:11]
	v_fmac_f64_e32 v[6:7], s[16:17], v[4:5]
	v_add_f64 v[0:1], v[0:1], v[10:11]
	v_add_f64 v[4:5], v[8:9], v[6:7]
	global_store_dwordx2 v[24:25], v[0:1], off offset:768
.LBB271_8:
	global_store_dwordx2 v[2:3], v[4:5], off offset:8
	s_endpgm
	.section	.rodata,"a",@progbits
	.p2align	6, 0x0
	.amdhsa_kernel _ZN12_GLOBAL__N_127rocblas_gemm_batched_kernelI19rocblas_complex_numIdELi16ELi16ELi64ELi64ELi4ELi64ELi4ELi4ELi64ELc84ELc67EKPKS2_S5_KPS2_EEvlllT_PT11_llSA_llS8_PT12_llPT13_lli
		.amdhsa_group_segment_fixed_size 8192
		.amdhsa_private_segment_fixed_size 0
		.amdhsa_kernarg_size 156
		.amdhsa_user_sgpr_count 6
		.amdhsa_user_sgpr_private_segment_buffer 1
		.amdhsa_user_sgpr_dispatch_ptr 0
		.amdhsa_user_sgpr_queue_ptr 0
		.amdhsa_user_sgpr_kernarg_segment_ptr 1
		.amdhsa_user_sgpr_dispatch_id 0
		.amdhsa_user_sgpr_flat_scratch_init 0
		.amdhsa_user_sgpr_kernarg_preload_length 0
		.amdhsa_user_sgpr_kernarg_preload_offset 0
		.amdhsa_user_sgpr_private_segment_size 0
		.amdhsa_uses_dynamic_stack 0
		.amdhsa_system_sgpr_private_segment_wavefront_offset 0
		.amdhsa_system_sgpr_workgroup_id_x 1
		.amdhsa_system_sgpr_workgroup_id_y 1
		.amdhsa_system_sgpr_workgroup_id_z 1
		.amdhsa_system_sgpr_workgroup_info 0
		.amdhsa_system_vgpr_workitem_id 1
		.amdhsa_next_free_vgpr 138
		.amdhsa_next_free_sgpr 52
		.amdhsa_accum_offset 140
		.amdhsa_reserve_vcc 1
		.amdhsa_reserve_flat_scratch 0
		.amdhsa_float_round_mode_32 0
		.amdhsa_float_round_mode_16_64 0
		.amdhsa_float_denorm_mode_32 3
		.amdhsa_float_denorm_mode_16_64 3
		.amdhsa_dx10_clamp 1
		.amdhsa_ieee_mode 1
		.amdhsa_fp16_overflow 0
		.amdhsa_tg_split 0
		.amdhsa_exception_fp_ieee_invalid_op 0
		.amdhsa_exception_fp_denorm_src 0
		.amdhsa_exception_fp_ieee_div_zero 0
		.amdhsa_exception_fp_ieee_overflow 0
		.amdhsa_exception_fp_ieee_underflow 0
		.amdhsa_exception_fp_ieee_inexact 0
		.amdhsa_exception_int_div_zero 0
	.end_amdhsa_kernel
	.section	.text._ZN12_GLOBAL__N_127rocblas_gemm_batched_kernelI19rocblas_complex_numIdELi16ELi16ELi64ELi64ELi4ELi64ELi4ELi4ELi64ELc84ELc67EKPKS2_S5_KPS2_EEvlllT_PT11_llSA_llS8_PT12_llPT13_lli,"axG",@progbits,_ZN12_GLOBAL__N_127rocblas_gemm_batched_kernelI19rocblas_complex_numIdELi16ELi16ELi64ELi64ELi4ELi64ELi4ELi4ELi64ELc84ELc67EKPKS2_S5_KPS2_EEvlllT_PT11_llSA_llS8_PT12_llPT13_lli,comdat
.Lfunc_end271:
	.size	_ZN12_GLOBAL__N_127rocblas_gemm_batched_kernelI19rocblas_complex_numIdELi16ELi16ELi64ELi64ELi4ELi64ELi4ELi4ELi64ELc84ELc67EKPKS2_S5_KPS2_EEvlllT_PT11_llSA_llS8_PT12_llPT13_lli, .Lfunc_end271-_ZN12_GLOBAL__N_127rocblas_gemm_batched_kernelI19rocblas_complex_numIdELi16ELi16ELi64ELi64ELi4ELi64ELi4ELi4ELi64ELc84ELc67EKPKS2_S5_KPS2_EEvlllT_PT11_llSA_llS8_PT12_llPT13_lli
                                        ; -- End function
	.section	.AMDGPU.csdata,"",@progbits
; Kernel info:
; codeLenInByte = 6728
; NumSgprs: 56
; NumVgprs: 138
; NumAgprs: 0
; TotalNumVgprs: 138
; ScratchSize: 0
; MemoryBound: 0
; FloatMode: 240
; IeeeMode: 1
; LDSByteSize: 8192 bytes/workgroup (compile time only)
; SGPRBlocks: 6
; VGPRBlocks: 17
; NumSGPRsForWavesPerEU: 56
; NumVGPRsForWavesPerEU: 138
; AccumOffset: 140
; Occupancy: 3
; WaveLimiterHint : 1
; COMPUTE_PGM_RSRC2:SCRATCH_EN: 0
; COMPUTE_PGM_RSRC2:USER_SGPR: 6
; COMPUTE_PGM_RSRC2:TRAP_HANDLER: 0
; COMPUTE_PGM_RSRC2:TGID_X_EN: 1
; COMPUTE_PGM_RSRC2:TGID_Y_EN: 1
; COMPUTE_PGM_RSRC2:TGID_Z_EN: 1
; COMPUTE_PGM_RSRC2:TIDIG_COMP_CNT: 1
; COMPUTE_PGM_RSRC3_GFX90A:ACCUM_OFFSET: 34
; COMPUTE_PGM_RSRC3_GFX90A:TG_SPLIT: 0
	.section	.text._ZN12_GLOBAL__N_127rocblas_gemm_batched_kernelI19rocblas_complex_numIdELi16ELi16ELi32ELi32ELi8ELi32ELi8ELi8ELi32ELc78ELc78EKPKS2_S5_KPS2_EEvlllT_PT11_llSA_llS8_PT12_llPT13_lli,"axG",@progbits,_ZN12_GLOBAL__N_127rocblas_gemm_batched_kernelI19rocblas_complex_numIdELi16ELi16ELi32ELi32ELi8ELi32ELi8ELi8ELi32ELc78ELc78EKPKS2_S5_KPS2_EEvlllT_PT11_llSA_llS8_PT12_llPT13_lli,comdat
	.globl	_ZN12_GLOBAL__N_127rocblas_gemm_batched_kernelI19rocblas_complex_numIdELi16ELi16ELi32ELi32ELi8ELi32ELi8ELi8ELi32ELc78ELc78EKPKS2_S5_KPS2_EEvlllT_PT11_llSA_llS8_PT12_llPT13_lli ; -- Begin function _ZN12_GLOBAL__N_127rocblas_gemm_batched_kernelI19rocblas_complex_numIdELi16ELi16ELi32ELi32ELi8ELi32ELi8ELi8ELi32ELc78ELc78EKPKS2_S5_KPS2_EEvlllT_PT11_llSA_llS8_PT12_llPT13_lli
	.p2align	8
	.type	_ZN12_GLOBAL__N_127rocblas_gemm_batched_kernelI19rocblas_complex_numIdELi16ELi16ELi32ELi32ELi8ELi32ELi8ELi8ELi32ELc78ELc78EKPKS2_S5_KPS2_EEvlllT_PT11_llSA_llS8_PT12_llPT13_lli,@function
_ZN12_GLOBAL__N_127rocblas_gemm_batched_kernelI19rocblas_complex_numIdELi16ELi16ELi32ELi32ELi8ELi32ELi8ELi8ELi32ELc78ELc78EKPKS2_S5_KPS2_EEvlllT_PT11_llSA_llS8_PT12_llPT13_lli: ; @_ZN12_GLOBAL__N_127rocblas_gemm_batched_kernelI19rocblas_complex_numIdELi16ELi16ELi32ELi32ELi8ELi32ELi8ELi8ELi32ELc78ELc78EKPKS2_S5_KPS2_EEvlllT_PT11_llSA_llS8_PT12_llPT13_lli
; %bb.0:
	s_load_dwordx16 s[36:51], s[4:5], 0x10
	s_load_dwordx16 s[12:27], s[4:5], 0x50
	s_mov_b32 s9, 0
	s_lshl_b64 s[28:29], s[8:9], 3
	s_mov_b32 s10, s7
	v_bfe_u32 v27, v0, 10, 10
	s_waitcnt lgkmcnt(0)
	s_add_u32 s0, s18, s28
	s_addc_u32 s1, s19, s29
	s_add_u32 s2, s24, s28
	s_addc_u32 s3, s25, s29
	s_load_dwordx2 s[0:1], s[0:1], 0x0
	s_ashr_i32 s7, s6, 31
	s_load_dwordx2 s[8:9], s[2:3], 0x0
	s_ashr_i32 s11, s10, 31
	v_cmp_lt_i64_e64 s[18:19], s[36:37], 1
	v_and_b32_e32 v26, 0x3ff, v0
	s_lshl_b64 s[2:3], s[6:7], 5
	s_lshl_b64 s[6:7], s[10:11], 5
	s_mov_b64 s[10:11], 0
	s_and_b64 vcc, exec, s[18:19]
	s_cbranch_vccnz .LBB272_3
; %bb.1:
	v_lshl_add_u32 v0, v27, 4, v26
	v_lshrrev_b32_e32 v1, 3, v0
	v_mov_b32_e32 v2, s7
	v_add_co_u32_e32 v6, vcc, s6, v1
	v_addc_co_u32_e32 v7, vcc, 0, v2, vcc
	v_and_b32_e32 v2, 7, v26
	v_and_b32_e32 v4, 31, v0
	v_lshrrev_b32_e32 v3, 5, v0
	v_lshlrev_b32_e32 v0, 4, v4
	v_lshlrev_b32_e32 v8, 4, v2
	s_add_u32 s18, s42, s28
	v_lshl_or_b32 v28, v3, 9, v0
	v_lshl_or_b32 v0, v1, 7, v8
	s_addc_u32 s19, s43, s29
	v_add_u32_e32 v29, 0x1000, v0
	v_mov_b32_e32 v0, 0x1000
	s_load_dwordx2 s[18:19], s[18:19], 0x0
	v_lshl_add_u32 v31, v27, 7, v0
	v_pk_mov_b32 v[0:1], s[2:3], s[2:3] op_sel:[0,1]
	v_mad_u64_u32 v[0:1], s[30:31], v3, s44, v[0:1]
	v_mov_b32_e32 v2, v1
	s_add_u32 s24, s48, s28
	v_mad_u64_u32 v[2:3], s[30:31], v3, s45, v[2:3]
	s_addc_u32 s25, s49, s29
	s_lshl_b64 s[28:29], s[46:47], 4
	v_mov_b32_e32 v1, v2
	v_add_co_u32_e32 v0, vcc, v0, v4
	v_addc_co_u32_e32 v1, vcc, 0, v1, vcc
	s_waitcnt lgkmcnt(0)
	s_add_u32 s18, s18, s28
	v_lshlrev_b64 v[0:1], 4, v[0:1]
	s_addc_u32 s19, s19, s29
	v_mov_b32_e32 v2, s19
	v_add_co_u32_e32 v4, vcc, s18, v0
	v_addc_co_u32_e32 v5, vcc, v2, v1, vcc
	v_mul_lo_u32 v2, s51, v6
	v_mul_lo_u32 v3, s50, v7
	v_mad_u64_u32 v[0:1], s[28:29], s50, v6, 0
	v_add3_u32 v1, v1, v3, v2
	s_load_dwordx2 s[24:25], s[24:25], 0x0
	v_lshlrev_b64 v[0:1], 4, v[0:1]
	s_lshl_b64 s[12:13], s[12:13], 4
	v_mov_b32_e32 v2, s13
	v_add_co_u32_e32 v0, vcc, s12, v0
	v_addc_co_u32_e32 v1, vcc, v1, v2, vcc
	v_add_co_u32_e32 v0, vcc, v0, v8
	v_addc_co_u32_e32 v1, vcc, 0, v1, vcc
	s_lshl_b64 s[18:19], s[44:45], 7
	s_waitcnt lgkmcnt(0)
	v_mov_b32_e32 v2, s25
	v_add_co_u32_e32 v6, vcc, s24, v0
	v_lshlrev_b32_e32 v30, 4, v26
	v_addc_co_u32_e32 v7, vcc, v2, v1, vcc
	v_pk_mov_b32 v[10:11], 0, 0
	v_mov_b32_e32 v32, s19
	v_pk_mov_b32 v[8:9], s[36:37], s[36:37] op_sel:[0,1]
	v_pk_mov_b32 v[12:13], 0, 0
	v_pk_mov_b32 v[20:21], 0, 0
	;; [unrolled: 1-line block ×7, first 2 shown]
.LBB272_2:                              ; =>This Inner Loop Header: Depth=1
	global_load_dwordx4 v[0:3], v[4:5], off
	v_add_co_u32_e32 v4, vcc, s18, v4
	v_addc_co_u32_e32 v5, vcc, v5, v32, vcc
	s_add_u32 s10, s10, 8
	s_addc_u32 s11, s11, 0
	s_waitcnt vmcnt(0)
	ds_write2_b64 v28, v[0:1], v[2:3] offset1:1
	global_load_dwordx4 v[0:3], v[6:7], off
	v_add_co_u32_e32 v6, vcc, 0x80, v6
	v_addc_co_u32_e32 v7, vcc, 0, v7, vcc
	v_cmp_lt_i64_e32 vcc, s[10:11], v[8:9]
	s_and_b64 vcc, exec, vcc
	s_waitcnt vmcnt(0)
	ds_write2_b64 v29, v[0:1], v[2:3] offset1:1
	s_waitcnt lgkmcnt(0)
	s_barrier
	ds_read_b128 v[34:37], v31
	ds_read_b128 v[38:41], v31 offset:16
	ds_read_b128 v[42:45], v31 offset:32
	;; [unrolled: 1-line block ×3, first 2 shown]
	ds_read_b128 v[46:49], v30
	s_waitcnt lgkmcnt(0)
	v_mul_f64 v[50:51], v[36:37], v[48:49]
	v_mul_f64 v[52:53], v[34:35], v[48:49]
	v_fma_f64 v[50:51], v[34:35], v[46:47], -v[50:51]
	v_fmac_f64_e32 v[52:53], v[36:37], v[46:47]
	v_add_f64 v[50:51], v[22:23], v[50:51]
	v_add_f64 v[52:53], v[24:25], v[52:53]
	ds_read_b128 v[22:25], v30 offset:256
	s_waitcnt lgkmcnt(0)
	v_mul_f64 v[54:55], v[36:37], v[24:25]
	v_fma_f64 v[54:55], v[34:35], v[22:23], -v[54:55]
	v_mul_f64 v[34:35], v[34:35], v[24:25]
	v_fmac_f64_e32 v[34:35], v[36:37], v[22:23]
	v_add_f64 v[36:37], v[14:15], v[54:55]
	v_add_f64 v[34:35], v[16:17], v[34:35]
	ds_read_b128 v[14:17], v31 offset:2048
	s_waitcnt lgkmcnt(0)
	v_mul_f64 v[54:55], v[16:17], v[48:49]
	v_fma_f64 v[54:55], v[14:15], v[46:47], -v[54:55]
	v_mul_f64 v[48:49], v[14:15], v[48:49]
	v_fmac_f64_e32 v[48:49], v[16:17], v[46:47]
	v_add_f64 v[46:47], v[18:19], v[54:55]
	v_mul_f64 v[18:19], v[16:17], v[24:25]
	v_fma_f64 v[18:19], v[14:15], v[22:23], -v[18:19]
	v_mul_f64 v[14:15], v[14:15], v[24:25]
	v_fmac_f64_e32 v[14:15], v[16:17], v[22:23]
	v_add_f64 v[22:23], v[12:13], v[18:19]
	v_add_f64 v[24:25], v[10:11], v[14:15]
	ds_read_b128 v[10:13], v30 offset:512
	v_add_f64 v[48:49], v[20:21], v[48:49]
	s_waitcnt lgkmcnt(0)
	v_mul_f64 v[14:15], v[40:41], v[12:13]
	v_mul_f64 v[16:17], v[38:39], v[12:13]
	v_fma_f64 v[14:15], v[38:39], v[10:11], -v[14:15]
	v_fmac_f64_e32 v[16:17], v[40:41], v[10:11]
	v_add_f64 v[50:51], v[50:51], v[14:15]
	v_add_f64 v[52:53], v[52:53], v[16:17]
	ds_read_b128 v[14:17], v30 offset:768
	s_waitcnt lgkmcnt(0)
	v_mul_f64 v[18:19], v[40:41], v[16:17]
	v_mul_f64 v[20:21], v[38:39], v[16:17]
	v_fma_f64 v[18:19], v[38:39], v[14:15], -v[18:19]
	v_fmac_f64_e32 v[20:21], v[40:41], v[14:15]
	v_add_f64 v[36:37], v[36:37], v[18:19]
	v_add_f64 v[34:35], v[34:35], v[20:21]
	ds_read_b128 v[18:21], v31 offset:2064
	s_waitcnt lgkmcnt(0)
	v_mul_f64 v[38:39], v[20:21], v[12:13]
	v_mul_f64 v[12:13], v[18:19], v[12:13]
	v_fmac_f64_e32 v[12:13], v[20:21], v[10:11]
	v_fma_f64 v[38:39], v[18:19], v[10:11], -v[38:39]
	v_add_f64 v[40:41], v[48:49], v[12:13]
	v_mul_f64 v[10:11], v[20:21], v[16:17]
	v_mul_f64 v[12:13], v[18:19], v[16:17]
	v_fma_f64 v[10:11], v[18:19], v[14:15], -v[10:11]
	v_fmac_f64_e32 v[12:13], v[20:21], v[14:15]
	v_add_f64 v[22:23], v[22:23], v[10:11]
	v_add_f64 v[24:25], v[24:25], v[12:13]
	ds_read_b128 v[10:13], v30 offset:1024
	v_add_f64 v[38:39], v[46:47], v[38:39]
	s_waitcnt lgkmcnt(0)
	v_mul_f64 v[14:15], v[44:45], v[12:13]
	v_mul_f64 v[16:17], v[42:43], v[12:13]
	v_fma_f64 v[14:15], v[42:43], v[10:11], -v[14:15]
	v_fmac_f64_e32 v[16:17], v[44:45], v[10:11]
	v_add_f64 v[46:47], v[50:51], v[14:15]
	v_add_f64 v[48:49], v[52:53], v[16:17]
	ds_read_b128 v[14:17], v30 offset:1280
	s_waitcnt lgkmcnt(0)
	v_mul_f64 v[18:19], v[44:45], v[16:17]
	v_mul_f64 v[20:21], v[42:43], v[16:17]
	v_fma_f64 v[18:19], v[42:43], v[14:15], -v[18:19]
	v_fmac_f64_e32 v[20:21], v[44:45], v[14:15]
	v_add_f64 v[36:37], v[36:37], v[18:19]
	v_add_f64 v[34:35], v[34:35], v[20:21]
	ds_read_b128 v[18:21], v31 offset:2080
	s_waitcnt lgkmcnt(0)
	v_mul_f64 v[42:43], v[20:21], v[12:13]
	v_mul_f64 v[12:13], v[18:19], v[12:13]
	v_fmac_f64_e32 v[12:13], v[20:21], v[10:11]
	v_fma_f64 v[42:43], v[18:19], v[10:11], -v[42:43]
	v_add_f64 v[40:41], v[40:41], v[12:13]
	v_mul_f64 v[10:11], v[20:21], v[16:17]
	v_mul_f64 v[12:13], v[18:19], v[16:17]
	v_fma_f64 v[10:11], v[18:19], v[14:15], -v[10:11]
	v_fmac_f64_e32 v[12:13], v[20:21], v[14:15]
	v_add_f64 v[18:19], v[22:23], v[10:11]
	v_add_f64 v[20:21], v[24:25], v[12:13]
	ds_read_b128 v[10:13], v30 offset:1536
	v_add_f64 v[38:39], v[38:39], v[42:43]
	s_waitcnt lgkmcnt(0)
	v_mul_f64 v[14:15], v[2:3], v[12:13]
	v_mul_f64 v[16:17], v[0:1], v[12:13]
	v_fma_f64 v[14:15], v[0:1], v[10:11], -v[14:15]
	v_fmac_f64_e32 v[16:17], v[2:3], v[10:11]
	v_add_f64 v[22:23], v[46:47], v[14:15]
	v_add_f64 v[24:25], v[48:49], v[16:17]
	ds_read_b128 v[14:17], v30 offset:1792
	s_waitcnt lgkmcnt(0)
	v_mul_f64 v[42:43], v[2:3], v[16:17]
	v_fma_f64 v[42:43], v[0:1], v[14:15], -v[42:43]
	v_mul_f64 v[0:1], v[0:1], v[16:17]
	v_fmac_f64_e32 v[0:1], v[2:3], v[14:15]
	v_add_f64 v[34:35], v[34:35], v[0:1]
	ds_read_b128 v[0:3], v31 offset:2096
	v_add_f64 v[36:37], v[36:37], v[42:43]
	s_waitcnt lgkmcnt(0)
	v_mul_f64 v[42:43], v[2:3], v[12:13]
	v_mul_f64 v[12:13], v[0:1], v[12:13]
	v_fma_f64 v[42:43], v[0:1], v[10:11], -v[42:43]
	v_fmac_f64_e32 v[12:13], v[2:3], v[10:11]
	v_mul_f64 v[10:11], v[2:3], v[16:17]
	v_fma_f64 v[10:11], v[0:1], v[14:15], -v[10:11]
	v_mul_f64 v[0:1], v[0:1], v[16:17]
	v_fmac_f64_e32 v[0:1], v[2:3], v[14:15]
	v_add_f64 v[40:41], v[40:41], v[12:13]
	v_add_f64 v[18:19], v[18:19], v[10:11]
	v_add_f64 v[20:21], v[20:21], v[0:1]
	ds_read_b128 v[0:3], v31 offset:64
	ds_read_b128 v[10:13], v30 offset:2048
	v_add_f64 v[38:39], v[38:39], v[42:43]
	s_waitcnt lgkmcnt(0)
	v_mul_f64 v[14:15], v[2:3], v[12:13]
	v_mul_f64 v[16:17], v[0:1], v[12:13]
	v_fma_f64 v[14:15], v[0:1], v[10:11], -v[14:15]
	v_fmac_f64_e32 v[16:17], v[2:3], v[10:11]
	v_add_f64 v[22:23], v[22:23], v[14:15]
	v_add_f64 v[24:25], v[24:25], v[16:17]
	ds_read_b128 v[14:17], v30 offset:2304
	s_waitcnt lgkmcnt(0)
	v_mul_f64 v[42:43], v[2:3], v[16:17]
	v_fma_f64 v[42:43], v[0:1], v[14:15], -v[42:43]
	v_mul_f64 v[0:1], v[0:1], v[16:17]
	v_fmac_f64_e32 v[0:1], v[2:3], v[14:15]
	v_add_f64 v[34:35], v[34:35], v[0:1]
	ds_read_b128 v[0:3], v31 offset:2112
	v_add_f64 v[36:37], v[36:37], v[42:43]
	s_waitcnt lgkmcnt(0)
	v_mul_f64 v[42:43], v[2:3], v[12:13]
	v_mul_f64 v[12:13], v[0:1], v[12:13]
	v_fma_f64 v[42:43], v[0:1], v[10:11], -v[42:43]
	v_fmac_f64_e32 v[12:13], v[2:3], v[10:11]
	v_mul_f64 v[10:11], v[2:3], v[16:17]
	v_fma_f64 v[10:11], v[0:1], v[14:15], -v[10:11]
	v_mul_f64 v[0:1], v[0:1], v[16:17]
	v_fmac_f64_e32 v[0:1], v[2:3], v[14:15]
	v_add_f64 v[40:41], v[40:41], v[12:13]
	v_add_f64 v[18:19], v[18:19], v[10:11]
	v_add_f64 v[20:21], v[20:21], v[0:1]
	ds_read_b128 v[0:3], v31 offset:80
	;; [unrolled: 31-line block ×4, first 2 shown]
	ds_read_b128 v[10:13], v30 offset:3584
	v_add_f64 v[38:39], v[38:39], v[34:35]
	ds_read_b128 v[34:37], v30 offset:3840
	s_waitcnt lgkmcnt(1)
	v_mul_f64 v[14:15], v[2:3], v[12:13]
	v_fma_f64 v[14:15], v[0:1], v[10:11], -v[14:15]
	v_add_f64 v[22:23], v[22:23], v[14:15]
	s_waitcnt lgkmcnt(0)
	v_mul_f64 v[14:15], v[2:3], v[36:37]
	v_mul_f64 v[16:17], v[0:1], v[12:13]
	v_fma_f64 v[14:15], v[0:1], v[34:35], -v[14:15]
	v_mul_f64 v[0:1], v[0:1], v[36:37]
	v_fmac_f64_e32 v[16:17], v[2:3], v[10:11]
	v_fmac_f64_e32 v[0:1], v[2:3], v[34:35]
	v_add_f64 v[24:25], v[24:25], v[16:17]
	v_add_f64 v[16:17], v[44:45], v[0:1]
	ds_read_b128 v[0:3], v31 offset:2160
	v_add_f64 v[14:15], v[42:43], v[14:15]
	s_waitcnt lgkmcnt(0)
	s_barrier
	v_mul_f64 v[18:19], v[2:3], v[12:13]
	v_mul_f64 v[12:13], v[0:1], v[12:13]
	v_fma_f64 v[18:19], v[0:1], v[10:11], -v[18:19]
	v_fmac_f64_e32 v[12:13], v[2:3], v[10:11]
	v_mul_f64 v[10:11], v[2:3], v[36:37]
	v_fma_f64 v[10:11], v[0:1], v[34:35], -v[10:11]
	v_mul_f64 v[0:1], v[0:1], v[36:37]
	v_fmac_f64_e32 v[0:1], v[2:3], v[34:35]
	v_add_f64 v[18:19], v[38:39], v[18:19]
	v_add_f64 v[20:21], v[40:41], v[12:13]
	;; [unrolled: 1-line block ×4, first 2 shown]
	s_cbranch_vccnz .LBB272_2
	s_branch .LBB272_4
.LBB272_3:
	v_pk_mov_b32 v[22:23], 0, 0
	v_pk_mov_b32 v[24:25], 0, 0
	;; [unrolled: 1-line block ×8, first 2 shown]
.LBB272_4:
	s_load_dwordx2 s[4:5], s[4:5], 0x90
	v_mov_b32_e32 v0, s7
	v_add_co_u32_e32 v6, vcc, s6, v27
	v_addc_co_u32_e32 v7, vcc, 0, v0, vcc
	s_waitcnt lgkmcnt(0)
	s_lshl_b64 s[4:5], s[4:5], 4
	s_add_u32 s7, s8, s4
	v_cmp_neq_f64_e64 s[10:11], s[14:15], 0
	v_cmp_neq_f64_e64 s[12:13], s[16:17], 0
	v_mov_b32_e32 v1, s3
	v_add_co_u32_e32 v0, vcc, s2, v26
	s_addc_u32 s8, s9, s5
	s_or_b64 s[10:11], s[10:11], s[12:13]
	v_addc_co_u32_e32 v1, vcc, 0, v1, vcc
	s_mov_b64 s[4:5], 0
	s_and_b64 vcc, exec, s[10:11]
	s_cbranch_vccnz .LBB272_6
; %bb.5:
	v_mul_lo_u32 v4, v7, s26
	v_mul_lo_u32 v5, v6, s27
	v_mad_u64_u32 v[2:3], s[2:3], v6, s26, 0
	v_add3_u32 v3, v3, v5, v4
	v_lshlrev_b64 v[2:3], 4, v[2:3]
	v_mov_b32_e32 v4, s8
	v_add_co_u32_e32 v26, vcc, s7, v2
	v_addc_co_u32_e32 v27, vcc, v4, v3, vcc
	v_lshlrev_b64 v[8:9], 4, v[0:1]
	v_mul_f64 v[2:3], s[40:41], v[24:25]
	v_mul_f64 v[4:5], s[38:39], v[24:25]
	v_add_co_u32_e32 v8, vcc, v26, v8
	v_fma_f64 v[2:3], s[38:39], v[22:23], -v[2:3]
	v_fmac_f64_e32 v[4:5], s[40:41], v[22:23]
	v_addc_co_u32_e32 v9, vcc, v27, v9, vcc
	global_store_dwordx4 v[8:9], v[2:5], off
	s_lshl_b64 s[2:3], s[26:27], 8
	v_mul_f64 v[2:3], s[40:41], v[16:17]
	v_mul_f64 v[4:5], s[38:39], v[16:17]
	v_fma_f64 v[2:3], s[38:39], v[14:15], -v[2:3]
	v_fmac_f64_e32 v[4:5], s[40:41], v[14:15]
	global_store_dwordx4 v[8:9], v[2:5], off offset:256
	v_mov_b32_e32 v26, s3
	v_mul_f64 v[2:3], s[40:41], v[20:21]
	v_mul_f64 v[4:5], s[38:39], v[20:21]
	v_add_co_u32_e32 v8, vcc, s2, v8
	v_fma_f64 v[2:3], s[38:39], v[18:19], -v[2:3]
	v_fmac_f64_e32 v[4:5], s[40:41], v[18:19]
	v_addc_co_u32_e32 v9, vcc, v9, v26, vcc
	global_store_dwordx4 v[8:9], v[2:5], off
	s_nop 0
	v_mul_f64 v[2:3], s[40:41], v[10:11]
	v_fma_f64 v[26:27], s[38:39], v[12:13], -v[2:3]
	v_mul_f64 v[4:5], s[38:39], v[10:11]
	v_add_co_u32_e32 v2, vcc, 0x100, v8
	v_fmac_f64_e32 v[4:5], s[40:41], v[12:13]
	v_addc_co_u32_e32 v3, vcc, 0, v9, vcc
	global_store_dwordx2 v[8:9], v[26:27], off offset:256
	s_andn2_b64 vcc, exec, s[4:5]
	s_cbranch_vccz .LBB272_7
	s_branch .LBB272_8
.LBB272_6:
                                        ; implicit-def: $vgpr4_vgpr5
                                        ; implicit-def: $vgpr2_vgpr3
.LBB272_7:
	s_lshl_b64 s[2:3], s[22:23], 4
	s_add_u32 s2, s0, s2
	s_addc_u32 s3, s1, s3
	v_mul_lo_u32 v4, v7, s20
	v_mul_lo_u32 v5, v6, s21
	v_mad_u64_u32 v[2:3], s[0:1], v6, s20, 0
	v_add3_u32 v3, v3, v5, v4
	v_lshlrev_b64 v[2:3], 4, v[2:3]
	v_mov_b32_e32 v4, s3
	v_add_co_u32_e32 v2, vcc, s2, v2
	v_addc_co_u32_e32 v3, vcc, v4, v3, vcc
	v_lshlrev_b64 v[4:5], 4, v[0:1]
	v_add_co_u32_e32 v8, vcc, v2, v4
	v_addc_co_u32_e32 v9, vcc, v3, v5, vcc
	global_load_dwordx4 v[0:3], v[8:9], off
	v_mul_lo_u32 v28, v7, s26
	v_mul_lo_u32 v29, v6, s27
	v_mad_u64_u32 v[6:7], s[0:1], v6, s26, 0
	v_add3_u32 v7, v7, v29, v28
	v_lshlrev_b64 v[6:7], 4, v[6:7]
	v_mov_b32_e32 v30, s8
	v_add_co_u32_e32 v6, vcc, s7, v6
	v_addc_co_u32_e32 v7, vcc, v30, v7, vcc
	v_add_co_u32_e32 v4, vcc, v6, v4
	v_mul_f64 v[26:27], s[40:41], v[24:25]
	v_mul_f64 v[24:25], s[38:39], v[24:25]
	v_addc_co_u32_e32 v5, vcc, v7, v5, vcc
	v_fma_f64 v[26:27], s[38:39], v[22:23], -v[26:27]
	v_fmac_f64_e32 v[24:25], s[40:41], v[22:23]
	s_lshl_b64 s[0:1], s[20:21], 8
	s_waitcnt vmcnt(0)
	v_mul_f64 v[6:7], s[16:17], v[2:3]
	v_mul_f64 v[2:3], s[14:15], v[2:3]
	v_fma_f64 v[6:7], s[14:15], v[0:1], -v[6:7]
	v_fmac_f64_e32 v[2:3], s[16:17], v[0:1]
	v_add_f64 v[0:1], v[26:27], v[6:7]
	v_add_f64 v[2:3], v[24:25], v[2:3]
	global_store_dwordx4 v[4:5], v[0:3], off
	global_load_dwordx4 v[0:3], v[8:9], off offset:256
	v_mul_f64 v[6:7], s[40:41], v[16:17]
	v_mul_f64 v[16:17], s[38:39], v[16:17]
	v_fma_f64 v[6:7], s[38:39], v[14:15], -v[6:7]
	v_fmac_f64_e32 v[16:17], s[40:41], v[14:15]
	v_mov_b32_e32 v14, s1
	v_add_co_u32_e32 v8, vcc, s0, v8
	v_addc_co_u32_e32 v9, vcc, v9, v14, vcc
	s_lshl_b64 s[0:1], s[26:27], 8
	s_waitcnt vmcnt(0)
	v_mul_f64 v[14:15], s[16:17], v[2:3]
	v_mul_f64 v[2:3], s[14:15], v[2:3]
	v_fma_f64 v[14:15], s[14:15], v[0:1], -v[14:15]
	v_fmac_f64_e32 v[2:3], s[16:17], v[0:1]
	v_add_f64 v[0:1], v[6:7], v[14:15]
	v_add_f64 v[2:3], v[16:17], v[2:3]
	global_store_dwordx4 v[4:5], v[0:3], off offset:256
	global_load_dwordx4 v[0:3], v[8:9], off
	v_mov_b32_e32 v17, s1
	v_add_co_u32_e32 v16, vcc, s0, v4
	v_mul_f64 v[6:7], s[40:41], v[20:21]
	v_mul_f64 v[14:15], s[38:39], v[20:21]
	v_addc_co_u32_e32 v17, vcc, v5, v17, vcc
	v_fma_f64 v[6:7], s[38:39], v[18:19], -v[6:7]
	v_fmac_f64_e32 v[14:15], s[40:41], v[18:19]
	s_waitcnt vmcnt(0)
	v_mul_f64 v[4:5], s[16:17], v[2:3]
	v_mul_f64 v[2:3], s[14:15], v[2:3]
	v_fma_f64 v[4:5], s[14:15], v[0:1], -v[4:5]
	v_fmac_f64_e32 v[2:3], s[16:17], v[0:1]
	v_add_f64 v[0:1], v[6:7], v[4:5]
	v_add_f64 v[2:3], v[14:15], v[2:3]
	global_store_dwordx4 v[16:17], v[0:3], off
	global_load_dwordx4 v[4:7], v[8:9], off offset:256
	v_mul_f64 v[0:1], s[40:41], v[10:11]
	v_mul_f64 v[8:9], s[38:39], v[10:11]
	v_fma_f64 v[0:1], s[38:39], v[12:13], -v[0:1]
	v_fmac_f64_e32 v[8:9], s[40:41], v[12:13]
	v_add_co_u32_e32 v2, vcc, 0x100, v16
	v_addc_co_u32_e32 v3, vcc, 0, v17, vcc
	s_waitcnt vmcnt(0)
	v_mul_f64 v[10:11], s[16:17], v[6:7]
	v_mul_f64 v[6:7], s[14:15], v[6:7]
	v_fma_f64 v[10:11], s[14:15], v[4:5], -v[10:11]
	v_fmac_f64_e32 v[6:7], s[16:17], v[4:5]
	v_add_f64 v[0:1], v[0:1], v[10:11]
	v_add_f64 v[4:5], v[8:9], v[6:7]
	global_store_dwordx2 v[16:17], v[0:1], off offset:256
.LBB272_8:
	global_store_dwordx2 v[2:3], v[4:5], off offset:8
	s_endpgm
	.section	.rodata,"a",@progbits
	.p2align	6, 0x0
	.amdhsa_kernel _ZN12_GLOBAL__N_127rocblas_gemm_batched_kernelI19rocblas_complex_numIdELi16ELi16ELi32ELi32ELi8ELi32ELi8ELi8ELi32ELc78ELc78EKPKS2_S5_KPS2_EEvlllT_PT11_llSA_llS8_PT12_llPT13_lli
		.amdhsa_group_segment_fixed_size 8192
		.amdhsa_private_segment_fixed_size 0
		.amdhsa_kernarg_size 156
		.amdhsa_user_sgpr_count 6
		.amdhsa_user_sgpr_private_segment_buffer 1
		.amdhsa_user_sgpr_dispatch_ptr 0
		.amdhsa_user_sgpr_queue_ptr 0
		.amdhsa_user_sgpr_kernarg_segment_ptr 1
		.amdhsa_user_sgpr_dispatch_id 0
		.amdhsa_user_sgpr_flat_scratch_init 0
		.amdhsa_user_sgpr_kernarg_preload_length 0
		.amdhsa_user_sgpr_kernarg_preload_offset 0
		.amdhsa_user_sgpr_private_segment_size 0
		.amdhsa_uses_dynamic_stack 0
		.amdhsa_system_sgpr_private_segment_wavefront_offset 0
		.amdhsa_system_sgpr_workgroup_id_x 1
		.amdhsa_system_sgpr_workgroup_id_y 1
		.amdhsa_system_sgpr_workgroup_id_z 1
		.amdhsa_system_sgpr_workgroup_info 0
		.amdhsa_system_vgpr_workitem_id 1
		.amdhsa_next_free_vgpr 56
		.amdhsa_next_free_sgpr 52
		.amdhsa_accum_offset 56
		.amdhsa_reserve_vcc 1
		.amdhsa_reserve_flat_scratch 0
		.amdhsa_float_round_mode_32 0
		.amdhsa_float_round_mode_16_64 0
		.amdhsa_float_denorm_mode_32 3
		.amdhsa_float_denorm_mode_16_64 3
		.amdhsa_dx10_clamp 1
		.amdhsa_ieee_mode 1
		.amdhsa_fp16_overflow 0
		.amdhsa_tg_split 0
		.amdhsa_exception_fp_ieee_invalid_op 0
		.amdhsa_exception_fp_denorm_src 0
		.amdhsa_exception_fp_ieee_div_zero 0
		.amdhsa_exception_fp_ieee_overflow 0
		.amdhsa_exception_fp_ieee_underflow 0
		.amdhsa_exception_fp_ieee_inexact 0
		.amdhsa_exception_int_div_zero 0
	.end_amdhsa_kernel
	.section	.text._ZN12_GLOBAL__N_127rocblas_gemm_batched_kernelI19rocblas_complex_numIdELi16ELi16ELi32ELi32ELi8ELi32ELi8ELi8ELi32ELc78ELc78EKPKS2_S5_KPS2_EEvlllT_PT11_llSA_llS8_PT12_llPT13_lli,"axG",@progbits,_ZN12_GLOBAL__N_127rocblas_gemm_batched_kernelI19rocblas_complex_numIdELi16ELi16ELi32ELi32ELi8ELi32ELi8ELi8ELi32ELc78ELc78EKPKS2_S5_KPS2_EEvlllT_PT11_llSA_llS8_PT12_llPT13_lli,comdat
.Lfunc_end272:
	.size	_ZN12_GLOBAL__N_127rocblas_gemm_batched_kernelI19rocblas_complex_numIdELi16ELi16ELi32ELi32ELi8ELi32ELi8ELi8ELi32ELc78ELc78EKPKS2_S5_KPS2_EEvlllT_PT11_llSA_llS8_PT12_llPT13_lli, .Lfunc_end272-_ZN12_GLOBAL__N_127rocblas_gemm_batched_kernelI19rocblas_complex_numIdELi16ELi16ELi32ELi32ELi8ELi32ELi8ELi8ELi32ELc78ELc78EKPKS2_S5_KPS2_EEvlllT_PT11_llSA_llS8_PT12_llPT13_lli
                                        ; -- End function
	.section	.AMDGPU.csdata,"",@progbits
; Kernel info:
; codeLenInByte = 3292
; NumSgprs: 56
; NumVgprs: 56
; NumAgprs: 0
; TotalNumVgprs: 56
; ScratchSize: 0
; MemoryBound: 0
; FloatMode: 240
; IeeeMode: 1
; LDSByteSize: 8192 bytes/workgroup (compile time only)
; SGPRBlocks: 6
; VGPRBlocks: 6
; NumSGPRsForWavesPerEU: 56
; NumVGPRsForWavesPerEU: 56
; AccumOffset: 56
; Occupancy: 8
; WaveLimiterHint : 1
; COMPUTE_PGM_RSRC2:SCRATCH_EN: 0
; COMPUTE_PGM_RSRC2:USER_SGPR: 6
; COMPUTE_PGM_RSRC2:TRAP_HANDLER: 0
; COMPUTE_PGM_RSRC2:TGID_X_EN: 1
; COMPUTE_PGM_RSRC2:TGID_Y_EN: 1
; COMPUTE_PGM_RSRC2:TGID_Z_EN: 1
; COMPUTE_PGM_RSRC2:TIDIG_COMP_CNT: 1
; COMPUTE_PGM_RSRC3_GFX90A:ACCUM_OFFSET: 13
; COMPUTE_PGM_RSRC3_GFX90A:TG_SPLIT: 0
	.section	.text._ZN12_GLOBAL__N_127rocblas_gemm_batched_kernelI19rocblas_complex_numIdELi16ELi16ELi32ELi32ELi8ELi32ELi8ELi8ELi32ELc84ELc78EKPKS2_S5_KPS2_EEvlllT_PT11_llSA_llS8_PT12_llPT13_lli,"axG",@progbits,_ZN12_GLOBAL__N_127rocblas_gemm_batched_kernelI19rocblas_complex_numIdELi16ELi16ELi32ELi32ELi8ELi32ELi8ELi8ELi32ELc84ELc78EKPKS2_S5_KPS2_EEvlllT_PT11_llSA_llS8_PT12_llPT13_lli,comdat
	.globl	_ZN12_GLOBAL__N_127rocblas_gemm_batched_kernelI19rocblas_complex_numIdELi16ELi16ELi32ELi32ELi8ELi32ELi8ELi8ELi32ELc84ELc78EKPKS2_S5_KPS2_EEvlllT_PT11_llSA_llS8_PT12_llPT13_lli ; -- Begin function _ZN12_GLOBAL__N_127rocblas_gemm_batched_kernelI19rocblas_complex_numIdELi16ELi16ELi32ELi32ELi8ELi32ELi8ELi8ELi32ELc84ELc78EKPKS2_S5_KPS2_EEvlllT_PT11_llSA_llS8_PT12_llPT13_lli
	.p2align	8
	.type	_ZN12_GLOBAL__N_127rocblas_gemm_batched_kernelI19rocblas_complex_numIdELi16ELi16ELi32ELi32ELi8ELi32ELi8ELi8ELi32ELc84ELc78EKPKS2_S5_KPS2_EEvlllT_PT11_llSA_llS8_PT12_llPT13_lli,@function
_ZN12_GLOBAL__N_127rocblas_gemm_batched_kernelI19rocblas_complex_numIdELi16ELi16ELi32ELi32ELi8ELi32ELi8ELi8ELi32ELc84ELc78EKPKS2_S5_KPS2_EEvlllT_PT11_llSA_llS8_PT12_llPT13_lli: ; @_ZN12_GLOBAL__N_127rocblas_gemm_batched_kernelI19rocblas_complex_numIdELi16ELi16ELi32ELi32ELi8ELi32ELi8ELi8ELi32ELc84ELc78EKPKS2_S5_KPS2_EEvlllT_PT11_llSA_llS8_PT12_llPT13_lli
; %bb.0:
	s_load_dwordx16 s[36:51], s[4:5], 0x10
	s_load_dwordx16 s[12:27], s[4:5], 0x50
	s_mov_b32 s9, 0
	s_lshl_b64 s[28:29], s[8:9], 3
	s_mov_b32 s10, s7
	v_bfe_u32 v27, v0, 10, 10
	s_waitcnt lgkmcnt(0)
	s_add_u32 s0, s18, s28
	s_addc_u32 s1, s19, s29
	s_add_u32 s2, s24, s28
	s_addc_u32 s3, s25, s29
	s_load_dwordx2 s[0:1], s[0:1], 0x0
	s_ashr_i32 s7, s6, 31
	s_load_dwordx2 s[8:9], s[2:3], 0x0
	s_ashr_i32 s11, s10, 31
	v_cmp_lt_i64_e64 s[18:19], s[36:37], 1
	v_and_b32_e32 v26, 0x3ff, v0
	s_lshl_b64 s[2:3], s[6:7], 5
	s_lshl_b64 s[6:7], s[10:11], 5
	s_mov_b64 s[10:11], 0
	s_and_b64 vcc, exec, s[18:19]
	s_cbranch_vccnz .LBB273_3
; %bb.1:
	v_lshl_add_u32 v0, v27, 4, v26
	v_and_b32_e32 v4, 7, v26
	v_and_b32_e32 v5, 31, v0
	v_lshrrev_b32_e32 v1, 3, v0
	v_lshrrev_b32_e32 v6, 5, v0
	v_lshlrev_b32_e32 v0, 4, v5
	v_lshlrev_b32_e32 v7, 4, v4
	v_mov_b32_e32 v2, s7
	v_add_co_u32_e32 v3, vcc, s6, v1
	v_lshl_or_b32 v28, v6, 9, v0
	v_lshl_or_b32 v0, v1, 7, v7
	s_add_u32 s18, s42, s28
	v_addc_co_u32_e32 v2, vcc, 0, v2, vcc
	v_add_u32_e32 v29, 0x1000, v0
	v_mov_b32_e32 v0, 0x1000
	s_addc_u32 s19, s43, s29
	v_lshl_add_u32 v31, v27, 7, v0
	v_mov_b32_e32 v0, s3
	v_add_co_u32_e32 v1, vcc, s2, v5
	s_add_u32 s24, s48, s28
	v_addc_co_u32_e32 v0, vcc, 0, v0, vcc
	s_addc_u32 s25, s49, s29
	v_mul_lo_u32 v4, s45, v1
	v_mul_lo_u32 v5, s44, v0
	v_mad_u64_u32 v[0:1], s[28:29], s44, v1, 0
	v_add3_u32 v1, v1, v5, v4
	s_load_dwordx2 s[18:19], s[18:19], 0x0
	v_lshlrev_b64 v[0:1], 4, v[0:1]
	s_lshl_b64 s[28:29], s[46:47], 4
	v_mov_b32_e32 v4, s29
	v_add_co_u32_e32 v0, vcc, s28, v0
	v_addc_co_u32_e32 v1, vcc, v1, v4, vcc
	v_lshlrev_b32_e32 v4, 4, v6
	v_add_co_u32_e32 v0, vcc, v0, v4
	v_addc_co_u32_e32 v1, vcc, 0, v1, vcc
	s_waitcnt lgkmcnt(0)
	v_mov_b32_e32 v5, s19
	v_add_co_u32_e32 v4, vcc, s18, v0
	v_addc_co_u32_e32 v5, vcc, v5, v1, vcc
	v_mul_lo_u32 v6, s51, v3
	v_mul_lo_u32 v2, s50, v2
	v_mad_u64_u32 v[0:1], s[18:19], s50, v3, 0
	v_add3_u32 v1, v1, v2, v6
	s_load_dwordx2 s[24:25], s[24:25], 0x0
	v_lshlrev_b64 v[0:1], 4, v[0:1]
	s_lshl_b64 s[12:13], s[12:13], 4
	v_mov_b32_e32 v2, s13
	v_add_co_u32_e32 v0, vcc, s12, v0
	v_addc_co_u32_e32 v1, vcc, v1, v2, vcc
	v_add_co_u32_e32 v0, vcc, v0, v7
	v_addc_co_u32_e32 v1, vcc, 0, v1, vcc
	s_waitcnt lgkmcnt(0)
	v_mov_b32_e32 v2, s25
	v_add_co_u32_e32 v6, vcc, s24, v0
	v_lshlrev_b32_e32 v30, 4, v26
	v_addc_co_u32_e32 v7, vcc, v2, v1, vcc
	v_pk_mov_b32 v[10:11], 0, 0
	v_pk_mov_b32 v[8:9], s[36:37], s[36:37] op_sel:[0,1]
	v_pk_mov_b32 v[12:13], 0, 0
	v_pk_mov_b32 v[20:21], 0, 0
	;; [unrolled: 1-line block ×7, first 2 shown]
.LBB273_2:                              ; =>This Inner Loop Header: Depth=1
	global_load_dwordx4 v[0:3], v[4:5], off
	v_add_co_u32_e32 v4, vcc, 0x80, v4
	v_addc_co_u32_e32 v5, vcc, 0, v5, vcc
	s_add_u32 s10, s10, 8
	s_addc_u32 s11, s11, 0
	s_waitcnt vmcnt(0)
	ds_write2_b64 v28, v[0:1], v[2:3] offset1:1
	global_load_dwordx4 v[0:3], v[6:7], off
	v_add_co_u32_e32 v6, vcc, 0x80, v6
	v_addc_co_u32_e32 v7, vcc, 0, v7, vcc
	v_cmp_lt_i64_e32 vcc, s[10:11], v[8:9]
	s_and_b64 vcc, exec, vcc
	s_waitcnt vmcnt(0)
	ds_write2_b64 v29, v[0:1], v[2:3] offset1:1
	s_waitcnt lgkmcnt(0)
	s_barrier
	ds_read_b128 v[32:35], v31
	ds_read_b128 v[36:39], v31 offset:16
	ds_read_b128 v[40:43], v31 offset:32
	;; [unrolled: 1-line block ×3, first 2 shown]
	ds_read_b128 v[44:47], v30
	s_waitcnt lgkmcnt(0)
	v_mul_f64 v[48:49], v[34:35], v[46:47]
	v_mul_f64 v[50:51], v[32:33], v[46:47]
	v_fma_f64 v[48:49], v[32:33], v[44:45], -v[48:49]
	v_fmac_f64_e32 v[50:51], v[34:35], v[44:45]
	v_add_f64 v[48:49], v[22:23], v[48:49]
	v_add_f64 v[50:51], v[24:25], v[50:51]
	ds_read_b128 v[22:25], v30 offset:256
	s_waitcnt lgkmcnt(0)
	v_mul_f64 v[52:53], v[34:35], v[24:25]
	v_fma_f64 v[52:53], v[32:33], v[22:23], -v[52:53]
	v_mul_f64 v[32:33], v[32:33], v[24:25]
	v_fmac_f64_e32 v[32:33], v[34:35], v[22:23]
	v_add_f64 v[34:35], v[14:15], v[52:53]
	v_add_f64 v[32:33], v[16:17], v[32:33]
	ds_read_b128 v[14:17], v31 offset:2048
	s_waitcnt lgkmcnt(0)
	v_mul_f64 v[52:53], v[16:17], v[46:47]
	v_fma_f64 v[52:53], v[14:15], v[44:45], -v[52:53]
	v_mul_f64 v[46:47], v[14:15], v[46:47]
	v_fmac_f64_e32 v[46:47], v[16:17], v[44:45]
	v_add_f64 v[44:45], v[18:19], v[52:53]
	v_mul_f64 v[18:19], v[16:17], v[24:25]
	v_fma_f64 v[18:19], v[14:15], v[22:23], -v[18:19]
	v_mul_f64 v[14:15], v[14:15], v[24:25]
	v_fmac_f64_e32 v[14:15], v[16:17], v[22:23]
	v_add_f64 v[22:23], v[12:13], v[18:19]
	v_add_f64 v[24:25], v[10:11], v[14:15]
	ds_read_b128 v[10:13], v30 offset:512
	v_add_f64 v[46:47], v[20:21], v[46:47]
	s_waitcnt lgkmcnt(0)
	v_mul_f64 v[14:15], v[38:39], v[12:13]
	v_mul_f64 v[16:17], v[36:37], v[12:13]
	v_fma_f64 v[14:15], v[36:37], v[10:11], -v[14:15]
	v_fmac_f64_e32 v[16:17], v[38:39], v[10:11]
	v_add_f64 v[48:49], v[48:49], v[14:15]
	v_add_f64 v[50:51], v[50:51], v[16:17]
	ds_read_b128 v[14:17], v30 offset:768
	s_waitcnt lgkmcnt(0)
	v_mul_f64 v[18:19], v[38:39], v[16:17]
	v_mul_f64 v[20:21], v[36:37], v[16:17]
	v_fma_f64 v[18:19], v[36:37], v[14:15], -v[18:19]
	v_fmac_f64_e32 v[20:21], v[38:39], v[14:15]
	v_add_f64 v[34:35], v[34:35], v[18:19]
	v_add_f64 v[32:33], v[32:33], v[20:21]
	ds_read_b128 v[18:21], v31 offset:2064
	s_waitcnt lgkmcnt(0)
	v_mul_f64 v[36:37], v[20:21], v[12:13]
	v_mul_f64 v[12:13], v[18:19], v[12:13]
	v_fmac_f64_e32 v[12:13], v[20:21], v[10:11]
	v_fma_f64 v[36:37], v[18:19], v[10:11], -v[36:37]
	v_add_f64 v[38:39], v[46:47], v[12:13]
	v_mul_f64 v[10:11], v[20:21], v[16:17]
	v_mul_f64 v[12:13], v[18:19], v[16:17]
	v_fma_f64 v[10:11], v[18:19], v[14:15], -v[10:11]
	v_fmac_f64_e32 v[12:13], v[20:21], v[14:15]
	v_add_f64 v[22:23], v[22:23], v[10:11]
	v_add_f64 v[24:25], v[24:25], v[12:13]
	ds_read_b128 v[10:13], v30 offset:1024
	v_add_f64 v[36:37], v[44:45], v[36:37]
	s_waitcnt lgkmcnt(0)
	v_mul_f64 v[14:15], v[42:43], v[12:13]
	v_mul_f64 v[16:17], v[40:41], v[12:13]
	v_fma_f64 v[14:15], v[40:41], v[10:11], -v[14:15]
	v_fmac_f64_e32 v[16:17], v[42:43], v[10:11]
	v_add_f64 v[44:45], v[48:49], v[14:15]
	v_add_f64 v[46:47], v[50:51], v[16:17]
	ds_read_b128 v[14:17], v30 offset:1280
	s_waitcnt lgkmcnt(0)
	v_mul_f64 v[18:19], v[42:43], v[16:17]
	v_mul_f64 v[20:21], v[40:41], v[16:17]
	v_fma_f64 v[18:19], v[40:41], v[14:15], -v[18:19]
	v_fmac_f64_e32 v[20:21], v[42:43], v[14:15]
	v_add_f64 v[34:35], v[34:35], v[18:19]
	v_add_f64 v[32:33], v[32:33], v[20:21]
	ds_read_b128 v[18:21], v31 offset:2080
	s_waitcnt lgkmcnt(0)
	v_mul_f64 v[40:41], v[20:21], v[12:13]
	v_mul_f64 v[12:13], v[18:19], v[12:13]
	v_fmac_f64_e32 v[12:13], v[20:21], v[10:11]
	v_fma_f64 v[40:41], v[18:19], v[10:11], -v[40:41]
	v_add_f64 v[38:39], v[38:39], v[12:13]
	v_mul_f64 v[10:11], v[20:21], v[16:17]
	v_mul_f64 v[12:13], v[18:19], v[16:17]
	v_fma_f64 v[10:11], v[18:19], v[14:15], -v[10:11]
	v_fmac_f64_e32 v[12:13], v[20:21], v[14:15]
	v_add_f64 v[18:19], v[22:23], v[10:11]
	v_add_f64 v[20:21], v[24:25], v[12:13]
	ds_read_b128 v[10:13], v30 offset:1536
	v_add_f64 v[36:37], v[36:37], v[40:41]
	s_waitcnt lgkmcnt(0)
	v_mul_f64 v[14:15], v[2:3], v[12:13]
	v_mul_f64 v[16:17], v[0:1], v[12:13]
	v_fma_f64 v[14:15], v[0:1], v[10:11], -v[14:15]
	v_fmac_f64_e32 v[16:17], v[2:3], v[10:11]
	v_add_f64 v[22:23], v[44:45], v[14:15]
	v_add_f64 v[24:25], v[46:47], v[16:17]
	ds_read_b128 v[14:17], v30 offset:1792
	s_waitcnt lgkmcnt(0)
	v_mul_f64 v[40:41], v[2:3], v[16:17]
	v_fma_f64 v[40:41], v[0:1], v[14:15], -v[40:41]
	v_mul_f64 v[0:1], v[0:1], v[16:17]
	v_fmac_f64_e32 v[0:1], v[2:3], v[14:15]
	v_add_f64 v[32:33], v[32:33], v[0:1]
	ds_read_b128 v[0:3], v31 offset:2096
	v_add_f64 v[34:35], v[34:35], v[40:41]
	s_waitcnt lgkmcnt(0)
	v_mul_f64 v[40:41], v[2:3], v[12:13]
	v_mul_f64 v[12:13], v[0:1], v[12:13]
	v_fma_f64 v[40:41], v[0:1], v[10:11], -v[40:41]
	v_fmac_f64_e32 v[12:13], v[2:3], v[10:11]
	v_mul_f64 v[10:11], v[2:3], v[16:17]
	v_fma_f64 v[10:11], v[0:1], v[14:15], -v[10:11]
	v_mul_f64 v[0:1], v[0:1], v[16:17]
	v_fmac_f64_e32 v[0:1], v[2:3], v[14:15]
	v_add_f64 v[38:39], v[38:39], v[12:13]
	v_add_f64 v[18:19], v[18:19], v[10:11]
	v_add_f64 v[20:21], v[20:21], v[0:1]
	ds_read_b128 v[0:3], v31 offset:64
	ds_read_b128 v[10:13], v30 offset:2048
	v_add_f64 v[36:37], v[36:37], v[40:41]
	s_waitcnt lgkmcnt(0)
	v_mul_f64 v[14:15], v[2:3], v[12:13]
	v_mul_f64 v[16:17], v[0:1], v[12:13]
	v_fma_f64 v[14:15], v[0:1], v[10:11], -v[14:15]
	v_fmac_f64_e32 v[16:17], v[2:3], v[10:11]
	v_add_f64 v[22:23], v[22:23], v[14:15]
	v_add_f64 v[24:25], v[24:25], v[16:17]
	ds_read_b128 v[14:17], v30 offset:2304
	s_waitcnt lgkmcnt(0)
	v_mul_f64 v[40:41], v[2:3], v[16:17]
	v_fma_f64 v[40:41], v[0:1], v[14:15], -v[40:41]
	v_mul_f64 v[0:1], v[0:1], v[16:17]
	v_fmac_f64_e32 v[0:1], v[2:3], v[14:15]
	v_add_f64 v[32:33], v[32:33], v[0:1]
	ds_read_b128 v[0:3], v31 offset:2112
	v_add_f64 v[34:35], v[34:35], v[40:41]
	s_waitcnt lgkmcnt(0)
	v_mul_f64 v[40:41], v[2:3], v[12:13]
	v_mul_f64 v[12:13], v[0:1], v[12:13]
	v_fma_f64 v[40:41], v[0:1], v[10:11], -v[40:41]
	v_fmac_f64_e32 v[12:13], v[2:3], v[10:11]
	v_mul_f64 v[10:11], v[2:3], v[16:17]
	v_fma_f64 v[10:11], v[0:1], v[14:15], -v[10:11]
	v_mul_f64 v[0:1], v[0:1], v[16:17]
	v_fmac_f64_e32 v[0:1], v[2:3], v[14:15]
	v_add_f64 v[38:39], v[38:39], v[12:13]
	v_add_f64 v[18:19], v[18:19], v[10:11]
	v_add_f64 v[20:21], v[20:21], v[0:1]
	ds_read_b128 v[0:3], v31 offset:80
	;; [unrolled: 31-line block ×4, first 2 shown]
	ds_read_b128 v[10:13], v30 offset:3584
	v_add_f64 v[36:37], v[36:37], v[32:33]
	ds_read_b128 v[32:35], v30 offset:3840
	s_waitcnt lgkmcnt(1)
	v_mul_f64 v[14:15], v[2:3], v[12:13]
	v_fma_f64 v[14:15], v[0:1], v[10:11], -v[14:15]
	v_add_f64 v[22:23], v[22:23], v[14:15]
	s_waitcnt lgkmcnt(0)
	v_mul_f64 v[14:15], v[2:3], v[34:35]
	v_mul_f64 v[16:17], v[0:1], v[12:13]
	v_fma_f64 v[14:15], v[0:1], v[32:33], -v[14:15]
	v_mul_f64 v[0:1], v[0:1], v[34:35]
	v_fmac_f64_e32 v[16:17], v[2:3], v[10:11]
	v_fmac_f64_e32 v[0:1], v[2:3], v[32:33]
	v_add_f64 v[24:25], v[24:25], v[16:17]
	v_add_f64 v[16:17], v[42:43], v[0:1]
	ds_read_b128 v[0:3], v31 offset:2160
	v_add_f64 v[14:15], v[40:41], v[14:15]
	s_waitcnt lgkmcnt(0)
	s_barrier
	v_mul_f64 v[18:19], v[2:3], v[12:13]
	v_mul_f64 v[12:13], v[0:1], v[12:13]
	v_fma_f64 v[18:19], v[0:1], v[10:11], -v[18:19]
	v_fmac_f64_e32 v[12:13], v[2:3], v[10:11]
	v_mul_f64 v[10:11], v[2:3], v[34:35]
	v_fma_f64 v[10:11], v[0:1], v[32:33], -v[10:11]
	v_mul_f64 v[0:1], v[0:1], v[34:35]
	v_fmac_f64_e32 v[0:1], v[2:3], v[32:33]
	v_add_f64 v[18:19], v[36:37], v[18:19]
	v_add_f64 v[20:21], v[38:39], v[12:13]
	;; [unrolled: 1-line block ×4, first 2 shown]
	s_cbranch_vccnz .LBB273_2
	s_branch .LBB273_4
.LBB273_3:
	v_pk_mov_b32 v[22:23], 0, 0
	v_pk_mov_b32 v[24:25], 0, 0
	;; [unrolled: 1-line block ×8, first 2 shown]
.LBB273_4:
	s_load_dwordx2 s[4:5], s[4:5], 0x90
	v_mov_b32_e32 v0, s7
	v_add_co_u32_e32 v6, vcc, s6, v27
	v_addc_co_u32_e32 v7, vcc, 0, v0, vcc
	s_waitcnt lgkmcnt(0)
	s_lshl_b64 s[4:5], s[4:5], 4
	s_add_u32 s7, s8, s4
	v_cmp_neq_f64_e64 s[10:11], s[14:15], 0
	v_cmp_neq_f64_e64 s[12:13], s[16:17], 0
	v_mov_b32_e32 v1, s3
	v_add_co_u32_e32 v0, vcc, s2, v26
	s_addc_u32 s8, s9, s5
	s_or_b64 s[10:11], s[10:11], s[12:13]
	v_addc_co_u32_e32 v1, vcc, 0, v1, vcc
	s_mov_b64 s[4:5], 0
	s_and_b64 vcc, exec, s[10:11]
	s_cbranch_vccnz .LBB273_6
; %bb.5:
	v_mul_lo_u32 v4, v7, s26
	v_mul_lo_u32 v5, v6, s27
	v_mad_u64_u32 v[2:3], s[2:3], v6, s26, 0
	v_add3_u32 v3, v3, v5, v4
	v_lshlrev_b64 v[2:3], 4, v[2:3]
	v_mov_b32_e32 v4, s8
	v_add_co_u32_e32 v26, vcc, s7, v2
	v_addc_co_u32_e32 v27, vcc, v4, v3, vcc
	v_lshlrev_b64 v[8:9], 4, v[0:1]
	v_mul_f64 v[2:3], s[40:41], v[24:25]
	v_mul_f64 v[4:5], s[38:39], v[24:25]
	v_add_co_u32_e32 v8, vcc, v26, v8
	v_fma_f64 v[2:3], s[38:39], v[22:23], -v[2:3]
	v_fmac_f64_e32 v[4:5], s[40:41], v[22:23]
	v_addc_co_u32_e32 v9, vcc, v27, v9, vcc
	global_store_dwordx4 v[8:9], v[2:5], off
	s_lshl_b64 s[2:3], s[26:27], 8
	v_mul_f64 v[2:3], s[40:41], v[16:17]
	v_mul_f64 v[4:5], s[38:39], v[16:17]
	v_fma_f64 v[2:3], s[38:39], v[14:15], -v[2:3]
	v_fmac_f64_e32 v[4:5], s[40:41], v[14:15]
	global_store_dwordx4 v[8:9], v[2:5], off offset:256
	v_mov_b32_e32 v26, s3
	v_mul_f64 v[2:3], s[40:41], v[20:21]
	v_mul_f64 v[4:5], s[38:39], v[20:21]
	v_add_co_u32_e32 v8, vcc, s2, v8
	v_fma_f64 v[2:3], s[38:39], v[18:19], -v[2:3]
	v_fmac_f64_e32 v[4:5], s[40:41], v[18:19]
	v_addc_co_u32_e32 v9, vcc, v9, v26, vcc
	global_store_dwordx4 v[8:9], v[2:5], off
	s_nop 0
	v_mul_f64 v[2:3], s[40:41], v[10:11]
	v_fma_f64 v[26:27], s[38:39], v[12:13], -v[2:3]
	v_mul_f64 v[4:5], s[38:39], v[10:11]
	v_add_co_u32_e32 v2, vcc, 0x100, v8
	v_fmac_f64_e32 v[4:5], s[40:41], v[12:13]
	v_addc_co_u32_e32 v3, vcc, 0, v9, vcc
	global_store_dwordx2 v[8:9], v[26:27], off offset:256
	s_andn2_b64 vcc, exec, s[4:5]
	s_cbranch_vccz .LBB273_7
	s_branch .LBB273_8
.LBB273_6:
                                        ; implicit-def: $vgpr4_vgpr5
                                        ; implicit-def: $vgpr2_vgpr3
.LBB273_7:
	s_lshl_b64 s[2:3], s[22:23], 4
	s_add_u32 s2, s0, s2
	s_addc_u32 s3, s1, s3
	v_mul_lo_u32 v4, v7, s20
	v_mul_lo_u32 v5, v6, s21
	v_mad_u64_u32 v[2:3], s[0:1], v6, s20, 0
	v_add3_u32 v3, v3, v5, v4
	v_lshlrev_b64 v[2:3], 4, v[2:3]
	v_mov_b32_e32 v4, s3
	v_add_co_u32_e32 v2, vcc, s2, v2
	v_addc_co_u32_e32 v3, vcc, v4, v3, vcc
	v_lshlrev_b64 v[4:5], 4, v[0:1]
	v_add_co_u32_e32 v8, vcc, v2, v4
	v_addc_co_u32_e32 v9, vcc, v3, v5, vcc
	global_load_dwordx4 v[0:3], v[8:9], off
	v_mul_lo_u32 v28, v7, s26
	v_mul_lo_u32 v29, v6, s27
	v_mad_u64_u32 v[6:7], s[0:1], v6, s26, 0
	v_add3_u32 v7, v7, v29, v28
	v_lshlrev_b64 v[6:7], 4, v[6:7]
	v_mov_b32_e32 v30, s8
	v_add_co_u32_e32 v6, vcc, s7, v6
	v_addc_co_u32_e32 v7, vcc, v30, v7, vcc
	v_add_co_u32_e32 v4, vcc, v6, v4
	v_mul_f64 v[26:27], s[40:41], v[24:25]
	v_mul_f64 v[24:25], s[38:39], v[24:25]
	v_addc_co_u32_e32 v5, vcc, v7, v5, vcc
	v_fma_f64 v[26:27], s[38:39], v[22:23], -v[26:27]
	v_fmac_f64_e32 v[24:25], s[40:41], v[22:23]
	s_lshl_b64 s[0:1], s[20:21], 8
	s_waitcnt vmcnt(0)
	v_mul_f64 v[6:7], s[16:17], v[2:3]
	v_mul_f64 v[2:3], s[14:15], v[2:3]
	v_fma_f64 v[6:7], s[14:15], v[0:1], -v[6:7]
	v_fmac_f64_e32 v[2:3], s[16:17], v[0:1]
	v_add_f64 v[0:1], v[26:27], v[6:7]
	v_add_f64 v[2:3], v[24:25], v[2:3]
	global_store_dwordx4 v[4:5], v[0:3], off
	global_load_dwordx4 v[0:3], v[8:9], off offset:256
	v_mul_f64 v[6:7], s[40:41], v[16:17]
	v_mul_f64 v[16:17], s[38:39], v[16:17]
	v_fma_f64 v[6:7], s[38:39], v[14:15], -v[6:7]
	v_fmac_f64_e32 v[16:17], s[40:41], v[14:15]
	v_mov_b32_e32 v14, s1
	v_add_co_u32_e32 v8, vcc, s0, v8
	v_addc_co_u32_e32 v9, vcc, v9, v14, vcc
	s_lshl_b64 s[0:1], s[26:27], 8
	s_waitcnt vmcnt(0)
	v_mul_f64 v[14:15], s[16:17], v[2:3]
	v_mul_f64 v[2:3], s[14:15], v[2:3]
	v_fma_f64 v[14:15], s[14:15], v[0:1], -v[14:15]
	v_fmac_f64_e32 v[2:3], s[16:17], v[0:1]
	v_add_f64 v[0:1], v[6:7], v[14:15]
	v_add_f64 v[2:3], v[16:17], v[2:3]
	global_store_dwordx4 v[4:5], v[0:3], off offset:256
	global_load_dwordx4 v[0:3], v[8:9], off
	v_mov_b32_e32 v17, s1
	v_add_co_u32_e32 v16, vcc, s0, v4
	v_mul_f64 v[6:7], s[40:41], v[20:21]
	v_mul_f64 v[14:15], s[38:39], v[20:21]
	v_addc_co_u32_e32 v17, vcc, v5, v17, vcc
	v_fma_f64 v[6:7], s[38:39], v[18:19], -v[6:7]
	v_fmac_f64_e32 v[14:15], s[40:41], v[18:19]
	s_waitcnt vmcnt(0)
	v_mul_f64 v[4:5], s[16:17], v[2:3]
	v_mul_f64 v[2:3], s[14:15], v[2:3]
	v_fma_f64 v[4:5], s[14:15], v[0:1], -v[4:5]
	v_fmac_f64_e32 v[2:3], s[16:17], v[0:1]
	v_add_f64 v[0:1], v[6:7], v[4:5]
	v_add_f64 v[2:3], v[14:15], v[2:3]
	global_store_dwordx4 v[16:17], v[0:3], off
	global_load_dwordx4 v[4:7], v[8:9], off offset:256
	v_mul_f64 v[0:1], s[40:41], v[10:11]
	v_mul_f64 v[8:9], s[38:39], v[10:11]
	v_fma_f64 v[0:1], s[38:39], v[12:13], -v[0:1]
	v_fmac_f64_e32 v[8:9], s[40:41], v[12:13]
	v_add_co_u32_e32 v2, vcc, 0x100, v16
	v_addc_co_u32_e32 v3, vcc, 0, v17, vcc
	s_waitcnt vmcnt(0)
	v_mul_f64 v[10:11], s[16:17], v[6:7]
	v_mul_f64 v[6:7], s[14:15], v[6:7]
	v_fma_f64 v[10:11], s[14:15], v[4:5], -v[10:11]
	v_fmac_f64_e32 v[6:7], s[16:17], v[4:5]
	v_add_f64 v[0:1], v[0:1], v[10:11]
	v_add_f64 v[4:5], v[8:9], v[6:7]
	global_store_dwordx2 v[16:17], v[0:1], off offset:256
.LBB273_8:
	global_store_dwordx2 v[2:3], v[4:5], off offset:8
	s_endpgm
	.section	.rodata,"a",@progbits
	.p2align	6, 0x0
	.amdhsa_kernel _ZN12_GLOBAL__N_127rocblas_gemm_batched_kernelI19rocblas_complex_numIdELi16ELi16ELi32ELi32ELi8ELi32ELi8ELi8ELi32ELc84ELc78EKPKS2_S5_KPS2_EEvlllT_PT11_llSA_llS8_PT12_llPT13_lli
		.amdhsa_group_segment_fixed_size 8192
		.amdhsa_private_segment_fixed_size 0
		.amdhsa_kernarg_size 156
		.amdhsa_user_sgpr_count 6
		.amdhsa_user_sgpr_private_segment_buffer 1
		.amdhsa_user_sgpr_dispatch_ptr 0
		.amdhsa_user_sgpr_queue_ptr 0
		.amdhsa_user_sgpr_kernarg_segment_ptr 1
		.amdhsa_user_sgpr_dispatch_id 0
		.amdhsa_user_sgpr_flat_scratch_init 0
		.amdhsa_user_sgpr_kernarg_preload_length 0
		.amdhsa_user_sgpr_kernarg_preload_offset 0
		.amdhsa_user_sgpr_private_segment_size 0
		.amdhsa_uses_dynamic_stack 0
		.amdhsa_system_sgpr_private_segment_wavefront_offset 0
		.amdhsa_system_sgpr_workgroup_id_x 1
		.amdhsa_system_sgpr_workgroup_id_y 1
		.amdhsa_system_sgpr_workgroup_id_z 1
		.amdhsa_system_sgpr_workgroup_info 0
		.amdhsa_system_vgpr_workitem_id 1
		.amdhsa_next_free_vgpr 54
		.amdhsa_next_free_sgpr 52
		.amdhsa_accum_offset 56
		.amdhsa_reserve_vcc 1
		.amdhsa_reserve_flat_scratch 0
		.amdhsa_float_round_mode_32 0
		.amdhsa_float_round_mode_16_64 0
		.amdhsa_float_denorm_mode_32 3
		.amdhsa_float_denorm_mode_16_64 3
		.amdhsa_dx10_clamp 1
		.amdhsa_ieee_mode 1
		.amdhsa_fp16_overflow 0
		.amdhsa_tg_split 0
		.amdhsa_exception_fp_ieee_invalid_op 0
		.amdhsa_exception_fp_denorm_src 0
		.amdhsa_exception_fp_ieee_div_zero 0
		.amdhsa_exception_fp_ieee_overflow 0
		.amdhsa_exception_fp_ieee_underflow 0
		.amdhsa_exception_fp_ieee_inexact 0
		.amdhsa_exception_int_div_zero 0
	.end_amdhsa_kernel
	.section	.text._ZN12_GLOBAL__N_127rocblas_gemm_batched_kernelI19rocblas_complex_numIdELi16ELi16ELi32ELi32ELi8ELi32ELi8ELi8ELi32ELc84ELc78EKPKS2_S5_KPS2_EEvlllT_PT11_llSA_llS8_PT12_llPT13_lli,"axG",@progbits,_ZN12_GLOBAL__N_127rocblas_gemm_batched_kernelI19rocblas_complex_numIdELi16ELi16ELi32ELi32ELi8ELi32ELi8ELi8ELi32ELc84ELc78EKPKS2_S5_KPS2_EEvlllT_PT11_llSA_llS8_PT12_llPT13_lli,comdat
.Lfunc_end273:
	.size	_ZN12_GLOBAL__N_127rocblas_gemm_batched_kernelI19rocblas_complex_numIdELi16ELi16ELi32ELi32ELi8ELi32ELi8ELi8ELi32ELc84ELc78EKPKS2_S5_KPS2_EEvlllT_PT11_llSA_llS8_PT12_llPT13_lli, .Lfunc_end273-_ZN12_GLOBAL__N_127rocblas_gemm_batched_kernelI19rocblas_complex_numIdELi16ELi16ELi32ELi32ELi8ELi32ELi8ELi8ELi32ELc84ELc78EKPKS2_S5_KPS2_EEvlllT_PT11_llSA_llS8_PT12_llPT13_lli
                                        ; -- End function
	.section	.AMDGPU.csdata,"",@progbits
; Kernel info:
; codeLenInByte = 3308
; NumSgprs: 56
; NumVgprs: 54
; NumAgprs: 0
; TotalNumVgprs: 54
; ScratchSize: 0
; MemoryBound: 0
; FloatMode: 240
; IeeeMode: 1
; LDSByteSize: 8192 bytes/workgroup (compile time only)
; SGPRBlocks: 6
; VGPRBlocks: 6
; NumSGPRsForWavesPerEU: 56
; NumVGPRsForWavesPerEU: 54
; AccumOffset: 56
; Occupancy: 8
; WaveLimiterHint : 1
; COMPUTE_PGM_RSRC2:SCRATCH_EN: 0
; COMPUTE_PGM_RSRC2:USER_SGPR: 6
; COMPUTE_PGM_RSRC2:TRAP_HANDLER: 0
; COMPUTE_PGM_RSRC2:TGID_X_EN: 1
; COMPUTE_PGM_RSRC2:TGID_Y_EN: 1
; COMPUTE_PGM_RSRC2:TGID_Z_EN: 1
; COMPUTE_PGM_RSRC2:TIDIG_COMP_CNT: 1
; COMPUTE_PGM_RSRC3_GFX90A:ACCUM_OFFSET: 13
; COMPUTE_PGM_RSRC3_GFX90A:TG_SPLIT: 0
	.section	.text._ZN12_GLOBAL__N_127rocblas_gemm_batched_kernelI19rocblas_complex_numIdELi16ELi16ELi32ELi32ELi8ELi32ELi8ELi8ELi32ELc78ELc84EKPKS2_S5_KPS2_EEvlllT_PT11_llSA_llS8_PT12_llPT13_lli,"axG",@progbits,_ZN12_GLOBAL__N_127rocblas_gemm_batched_kernelI19rocblas_complex_numIdELi16ELi16ELi32ELi32ELi8ELi32ELi8ELi8ELi32ELc78ELc84EKPKS2_S5_KPS2_EEvlllT_PT11_llSA_llS8_PT12_llPT13_lli,comdat
	.globl	_ZN12_GLOBAL__N_127rocblas_gemm_batched_kernelI19rocblas_complex_numIdELi16ELi16ELi32ELi32ELi8ELi32ELi8ELi8ELi32ELc78ELc84EKPKS2_S5_KPS2_EEvlllT_PT11_llSA_llS8_PT12_llPT13_lli ; -- Begin function _ZN12_GLOBAL__N_127rocblas_gemm_batched_kernelI19rocblas_complex_numIdELi16ELi16ELi32ELi32ELi8ELi32ELi8ELi8ELi32ELc78ELc84EKPKS2_S5_KPS2_EEvlllT_PT11_llSA_llS8_PT12_llPT13_lli
	.p2align	8
	.type	_ZN12_GLOBAL__N_127rocblas_gemm_batched_kernelI19rocblas_complex_numIdELi16ELi16ELi32ELi32ELi8ELi32ELi8ELi8ELi32ELc78ELc84EKPKS2_S5_KPS2_EEvlllT_PT11_llSA_llS8_PT12_llPT13_lli,@function
_ZN12_GLOBAL__N_127rocblas_gemm_batched_kernelI19rocblas_complex_numIdELi16ELi16ELi32ELi32ELi8ELi32ELi8ELi8ELi32ELc78ELc84EKPKS2_S5_KPS2_EEvlllT_PT11_llSA_llS8_PT12_llPT13_lli: ; @_ZN12_GLOBAL__N_127rocblas_gemm_batched_kernelI19rocblas_complex_numIdELi16ELi16ELi32ELi32ELi8ELi32ELi8ELi8ELi32ELc78ELc84EKPKS2_S5_KPS2_EEvlllT_PT11_llSA_llS8_PT12_llPT13_lli
; %bb.0:
	s_load_dwordx16 s[36:51], s[4:5], 0x10
	s_load_dwordx16 s[12:27], s[4:5], 0x50
	s_mov_b32 s9, 0
	s_lshl_b64 s[28:29], s[8:9], 3
	s_mov_b32 s10, s7
	v_bfe_u32 v27, v0, 10, 10
	s_waitcnt lgkmcnt(0)
	s_add_u32 s0, s18, s28
	s_addc_u32 s1, s19, s29
	s_add_u32 s2, s24, s28
	s_addc_u32 s3, s25, s29
	s_load_dwordx2 s[0:1], s[0:1], 0x0
	s_ashr_i32 s7, s6, 31
	s_load_dwordx2 s[8:9], s[2:3], 0x0
	s_ashr_i32 s11, s10, 31
	v_cmp_lt_i64_e64 s[18:19], s[36:37], 1
	v_and_b32_e32 v26, 0x3ff, v0
	s_lshl_b64 s[2:3], s[6:7], 5
	s_lshl_b64 s[6:7], s[10:11], 5
	s_mov_b64 s[10:11], 0
	s_and_b64 vcc, exec, s[18:19]
	s_cbranch_vccnz .LBB274_3
; %bb.1:
	v_lshl_add_u32 v4, v27, 4, v26
	s_add_u32 s18, s42, s28
	v_lshrrev_b32_e32 v5, 3, v4
	s_addc_u32 s19, s43, s29
	v_mov_b32_e32 v1, s7
	v_add_co_u32_e32 v0, vcc, s6, v5
	s_add_u32 s24, s48, s28
	v_addc_co_u32_e32 v1, vcc, 0, v1, vcc
	v_and_b32_e32 v6, 7, v26
	s_addc_u32 s25, s49, s29
	v_mad_u64_u32 v[0:1], s[28:29], v6, s50, v[0:1]
	v_mov_b32_e32 v2, v1
	v_mad_u64_u32 v[2:3], s[28:29], v6, s51, v[2:3]
	v_and_b32_e32 v7, 31, v4
	v_mov_b32_e32 v1, v2
	v_lshrrev_b32_e32 v8, 5, v4
	v_lshlrev_b32_e32 v2, 4, v7
	v_lshl_or_b32 v28, v8, 9, v2
	v_lshlrev_b32_e32 v2, 4, v6
	v_lshl_or_b32 v2, v5, 7, v2
	v_add_u32_e32 v29, 0x1000, v2
	v_mov_b32_e32 v2, 0x1000
	s_load_dwordx2 s[18:19], s[18:19], 0x0
	v_lshl_add_u32 v31, v27, 7, v2
	v_pk_mov_b32 v[2:3], s[2:3], s[2:3] op_sel:[0,1]
	v_mad_u64_u32 v[2:3], s[30:31], v8, s44, v[2:3]
	v_mov_b32_e32 v4, v3
	s_load_dwordx2 s[24:25], s[24:25], 0x0
	v_mad_u64_u32 v[4:5], s[30:31], v8, s45, v[4:5]
	s_lshl_b64 s[28:29], s[46:47], 4
	v_mov_b32_e32 v3, v4
	v_add_co_u32_e32 v2, vcc, v2, v7
	v_addc_co_u32_e32 v3, vcc, 0, v3, vcc
	s_waitcnt lgkmcnt(0)
	s_add_u32 s18, s18, s28
	v_lshlrev_b64 v[2:3], 4, v[2:3]
	s_addc_u32 s19, s19, s29
	v_mov_b32_e32 v5, s19
	v_add_co_u32_e32 v4, vcc, s18, v2
	s_lshl_b64 s[18:19], s[44:45], 7
	s_lshl_b64 s[12:13], s[12:13], 4
	s_add_u32 s12, s24, s12
	v_addc_co_u32_e32 v5, vcc, v5, v3, vcc
	v_lshlrev_b64 v[0:1], 4, v[0:1]
	s_addc_u32 s13, s25, s13
	v_mov_b32_e32 v2, s13
	v_add_co_u32_e32 v6, vcc, s12, v0
	s_lshl_b64 s[12:13], s[50:51], 7
	v_lshlrev_b32_e32 v30, 4, v26
	v_addc_co_u32_e32 v7, vcc, v2, v1, vcc
	v_pk_mov_b32 v[10:11], 0, 0
	v_mov_b32_e32 v32, s19
	v_mov_b32_e32 v33, s13
	v_pk_mov_b32 v[8:9], s[36:37], s[36:37] op_sel:[0,1]
	v_pk_mov_b32 v[12:13], 0, 0
	v_pk_mov_b32 v[20:21], 0, 0
	;; [unrolled: 1-line block ×7, first 2 shown]
.LBB274_2:                              ; =>This Inner Loop Header: Depth=1
	global_load_dwordx4 v[0:3], v[4:5], off
	v_add_co_u32_e32 v4, vcc, s18, v4
	v_addc_co_u32_e32 v5, vcc, v5, v32, vcc
	s_add_u32 s10, s10, 8
	s_addc_u32 s11, s11, 0
	s_waitcnt vmcnt(0)
	ds_write2_b64 v28, v[0:1], v[2:3] offset1:1
	global_load_dwordx4 v[0:3], v[6:7], off
	v_add_co_u32_e32 v6, vcc, s12, v6
	v_addc_co_u32_e32 v7, vcc, v7, v33, vcc
	v_cmp_lt_i64_e32 vcc, s[10:11], v[8:9]
	s_and_b64 vcc, exec, vcc
	s_waitcnt vmcnt(0)
	ds_write2_b64 v29, v[0:1], v[2:3] offset1:1
	s_waitcnt lgkmcnt(0)
	s_barrier
	ds_read_b128 v[34:37], v31
	ds_read_b128 v[38:41], v31 offset:16
	ds_read_b128 v[42:45], v31 offset:32
	;; [unrolled: 1-line block ×3, first 2 shown]
	ds_read_b128 v[46:49], v30
	s_waitcnt lgkmcnt(0)
	v_mul_f64 v[50:51], v[36:37], v[48:49]
	v_mul_f64 v[52:53], v[34:35], v[48:49]
	v_fma_f64 v[50:51], v[34:35], v[46:47], -v[50:51]
	v_fmac_f64_e32 v[52:53], v[36:37], v[46:47]
	v_add_f64 v[50:51], v[22:23], v[50:51]
	v_add_f64 v[52:53], v[24:25], v[52:53]
	ds_read_b128 v[22:25], v30 offset:256
	s_waitcnt lgkmcnt(0)
	v_mul_f64 v[54:55], v[36:37], v[24:25]
	v_fma_f64 v[54:55], v[34:35], v[22:23], -v[54:55]
	v_mul_f64 v[34:35], v[34:35], v[24:25]
	v_fmac_f64_e32 v[34:35], v[36:37], v[22:23]
	v_add_f64 v[36:37], v[14:15], v[54:55]
	v_add_f64 v[34:35], v[16:17], v[34:35]
	ds_read_b128 v[14:17], v31 offset:2048
	s_waitcnt lgkmcnt(0)
	v_mul_f64 v[54:55], v[16:17], v[48:49]
	v_fma_f64 v[54:55], v[14:15], v[46:47], -v[54:55]
	v_mul_f64 v[48:49], v[14:15], v[48:49]
	v_fmac_f64_e32 v[48:49], v[16:17], v[46:47]
	v_add_f64 v[46:47], v[18:19], v[54:55]
	v_mul_f64 v[18:19], v[16:17], v[24:25]
	v_fma_f64 v[18:19], v[14:15], v[22:23], -v[18:19]
	v_mul_f64 v[14:15], v[14:15], v[24:25]
	v_fmac_f64_e32 v[14:15], v[16:17], v[22:23]
	v_add_f64 v[22:23], v[12:13], v[18:19]
	v_add_f64 v[24:25], v[10:11], v[14:15]
	ds_read_b128 v[10:13], v30 offset:512
	v_add_f64 v[48:49], v[20:21], v[48:49]
	s_waitcnt lgkmcnt(0)
	v_mul_f64 v[14:15], v[40:41], v[12:13]
	v_mul_f64 v[16:17], v[38:39], v[12:13]
	v_fma_f64 v[14:15], v[38:39], v[10:11], -v[14:15]
	v_fmac_f64_e32 v[16:17], v[40:41], v[10:11]
	v_add_f64 v[50:51], v[50:51], v[14:15]
	v_add_f64 v[52:53], v[52:53], v[16:17]
	ds_read_b128 v[14:17], v30 offset:768
	s_waitcnt lgkmcnt(0)
	v_mul_f64 v[18:19], v[40:41], v[16:17]
	v_mul_f64 v[20:21], v[38:39], v[16:17]
	v_fma_f64 v[18:19], v[38:39], v[14:15], -v[18:19]
	v_fmac_f64_e32 v[20:21], v[40:41], v[14:15]
	v_add_f64 v[36:37], v[36:37], v[18:19]
	v_add_f64 v[34:35], v[34:35], v[20:21]
	ds_read_b128 v[18:21], v31 offset:2064
	s_waitcnt lgkmcnt(0)
	v_mul_f64 v[38:39], v[20:21], v[12:13]
	v_mul_f64 v[12:13], v[18:19], v[12:13]
	v_fmac_f64_e32 v[12:13], v[20:21], v[10:11]
	v_fma_f64 v[38:39], v[18:19], v[10:11], -v[38:39]
	v_add_f64 v[40:41], v[48:49], v[12:13]
	v_mul_f64 v[10:11], v[20:21], v[16:17]
	v_mul_f64 v[12:13], v[18:19], v[16:17]
	v_fma_f64 v[10:11], v[18:19], v[14:15], -v[10:11]
	v_fmac_f64_e32 v[12:13], v[20:21], v[14:15]
	v_add_f64 v[22:23], v[22:23], v[10:11]
	v_add_f64 v[24:25], v[24:25], v[12:13]
	ds_read_b128 v[10:13], v30 offset:1024
	v_add_f64 v[38:39], v[46:47], v[38:39]
	s_waitcnt lgkmcnt(0)
	v_mul_f64 v[14:15], v[44:45], v[12:13]
	v_mul_f64 v[16:17], v[42:43], v[12:13]
	v_fma_f64 v[14:15], v[42:43], v[10:11], -v[14:15]
	v_fmac_f64_e32 v[16:17], v[44:45], v[10:11]
	v_add_f64 v[46:47], v[50:51], v[14:15]
	v_add_f64 v[48:49], v[52:53], v[16:17]
	ds_read_b128 v[14:17], v30 offset:1280
	s_waitcnt lgkmcnt(0)
	v_mul_f64 v[18:19], v[44:45], v[16:17]
	v_mul_f64 v[20:21], v[42:43], v[16:17]
	v_fma_f64 v[18:19], v[42:43], v[14:15], -v[18:19]
	v_fmac_f64_e32 v[20:21], v[44:45], v[14:15]
	v_add_f64 v[36:37], v[36:37], v[18:19]
	v_add_f64 v[34:35], v[34:35], v[20:21]
	ds_read_b128 v[18:21], v31 offset:2080
	s_waitcnt lgkmcnt(0)
	v_mul_f64 v[42:43], v[20:21], v[12:13]
	v_mul_f64 v[12:13], v[18:19], v[12:13]
	v_fmac_f64_e32 v[12:13], v[20:21], v[10:11]
	v_fma_f64 v[42:43], v[18:19], v[10:11], -v[42:43]
	v_add_f64 v[40:41], v[40:41], v[12:13]
	v_mul_f64 v[10:11], v[20:21], v[16:17]
	v_mul_f64 v[12:13], v[18:19], v[16:17]
	v_fma_f64 v[10:11], v[18:19], v[14:15], -v[10:11]
	v_fmac_f64_e32 v[12:13], v[20:21], v[14:15]
	v_add_f64 v[18:19], v[22:23], v[10:11]
	v_add_f64 v[20:21], v[24:25], v[12:13]
	ds_read_b128 v[10:13], v30 offset:1536
	v_add_f64 v[38:39], v[38:39], v[42:43]
	s_waitcnt lgkmcnt(0)
	v_mul_f64 v[14:15], v[2:3], v[12:13]
	v_mul_f64 v[16:17], v[0:1], v[12:13]
	v_fma_f64 v[14:15], v[0:1], v[10:11], -v[14:15]
	v_fmac_f64_e32 v[16:17], v[2:3], v[10:11]
	v_add_f64 v[22:23], v[46:47], v[14:15]
	v_add_f64 v[24:25], v[48:49], v[16:17]
	ds_read_b128 v[14:17], v30 offset:1792
	s_waitcnt lgkmcnt(0)
	v_mul_f64 v[42:43], v[2:3], v[16:17]
	v_fma_f64 v[42:43], v[0:1], v[14:15], -v[42:43]
	v_mul_f64 v[0:1], v[0:1], v[16:17]
	v_fmac_f64_e32 v[0:1], v[2:3], v[14:15]
	v_add_f64 v[34:35], v[34:35], v[0:1]
	ds_read_b128 v[0:3], v31 offset:2096
	v_add_f64 v[36:37], v[36:37], v[42:43]
	s_waitcnt lgkmcnt(0)
	v_mul_f64 v[42:43], v[2:3], v[12:13]
	v_mul_f64 v[12:13], v[0:1], v[12:13]
	v_fma_f64 v[42:43], v[0:1], v[10:11], -v[42:43]
	v_fmac_f64_e32 v[12:13], v[2:3], v[10:11]
	v_mul_f64 v[10:11], v[2:3], v[16:17]
	v_fma_f64 v[10:11], v[0:1], v[14:15], -v[10:11]
	v_mul_f64 v[0:1], v[0:1], v[16:17]
	v_fmac_f64_e32 v[0:1], v[2:3], v[14:15]
	v_add_f64 v[40:41], v[40:41], v[12:13]
	v_add_f64 v[18:19], v[18:19], v[10:11]
	v_add_f64 v[20:21], v[20:21], v[0:1]
	ds_read_b128 v[0:3], v31 offset:64
	ds_read_b128 v[10:13], v30 offset:2048
	v_add_f64 v[38:39], v[38:39], v[42:43]
	s_waitcnt lgkmcnt(0)
	v_mul_f64 v[14:15], v[2:3], v[12:13]
	v_mul_f64 v[16:17], v[0:1], v[12:13]
	v_fma_f64 v[14:15], v[0:1], v[10:11], -v[14:15]
	v_fmac_f64_e32 v[16:17], v[2:3], v[10:11]
	v_add_f64 v[22:23], v[22:23], v[14:15]
	v_add_f64 v[24:25], v[24:25], v[16:17]
	ds_read_b128 v[14:17], v30 offset:2304
	s_waitcnt lgkmcnt(0)
	v_mul_f64 v[42:43], v[2:3], v[16:17]
	v_fma_f64 v[42:43], v[0:1], v[14:15], -v[42:43]
	v_mul_f64 v[0:1], v[0:1], v[16:17]
	v_fmac_f64_e32 v[0:1], v[2:3], v[14:15]
	v_add_f64 v[34:35], v[34:35], v[0:1]
	ds_read_b128 v[0:3], v31 offset:2112
	v_add_f64 v[36:37], v[36:37], v[42:43]
	s_waitcnt lgkmcnt(0)
	v_mul_f64 v[42:43], v[2:3], v[12:13]
	v_mul_f64 v[12:13], v[0:1], v[12:13]
	v_fma_f64 v[42:43], v[0:1], v[10:11], -v[42:43]
	v_fmac_f64_e32 v[12:13], v[2:3], v[10:11]
	v_mul_f64 v[10:11], v[2:3], v[16:17]
	v_fma_f64 v[10:11], v[0:1], v[14:15], -v[10:11]
	v_mul_f64 v[0:1], v[0:1], v[16:17]
	v_fmac_f64_e32 v[0:1], v[2:3], v[14:15]
	v_add_f64 v[40:41], v[40:41], v[12:13]
	v_add_f64 v[18:19], v[18:19], v[10:11]
	v_add_f64 v[20:21], v[20:21], v[0:1]
	ds_read_b128 v[0:3], v31 offset:80
	;; [unrolled: 31-line block ×4, first 2 shown]
	ds_read_b128 v[10:13], v30 offset:3584
	v_add_f64 v[38:39], v[38:39], v[34:35]
	ds_read_b128 v[34:37], v30 offset:3840
	s_waitcnt lgkmcnt(1)
	v_mul_f64 v[14:15], v[2:3], v[12:13]
	v_fma_f64 v[14:15], v[0:1], v[10:11], -v[14:15]
	v_add_f64 v[22:23], v[22:23], v[14:15]
	s_waitcnt lgkmcnt(0)
	v_mul_f64 v[14:15], v[2:3], v[36:37]
	v_mul_f64 v[16:17], v[0:1], v[12:13]
	v_fma_f64 v[14:15], v[0:1], v[34:35], -v[14:15]
	v_mul_f64 v[0:1], v[0:1], v[36:37]
	v_fmac_f64_e32 v[16:17], v[2:3], v[10:11]
	v_fmac_f64_e32 v[0:1], v[2:3], v[34:35]
	v_add_f64 v[24:25], v[24:25], v[16:17]
	v_add_f64 v[16:17], v[44:45], v[0:1]
	ds_read_b128 v[0:3], v31 offset:2160
	v_add_f64 v[14:15], v[42:43], v[14:15]
	s_waitcnt lgkmcnt(0)
	s_barrier
	v_mul_f64 v[18:19], v[2:3], v[12:13]
	v_mul_f64 v[12:13], v[0:1], v[12:13]
	v_fma_f64 v[18:19], v[0:1], v[10:11], -v[18:19]
	v_fmac_f64_e32 v[12:13], v[2:3], v[10:11]
	v_mul_f64 v[10:11], v[2:3], v[36:37]
	v_fma_f64 v[10:11], v[0:1], v[34:35], -v[10:11]
	v_mul_f64 v[0:1], v[0:1], v[36:37]
	v_fmac_f64_e32 v[0:1], v[2:3], v[34:35]
	v_add_f64 v[18:19], v[38:39], v[18:19]
	v_add_f64 v[20:21], v[40:41], v[12:13]
	v_add_f64 v[12:13], v[46:47], v[10:11]
	v_add_f64 v[10:11], v[48:49], v[0:1]
	s_cbranch_vccnz .LBB274_2
	s_branch .LBB274_4
.LBB274_3:
	v_pk_mov_b32 v[22:23], 0, 0
	v_pk_mov_b32 v[24:25], 0, 0
	;; [unrolled: 1-line block ×8, first 2 shown]
.LBB274_4:
	s_load_dwordx2 s[4:5], s[4:5], 0x90
	v_mov_b32_e32 v0, s7
	v_add_co_u32_e32 v6, vcc, s6, v27
	v_addc_co_u32_e32 v7, vcc, 0, v0, vcc
	s_waitcnt lgkmcnt(0)
	s_lshl_b64 s[4:5], s[4:5], 4
	s_add_u32 s7, s8, s4
	v_cmp_neq_f64_e64 s[10:11], s[14:15], 0
	v_cmp_neq_f64_e64 s[12:13], s[16:17], 0
	v_mov_b32_e32 v1, s3
	v_add_co_u32_e32 v0, vcc, s2, v26
	s_addc_u32 s8, s9, s5
	s_or_b64 s[10:11], s[10:11], s[12:13]
	v_addc_co_u32_e32 v1, vcc, 0, v1, vcc
	s_mov_b64 s[4:5], 0
	s_and_b64 vcc, exec, s[10:11]
	s_cbranch_vccnz .LBB274_6
; %bb.5:
	v_mul_lo_u32 v4, v7, s26
	v_mul_lo_u32 v5, v6, s27
	v_mad_u64_u32 v[2:3], s[2:3], v6, s26, 0
	v_add3_u32 v3, v3, v5, v4
	v_lshlrev_b64 v[2:3], 4, v[2:3]
	v_mov_b32_e32 v4, s8
	v_add_co_u32_e32 v26, vcc, s7, v2
	v_addc_co_u32_e32 v27, vcc, v4, v3, vcc
	v_lshlrev_b64 v[8:9], 4, v[0:1]
	v_mul_f64 v[2:3], s[40:41], v[24:25]
	v_mul_f64 v[4:5], s[38:39], v[24:25]
	v_add_co_u32_e32 v8, vcc, v26, v8
	v_fma_f64 v[2:3], s[38:39], v[22:23], -v[2:3]
	v_fmac_f64_e32 v[4:5], s[40:41], v[22:23]
	v_addc_co_u32_e32 v9, vcc, v27, v9, vcc
	global_store_dwordx4 v[8:9], v[2:5], off
	s_lshl_b64 s[2:3], s[26:27], 8
	v_mul_f64 v[2:3], s[40:41], v[16:17]
	v_mul_f64 v[4:5], s[38:39], v[16:17]
	v_fma_f64 v[2:3], s[38:39], v[14:15], -v[2:3]
	v_fmac_f64_e32 v[4:5], s[40:41], v[14:15]
	global_store_dwordx4 v[8:9], v[2:5], off offset:256
	v_mov_b32_e32 v26, s3
	v_mul_f64 v[2:3], s[40:41], v[20:21]
	v_mul_f64 v[4:5], s[38:39], v[20:21]
	v_add_co_u32_e32 v8, vcc, s2, v8
	v_fma_f64 v[2:3], s[38:39], v[18:19], -v[2:3]
	v_fmac_f64_e32 v[4:5], s[40:41], v[18:19]
	v_addc_co_u32_e32 v9, vcc, v9, v26, vcc
	global_store_dwordx4 v[8:9], v[2:5], off
	s_nop 0
	v_mul_f64 v[2:3], s[40:41], v[10:11]
	v_fma_f64 v[26:27], s[38:39], v[12:13], -v[2:3]
	v_mul_f64 v[4:5], s[38:39], v[10:11]
	v_add_co_u32_e32 v2, vcc, 0x100, v8
	v_fmac_f64_e32 v[4:5], s[40:41], v[12:13]
	v_addc_co_u32_e32 v3, vcc, 0, v9, vcc
	global_store_dwordx2 v[8:9], v[26:27], off offset:256
	s_andn2_b64 vcc, exec, s[4:5]
	s_cbranch_vccz .LBB274_7
	s_branch .LBB274_8
.LBB274_6:
                                        ; implicit-def: $vgpr4_vgpr5
                                        ; implicit-def: $vgpr2_vgpr3
.LBB274_7:
	s_lshl_b64 s[2:3], s[22:23], 4
	s_add_u32 s2, s0, s2
	s_addc_u32 s3, s1, s3
	v_mul_lo_u32 v4, v7, s20
	v_mul_lo_u32 v5, v6, s21
	v_mad_u64_u32 v[2:3], s[0:1], v6, s20, 0
	v_add3_u32 v3, v3, v5, v4
	v_lshlrev_b64 v[2:3], 4, v[2:3]
	v_mov_b32_e32 v4, s3
	v_add_co_u32_e32 v2, vcc, s2, v2
	v_addc_co_u32_e32 v3, vcc, v4, v3, vcc
	v_lshlrev_b64 v[4:5], 4, v[0:1]
	v_add_co_u32_e32 v8, vcc, v2, v4
	v_addc_co_u32_e32 v9, vcc, v3, v5, vcc
	global_load_dwordx4 v[0:3], v[8:9], off
	v_mul_lo_u32 v28, v7, s26
	v_mul_lo_u32 v29, v6, s27
	v_mad_u64_u32 v[6:7], s[0:1], v6, s26, 0
	v_add3_u32 v7, v7, v29, v28
	v_lshlrev_b64 v[6:7], 4, v[6:7]
	v_mov_b32_e32 v30, s8
	v_add_co_u32_e32 v6, vcc, s7, v6
	v_addc_co_u32_e32 v7, vcc, v30, v7, vcc
	v_add_co_u32_e32 v4, vcc, v6, v4
	v_mul_f64 v[26:27], s[40:41], v[24:25]
	v_mul_f64 v[24:25], s[38:39], v[24:25]
	v_addc_co_u32_e32 v5, vcc, v7, v5, vcc
	v_fma_f64 v[26:27], s[38:39], v[22:23], -v[26:27]
	v_fmac_f64_e32 v[24:25], s[40:41], v[22:23]
	s_lshl_b64 s[0:1], s[20:21], 8
	s_waitcnt vmcnt(0)
	v_mul_f64 v[6:7], s[16:17], v[2:3]
	v_mul_f64 v[2:3], s[14:15], v[2:3]
	v_fma_f64 v[6:7], s[14:15], v[0:1], -v[6:7]
	v_fmac_f64_e32 v[2:3], s[16:17], v[0:1]
	v_add_f64 v[0:1], v[26:27], v[6:7]
	v_add_f64 v[2:3], v[24:25], v[2:3]
	global_store_dwordx4 v[4:5], v[0:3], off
	global_load_dwordx4 v[0:3], v[8:9], off offset:256
	v_mul_f64 v[6:7], s[40:41], v[16:17]
	v_mul_f64 v[16:17], s[38:39], v[16:17]
	v_fma_f64 v[6:7], s[38:39], v[14:15], -v[6:7]
	v_fmac_f64_e32 v[16:17], s[40:41], v[14:15]
	v_mov_b32_e32 v14, s1
	v_add_co_u32_e32 v8, vcc, s0, v8
	v_addc_co_u32_e32 v9, vcc, v9, v14, vcc
	s_lshl_b64 s[0:1], s[26:27], 8
	s_waitcnt vmcnt(0)
	v_mul_f64 v[14:15], s[16:17], v[2:3]
	v_mul_f64 v[2:3], s[14:15], v[2:3]
	v_fma_f64 v[14:15], s[14:15], v[0:1], -v[14:15]
	v_fmac_f64_e32 v[2:3], s[16:17], v[0:1]
	v_add_f64 v[0:1], v[6:7], v[14:15]
	v_add_f64 v[2:3], v[16:17], v[2:3]
	global_store_dwordx4 v[4:5], v[0:3], off offset:256
	global_load_dwordx4 v[0:3], v[8:9], off
	v_mov_b32_e32 v17, s1
	v_add_co_u32_e32 v16, vcc, s0, v4
	v_mul_f64 v[6:7], s[40:41], v[20:21]
	v_mul_f64 v[14:15], s[38:39], v[20:21]
	v_addc_co_u32_e32 v17, vcc, v5, v17, vcc
	v_fma_f64 v[6:7], s[38:39], v[18:19], -v[6:7]
	v_fmac_f64_e32 v[14:15], s[40:41], v[18:19]
	s_waitcnt vmcnt(0)
	v_mul_f64 v[4:5], s[16:17], v[2:3]
	v_mul_f64 v[2:3], s[14:15], v[2:3]
	v_fma_f64 v[4:5], s[14:15], v[0:1], -v[4:5]
	v_fmac_f64_e32 v[2:3], s[16:17], v[0:1]
	v_add_f64 v[0:1], v[6:7], v[4:5]
	v_add_f64 v[2:3], v[14:15], v[2:3]
	global_store_dwordx4 v[16:17], v[0:3], off
	global_load_dwordx4 v[4:7], v[8:9], off offset:256
	v_mul_f64 v[0:1], s[40:41], v[10:11]
	v_mul_f64 v[8:9], s[38:39], v[10:11]
	v_fma_f64 v[0:1], s[38:39], v[12:13], -v[0:1]
	v_fmac_f64_e32 v[8:9], s[40:41], v[12:13]
	v_add_co_u32_e32 v2, vcc, 0x100, v16
	v_addc_co_u32_e32 v3, vcc, 0, v17, vcc
	s_waitcnt vmcnt(0)
	v_mul_f64 v[10:11], s[16:17], v[6:7]
	v_mul_f64 v[6:7], s[14:15], v[6:7]
	v_fma_f64 v[10:11], s[14:15], v[4:5], -v[10:11]
	v_fmac_f64_e32 v[6:7], s[16:17], v[4:5]
	v_add_f64 v[0:1], v[0:1], v[10:11]
	v_add_f64 v[4:5], v[8:9], v[6:7]
	global_store_dwordx2 v[16:17], v[0:1], off offset:256
.LBB274_8:
	global_store_dwordx2 v[2:3], v[4:5], off offset:8
	s_endpgm
	.section	.rodata,"a",@progbits
	.p2align	6, 0x0
	.amdhsa_kernel _ZN12_GLOBAL__N_127rocblas_gemm_batched_kernelI19rocblas_complex_numIdELi16ELi16ELi32ELi32ELi8ELi32ELi8ELi8ELi32ELc78ELc84EKPKS2_S5_KPS2_EEvlllT_PT11_llSA_llS8_PT12_llPT13_lli
		.amdhsa_group_segment_fixed_size 8192
		.amdhsa_private_segment_fixed_size 0
		.amdhsa_kernarg_size 156
		.amdhsa_user_sgpr_count 6
		.amdhsa_user_sgpr_private_segment_buffer 1
		.amdhsa_user_sgpr_dispatch_ptr 0
		.amdhsa_user_sgpr_queue_ptr 0
		.amdhsa_user_sgpr_kernarg_segment_ptr 1
		.amdhsa_user_sgpr_dispatch_id 0
		.amdhsa_user_sgpr_flat_scratch_init 0
		.amdhsa_user_sgpr_kernarg_preload_length 0
		.amdhsa_user_sgpr_kernarg_preload_offset 0
		.amdhsa_user_sgpr_private_segment_size 0
		.amdhsa_uses_dynamic_stack 0
		.amdhsa_system_sgpr_private_segment_wavefront_offset 0
		.amdhsa_system_sgpr_workgroup_id_x 1
		.amdhsa_system_sgpr_workgroup_id_y 1
		.amdhsa_system_sgpr_workgroup_id_z 1
		.amdhsa_system_sgpr_workgroup_info 0
		.amdhsa_system_vgpr_workitem_id 1
		.amdhsa_next_free_vgpr 56
		.amdhsa_next_free_sgpr 52
		.amdhsa_accum_offset 56
		.amdhsa_reserve_vcc 1
		.amdhsa_reserve_flat_scratch 0
		.amdhsa_float_round_mode_32 0
		.amdhsa_float_round_mode_16_64 0
		.amdhsa_float_denorm_mode_32 3
		.amdhsa_float_denorm_mode_16_64 3
		.amdhsa_dx10_clamp 1
		.amdhsa_ieee_mode 1
		.amdhsa_fp16_overflow 0
		.amdhsa_tg_split 0
		.amdhsa_exception_fp_ieee_invalid_op 0
		.amdhsa_exception_fp_denorm_src 0
		.amdhsa_exception_fp_ieee_div_zero 0
		.amdhsa_exception_fp_ieee_overflow 0
		.amdhsa_exception_fp_ieee_underflow 0
		.amdhsa_exception_fp_ieee_inexact 0
		.amdhsa_exception_int_div_zero 0
	.end_amdhsa_kernel
	.section	.text._ZN12_GLOBAL__N_127rocblas_gemm_batched_kernelI19rocblas_complex_numIdELi16ELi16ELi32ELi32ELi8ELi32ELi8ELi8ELi32ELc78ELc84EKPKS2_S5_KPS2_EEvlllT_PT11_llSA_llS8_PT12_llPT13_lli,"axG",@progbits,_ZN12_GLOBAL__N_127rocblas_gemm_batched_kernelI19rocblas_complex_numIdELi16ELi16ELi32ELi32ELi8ELi32ELi8ELi8ELi32ELc78ELc84EKPKS2_S5_KPS2_EEvlllT_PT11_llSA_llS8_PT12_llPT13_lli,comdat
.Lfunc_end274:
	.size	_ZN12_GLOBAL__N_127rocblas_gemm_batched_kernelI19rocblas_complex_numIdELi16ELi16ELi32ELi32ELi8ELi32ELi8ELi8ELi32ELc78ELc84EKPKS2_S5_KPS2_EEvlllT_PT11_llSA_llS8_PT12_llPT13_lli, .Lfunc_end274-_ZN12_GLOBAL__N_127rocblas_gemm_batched_kernelI19rocblas_complex_numIdELi16ELi16ELi32ELi32ELi8ELi32ELi8ELi8ELi32ELc78ELc84EKPKS2_S5_KPS2_EEvlllT_PT11_llSA_llS8_PT12_llPT13_lli
                                        ; -- End function
	.section	.AMDGPU.csdata,"",@progbits
; Kernel info:
; codeLenInByte = 3272
; NumSgprs: 56
; NumVgprs: 56
; NumAgprs: 0
; TotalNumVgprs: 56
; ScratchSize: 0
; MemoryBound: 0
; FloatMode: 240
; IeeeMode: 1
; LDSByteSize: 8192 bytes/workgroup (compile time only)
; SGPRBlocks: 6
; VGPRBlocks: 6
; NumSGPRsForWavesPerEU: 56
; NumVGPRsForWavesPerEU: 56
; AccumOffset: 56
; Occupancy: 8
; WaveLimiterHint : 1
; COMPUTE_PGM_RSRC2:SCRATCH_EN: 0
; COMPUTE_PGM_RSRC2:USER_SGPR: 6
; COMPUTE_PGM_RSRC2:TRAP_HANDLER: 0
; COMPUTE_PGM_RSRC2:TGID_X_EN: 1
; COMPUTE_PGM_RSRC2:TGID_Y_EN: 1
; COMPUTE_PGM_RSRC2:TGID_Z_EN: 1
; COMPUTE_PGM_RSRC2:TIDIG_COMP_CNT: 1
; COMPUTE_PGM_RSRC3_GFX90A:ACCUM_OFFSET: 13
; COMPUTE_PGM_RSRC3_GFX90A:TG_SPLIT: 0
	.section	.text._ZN12_GLOBAL__N_127rocblas_gemm_batched_kernelI19rocblas_complex_numIdELi16ELi16ELi32ELi32ELi8ELi32ELi8ELi8ELi32ELc84ELc84EKPKS2_S5_KPS2_EEvlllT_PT11_llSA_llS8_PT12_llPT13_lli,"axG",@progbits,_ZN12_GLOBAL__N_127rocblas_gemm_batched_kernelI19rocblas_complex_numIdELi16ELi16ELi32ELi32ELi8ELi32ELi8ELi8ELi32ELc84ELc84EKPKS2_S5_KPS2_EEvlllT_PT11_llSA_llS8_PT12_llPT13_lli,comdat
	.globl	_ZN12_GLOBAL__N_127rocblas_gemm_batched_kernelI19rocblas_complex_numIdELi16ELi16ELi32ELi32ELi8ELi32ELi8ELi8ELi32ELc84ELc84EKPKS2_S5_KPS2_EEvlllT_PT11_llSA_llS8_PT12_llPT13_lli ; -- Begin function _ZN12_GLOBAL__N_127rocblas_gemm_batched_kernelI19rocblas_complex_numIdELi16ELi16ELi32ELi32ELi8ELi32ELi8ELi8ELi32ELc84ELc84EKPKS2_S5_KPS2_EEvlllT_PT11_llSA_llS8_PT12_llPT13_lli
	.p2align	8
	.type	_ZN12_GLOBAL__N_127rocblas_gemm_batched_kernelI19rocblas_complex_numIdELi16ELi16ELi32ELi32ELi8ELi32ELi8ELi8ELi32ELc84ELc84EKPKS2_S5_KPS2_EEvlllT_PT11_llSA_llS8_PT12_llPT13_lli,@function
_ZN12_GLOBAL__N_127rocblas_gemm_batched_kernelI19rocblas_complex_numIdELi16ELi16ELi32ELi32ELi8ELi32ELi8ELi8ELi32ELc84ELc84EKPKS2_S5_KPS2_EEvlllT_PT11_llSA_llS8_PT12_llPT13_lli: ; @_ZN12_GLOBAL__N_127rocblas_gemm_batched_kernelI19rocblas_complex_numIdELi16ELi16ELi32ELi32ELi8ELi32ELi8ELi8ELi32ELc84ELc84EKPKS2_S5_KPS2_EEvlllT_PT11_llSA_llS8_PT12_llPT13_lli
; %bb.0:
	s_load_dwordx16 s[36:51], s[4:5], 0x10
	s_load_dwordx16 s[12:27], s[4:5], 0x50
	s_mov_b32 s9, 0
	s_lshl_b64 s[28:29], s[8:9], 3
	s_mov_b32 s10, s7
	v_bfe_u32 v27, v0, 10, 10
	s_waitcnt lgkmcnt(0)
	s_add_u32 s0, s18, s28
	s_addc_u32 s1, s19, s29
	s_add_u32 s2, s24, s28
	s_addc_u32 s3, s25, s29
	s_load_dwordx2 s[0:1], s[0:1], 0x0
	s_ashr_i32 s7, s6, 31
	s_load_dwordx2 s[8:9], s[2:3], 0x0
	s_ashr_i32 s11, s10, 31
	v_cmp_lt_i64_e64 s[18:19], s[36:37], 1
	v_and_b32_e32 v26, 0x3ff, v0
	s_lshl_b64 s[2:3], s[6:7], 5
	s_lshl_b64 s[6:7], s[10:11], 5
	s_mov_b64 s[10:11], 0
	s_and_b64 vcc, exec, s[18:19]
	s_cbranch_vccnz .LBB275_3
; %bb.1:
	v_lshl_add_u32 v4, v27, 4, v26
	s_add_u32 s18, s42, s28
	v_lshrrev_b32_e32 v5, 3, v4
	s_addc_u32 s19, s43, s29
	v_mov_b32_e32 v1, s7
	v_add_co_u32_e32 v0, vcc, s6, v5
	s_add_u32 s24, s48, s28
	v_addc_co_u32_e32 v1, vcc, 0, v1, vcc
	v_and_b32_e32 v6, 7, v26
	s_addc_u32 s25, s49, s29
	v_mad_u64_u32 v[0:1], s[28:29], v6, s50, v[0:1]
	v_mov_b32_e32 v2, v1
	v_mad_u64_u32 v[2:3], s[28:29], v6, s51, v[2:3]
	v_mov_b32_e32 v1, v2
	v_and_b32_e32 v2, 31, v4
	v_lshrrev_b32_e32 v4, 5, v4
	v_lshlrev_b32_e32 v3, 4, v2
	v_lshl_or_b32 v28, v4, 9, v3
	v_lshlrev_b32_e32 v3, 4, v6
	v_lshl_or_b32 v3, v5, 7, v3
	v_add_u32_e32 v29, 0x1000, v3
	v_mov_b32_e32 v3, 0x1000
	v_lshl_add_u32 v31, v27, 7, v3
	v_mov_b32_e32 v3, s3
	v_add_co_u32_e32 v2, vcc, s2, v2
	v_addc_co_u32_e32 v3, vcc, 0, v3, vcc
	v_mul_lo_u32 v5, s45, v2
	v_mul_lo_u32 v6, s44, v3
	v_mad_u64_u32 v[2:3], s[28:29], s44, v2, 0
	v_add3_u32 v3, v3, v6, v5
	s_load_dwordx2 s[18:19], s[18:19], 0x0
	v_lshlrev_b64 v[2:3], 4, v[2:3]
	s_load_dwordx2 s[24:25], s[24:25], 0x0
	s_lshl_b64 s[28:29], s[46:47], 4
	v_mov_b32_e32 v5, s29
	v_add_co_u32_e32 v2, vcc, s28, v2
	v_addc_co_u32_e32 v3, vcc, v3, v5, vcc
	v_lshlrev_b32_e32 v4, 4, v4
	v_add_co_u32_e32 v2, vcc, v2, v4
	v_addc_co_u32_e32 v3, vcc, 0, v3, vcc
	s_lshl_b64 s[12:13], s[12:13], 4
	s_waitcnt lgkmcnt(0)
	v_mov_b32_e32 v5, s19
	v_add_co_u32_e32 v4, vcc, s18, v2
	s_add_u32 s12, s24, s12
	v_addc_co_u32_e32 v5, vcc, v5, v3, vcc
	v_lshlrev_b64 v[0:1], 4, v[0:1]
	s_addc_u32 s13, s25, s13
	v_mov_b32_e32 v2, s13
	v_add_co_u32_e32 v6, vcc, s12, v0
	s_lshl_b64 s[12:13], s[50:51], 7
	v_lshlrev_b32_e32 v30, 4, v26
	v_addc_co_u32_e32 v7, vcc, v2, v1, vcc
	v_pk_mov_b32 v[10:11], 0, 0
	v_mov_b32_e32 v32, s13
	v_pk_mov_b32 v[8:9], s[36:37], s[36:37] op_sel:[0,1]
	v_pk_mov_b32 v[12:13], 0, 0
	v_pk_mov_b32 v[20:21], 0, 0
	;; [unrolled: 1-line block ×7, first 2 shown]
.LBB275_2:                              ; =>This Inner Loop Header: Depth=1
	global_load_dwordx4 v[0:3], v[4:5], off
	v_add_co_u32_e32 v4, vcc, 0x80, v4
	v_addc_co_u32_e32 v5, vcc, 0, v5, vcc
	s_add_u32 s10, s10, 8
	s_addc_u32 s11, s11, 0
	s_waitcnt vmcnt(0)
	ds_write2_b64 v28, v[0:1], v[2:3] offset1:1
	global_load_dwordx4 v[0:3], v[6:7], off
	v_add_co_u32_e32 v6, vcc, s12, v6
	v_addc_co_u32_e32 v7, vcc, v7, v32, vcc
	v_cmp_lt_i64_e32 vcc, s[10:11], v[8:9]
	s_and_b64 vcc, exec, vcc
	s_waitcnt vmcnt(0)
	ds_write2_b64 v29, v[0:1], v[2:3] offset1:1
	s_waitcnt lgkmcnt(0)
	s_barrier
	ds_read_b128 v[34:37], v31
	ds_read_b128 v[38:41], v31 offset:16
	ds_read_b128 v[42:45], v31 offset:32
	;; [unrolled: 1-line block ×3, first 2 shown]
	ds_read_b128 v[46:49], v30
	s_waitcnt lgkmcnt(0)
	v_mul_f64 v[50:51], v[36:37], v[48:49]
	v_mul_f64 v[52:53], v[34:35], v[48:49]
	v_fma_f64 v[50:51], v[34:35], v[46:47], -v[50:51]
	v_fmac_f64_e32 v[52:53], v[36:37], v[46:47]
	v_add_f64 v[50:51], v[22:23], v[50:51]
	v_add_f64 v[52:53], v[24:25], v[52:53]
	ds_read_b128 v[22:25], v30 offset:256
	s_waitcnt lgkmcnt(0)
	v_mul_f64 v[54:55], v[36:37], v[24:25]
	v_fma_f64 v[54:55], v[34:35], v[22:23], -v[54:55]
	v_mul_f64 v[34:35], v[34:35], v[24:25]
	v_fmac_f64_e32 v[34:35], v[36:37], v[22:23]
	v_add_f64 v[36:37], v[14:15], v[54:55]
	v_add_f64 v[34:35], v[16:17], v[34:35]
	ds_read_b128 v[14:17], v31 offset:2048
	s_waitcnt lgkmcnt(0)
	v_mul_f64 v[54:55], v[16:17], v[48:49]
	v_fma_f64 v[54:55], v[14:15], v[46:47], -v[54:55]
	v_mul_f64 v[48:49], v[14:15], v[48:49]
	v_fmac_f64_e32 v[48:49], v[16:17], v[46:47]
	v_add_f64 v[46:47], v[18:19], v[54:55]
	v_mul_f64 v[18:19], v[16:17], v[24:25]
	v_fma_f64 v[18:19], v[14:15], v[22:23], -v[18:19]
	v_mul_f64 v[14:15], v[14:15], v[24:25]
	v_fmac_f64_e32 v[14:15], v[16:17], v[22:23]
	v_add_f64 v[22:23], v[12:13], v[18:19]
	v_add_f64 v[24:25], v[10:11], v[14:15]
	ds_read_b128 v[10:13], v30 offset:512
	v_add_f64 v[48:49], v[20:21], v[48:49]
	s_waitcnt lgkmcnt(0)
	v_mul_f64 v[14:15], v[40:41], v[12:13]
	v_mul_f64 v[16:17], v[38:39], v[12:13]
	v_fma_f64 v[14:15], v[38:39], v[10:11], -v[14:15]
	v_fmac_f64_e32 v[16:17], v[40:41], v[10:11]
	v_add_f64 v[50:51], v[50:51], v[14:15]
	v_add_f64 v[52:53], v[52:53], v[16:17]
	ds_read_b128 v[14:17], v30 offset:768
	s_waitcnt lgkmcnt(0)
	v_mul_f64 v[18:19], v[40:41], v[16:17]
	v_mul_f64 v[20:21], v[38:39], v[16:17]
	v_fma_f64 v[18:19], v[38:39], v[14:15], -v[18:19]
	v_fmac_f64_e32 v[20:21], v[40:41], v[14:15]
	v_add_f64 v[36:37], v[36:37], v[18:19]
	v_add_f64 v[34:35], v[34:35], v[20:21]
	ds_read_b128 v[18:21], v31 offset:2064
	s_waitcnt lgkmcnt(0)
	v_mul_f64 v[38:39], v[20:21], v[12:13]
	v_mul_f64 v[12:13], v[18:19], v[12:13]
	v_fmac_f64_e32 v[12:13], v[20:21], v[10:11]
	v_fma_f64 v[38:39], v[18:19], v[10:11], -v[38:39]
	v_add_f64 v[40:41], v[48:49], v[12:13]
	v_mul_f64 v[10:11], v[20:21], v[16:17]
	v_mul_f64 v[12:13], v[18:19], v[16:17]
	v_fma_f64 v[10:11], v[18:19], v[14:15], -v[10:11]
	v_fmac_f64_e32 v[12:13], v[20:21], v[14:15]
	v_add_f64 v[22:23], v[22:23], v[10:11]
	v_add_f64 v[24:25], v[24:25], v[12:13]
	ds_read_b128 v[10:13], v30 offset:1024
	v_add_f64 v[38:39], v[46:47], v[38:39]
	s_waitcnt lgkmcnt(0)
	v_mul_f64 v[14:15], v[44:45], v[12:13]
	v_mul_f64 v[16:17], v[42:43], v[12:13]
	v_fma_f64 v[14:15], v[42:43], v[10:11], -v[14:15]
	v_fmac_f64_e32 v[16:17], v[44:45], v[10:11]
	v_add_f64 v[46:47], v[50:51], v[14:15]
	v_add_f64 v[48:49], v[52:53], v[16:17]
	ds_read_b128 v[14:17], v30 offset:1280
	s_waitcnt lgkmcnt(0)
	v_mul_f64 v[18:19], v[44:45], v[16:17]
	v_mul_f64 v[20:21], v[42:43], v[16:17]
	v_fma_f64 v[18:19], v[42:43], v[14:15], -v[18:19]
	v_fmac_f64_e32 v[20:21], v[44:45], v[14:15]
	v_add_f64 v[36:37], v[36:37], v[18:19]
	v_add_f64 v[34:35], v[34:35], v[20:21]
	ds_read_b128 v[18:21], v31 offset:2080
	s_waitcnt lgkmcnt(0)
	v_mul_f64 v[42:43], v[20:21], v[12:13]
	v_mul_f64 v[12:13], v[18:19], v[12:13]
	v_fmac_f64_e32 v[12:13], v[20:21], v[10:11]
	v_fma_f64 v[42:43], v[18:19], v[10:11], -v[42:43]
	v_add_f64 v[40:41], v[40:41], v[12:13]
	v_mul_f64 v[10:11], v[20:21], v[16:17]
	v_mul_f64 v[12:13], v[18:19], v[16:17]
	v_fma_f64 v[10:11], v[18:19], v[14:15], -v[10:11]
	v_fmac_f64_e32 v[12:13], v[20:21], v[14:15]
	v_add_f64 v[18:19], v[22:23], v[10:11]
	v_add_f64 v[20:21], v[24:25], v[12:13]
	ds_read_b128 v[10:13], v30 offset:1536
	v_add_f64 v[38:39], v[38:39], v[42:43]
	s_waitcnt lgkmcnt(0)
	v_mul_f64 v[14:15], v[2:3], v[12:13]
	v_mul_f64 v[16:17], v[0:1], v[12:13]
	v_fma_f64 v[14:15], v[0:1], v[10:11], -v[14:15]
	v_fmac_f64_e32 v[16:17], v[2:3], v[10:11]
	v_add_f64 v[22:23], v[46:47], v[14:15]
	v_add_f64 v[24:25], v[48:49], v[16:17]
	ds_read_b128 v[14:17], v30 offset:1792
	s_waitcnt lgkmcnt(0)
	v_mul_f64 v[42:43], v[2:3], v[16:17]
	v_fma_f64 v[42:43], v[0:1], v[14:15], -v[42:43]
	v_mul_f64 v[0:1], v[0:1], v[16:17]
	v_fmac_f64_e32 v[0:1], v[2:3], v[14:15]
	v_add_f64 v[34:35], v[34:35], v[0:1]
	ds_read_b128 v[0:3], v31 offset:2096
	v_add_f64 v[36:37], v[36:37], v[42:43]
	s_waitcnt lgkmcnt(0)
	v_mul_f64 v[42:43], v[2:3], v[12:13]
	v_mul_f64 v[12:13], v[0:1], v[12:13]
	v_fma_f64 v[42:43], v[0:1], v[10:11], -v[42:43]
	v_fmac_f64_e32 v[12:13], v[2:3], v[10:11]
	v_mul_f64 v[10:11], v[2:3], v[16:17]
	v_fma_f64 v[10:11], v[0:1], v[14:15], -v[10:11]
	v_mul_f64 v[0:1], v[0:1], v[16:17]
	v_fmac_f64_e32 v[0:1], v[2:3], v[14:15]
	v_add_f64 v[40:41], v[40:41], v[12:13]
	v_add_f64 v[18:19], v[18:19], v[10:11]
	v_add_f64 v[20:21], v[20:21], v[0:1]
	ds_read_b128 v[0:3], v31 offset:64
	ds_read_b128 v[10:13], v30 offset:2048
	v_add_f64 v[38:39], v[38:39], v[42:43]
	s_waitcnt lgkmcnt(0)
	v_mul_f64 v[14:15], v[2:3], v[12:13]
	v_mul_f64 v[16:17], v[0:1], v[12:13]
	v_fma_f64 v[14:15], v[0:1], v[10:11], -v[14:15]
	v_fmac_f64_e32 v[16:17], v[2:3], v[10:11]
	v_add_f64 v[22:23], v[22:23], v[14:15]
	v_add_f64 v[24:25], v[24:25], v[16:17]
	ds_read_b128 v[14:17], v30 offset:2304
	s_waitcnt lgkmcnt(0)
	v_mul_f64 v[42:43], v[2:3], v[16:17]
	v_fma_f64 v[42:43], v[0:1], v[14:15], -v[42:43]
	v_mul_f64 v[0:1], v[0:1], v[16:17]
	v_fmac_f64_e32 v[0:1], v[2:3], v[14:15]
	v_add_f64 v[34:35], v[34:35], v[0:1]
	ds_read_b128 v[0:3], v31 offset:2112
	v_add_f64 v[36:37], v[36:37], v[42:43]
	s_waitcnt lgkmcnt(0)
	v_mul_f64 v[42:43], v[2:3], v[12:13]
	v_mul_f64 v[12:13], v[0:1], v[12:13]
	v_fma_f64 v[42:43], v[0:1], v[10:11], -v[42:43]
	v_fmac_f64_e32 v[12:13], v[2:3], v[10:11]
	v_mul_f64 v[10:11], v[2:3], v[16:17]
	v_fma_f64 v[10:11], v[0:1], v[14:15], -v[10:11]
	v_mul_f64 v[0:1], v[0:1], v[16:17]
	v_fmac_f64_e32 v[0:1], v[2:3], v[14:15]
	v_add_f64 v[40:41], v[40:41], v[12:13]
	v_add_f64 v[18:19], v[18:19], v[10:11]
	v_add_f64 v[20:21], v[20:21], v[0:1]
	ds_read_b128 v[0:3], v31 offset:80
	;; [unrolled: 31-line block ×4, first 2 shown]
	ds_read_b128 v[10:13], v30 offset:3584
	v_add_f64 v[38:39], v[38:39], v[34:35]
	ds_read_b128 v[34:37], v30 offset:3840
	s_waitcnt lgkmcnt(1)
	v_mul_f64 v[14:15], v[2:3], v[12:13]
	v_fma_f64 v[14:15], v[0:1], v[10:11], -v[14:15]
	v_add_f64 v[22:23], v[22:23], v[14:15]
	s_waitcnt lgkmcnt(0)
	v_mul_f64 v[14:15], v[2:3], v[36:37]
	v_mul_f64 v[16:17], v[0:1], v[12:13]
	v_fma_f64 v[14:15], v[0:1], v[34:35], -v[14:15]
	v_mul_f64 v[0:1], v[0:1], v[36:37]
	v_fmac_f64_e32 v[16:17], v[2:3], v[10:11]
	v_fmac_f64_e32 v[0:1], v[2:3], v[34:35]
	v_add_f64 v[24:25], v[24:25], v[16:17]
	v_add_f64 v[16:17], v[44:45], v[0:1]
	ds_read_b128 v[0:3], v31 offset:2160
	v_add_f64 v[14:15], v[42:43], v[14:15]
	s_waitcnt lgkmcnt(0)
	s_barrier
	v_mul_f64 v[18:19], v[2:3], v[12:13]
	v_mul_f64 v[12:13], v[0:1], v[12:13]
	v_fma_f64 v[18:19], v[0:1], v[10:11], -v[18:19]
	v_fmac_f64_e32 v[12:13], v[2:3], v[10:11]
	v_mul_f64 v[10:11], v[2:3], v[36:37]
	v_fma_f64 v[10:11], v[0:1], v[34:35], -v[10:11]
	v_mul_f64 v[0:1], v[0:1], v[36:37]
	v_fmac_f64_e32 v[0:1], v[2:3], v[34:35]
	v_add_f64 v[18:19], v[38:39], v[18:19]
	v_add_f64 v[20:21], v[40:41], v[12:13]
	;; [unrolled: 1-line block ×4, first 2 shown]
	s_cbranch_vccnz .LBB275_2
	s_branch .LBB275_4
.LBB275_3:
	v_pk_mov_b32 v[22:23], 0, 0
	v_pk_mov_b32 v[24:25], 0, 0
	;; [unrolled: 1-line block ×8, first 2 shown]
.LBB275_4:
	s_load_dwordx2 s[4:5], s[4:5], 0x90
	v_mov_b32_e32 v0, s7
	v_add_co_u32_e32 v6, vcc, s6, v27
	v_addc_co_u32_e32 v7, vcc, 0, v0, vcc
	s_waitcnt lgkmcnt(0)
	s_lshl_b64 s[4:5], s[4:5], 4
	s_add_u32 s7, s8, s4
	v_cmp_neq_f64_e64 s[10:11], s[14:15], 0
	v_cmp_neq_f64_e64 s[12:13], s[16:17], 0
	v_mov_b32_e32 v1, s3
	v_add_co_u32_e32 v0, vcc, s2, v26
	s_addc_u32 s8, s9, s5
	s_or_b64 s[10:11], s[10:11], s[12:13]
	v_addc_co_u32_e32 v1, vcc, 0, v1, vcc
	s_mov_b64 s[4:5], 0
	s_and_b64 vcc, exec, s[10:11]
	s_cbranch_vccnz .LBB275_6
; %bb.5:
	v_mul_lo_u32 v4, v7, s26
	v_mul_lo_u32 v5, v6, s27
	v_mad_u64_u32 v[2:3], s[2:3], v6, s26, 0
	v_add3_u32 v3, v3, v5, v4
	v_lshlrev_b64 v[2:3], 4, v[2:3]
	v_mov_b32_e32 v4, s8
	v_add_co_u32_e32 v26, vcc, s7, v2
	v_addc_co_u32_e32 v27, vcc, v4, v3, vcc
	v_lshlrev_b64 v[8:9], 4, v[0:1]
	v_mul_f64 v[2:3], s[40:41], v[24:25]
	v_mul_f64 v[4:5], s[38:39], v[24:25]
	v_add_co_u32_e32 v8, vcc, v26, v8
	v_fma_f64 v[2:3], s[38:39], v[22:23], -v[2:3]
	v_fmac_f64_e32 v[4:5], s[40:41], v[22:23]
	v_addc_co_u32_e32 v9, vcc, v27, v9, vcc
	global_store_dwordx4 v[8:9], v[2:5], off
	s_lshl_b64 s[2:3], s[26:27], 8
	v_mul_f64 v[2:3], s[40:41], v[16:17]
	v_mul_f64 v[4:5], s[38:39], v[16:17]
	v_fma_f64 v[2:3], s[38:39], v[14:15], -v[2:3]
	v_fmac_f64_e32 v[4:5], s[40:41], v[14:15]
	global_store_dwordx4 v[8:9], v[2:5], off offset:256
	v_mov_b32_e32 v26, s3
	v_mul_f64 v[2:3], s[40:41], v[20:21]
	v_mul_f64 v[4:5], s[38:39], v[20:21]
	v_add_co_u32_e32 v8, vcc, s2, v8
	v_fma_f64 v[2:3], s[38:39], v[18:19], -v[2:3]
	v_fmac_f64_e32 v[4:5], s[40:41], v[18:19]
	v_addc_co_u32_e32 v9, vcc, v9, v26, vcc
	global_store_dwordx4 v[8:9], v[2:5], off
	s_nop 0
	v_mul_f64 v[2:3], s[40:41], v[10:11]
	v_fma_f64 v[26:27], s[38:39], v[12:13], -v[2:3]
	v_mul_f64 v[4:5], s[38:39], v[10:11]
	v_add_co_u32_e32 v2, vcc, 0x100, v8
	v_fmac_f64_e32 v[4:5], s[40:41], v[12:13]
	v_addc_co_u32_e32 v3, vcc, 0, v9, vcc
	global_store_dwordx2 v[8:9], v[26:27], off offset:256
	s_andn2_b64 vcc, exec, s[4:5]
	s_cbranch_vccz .LBB275_7
	s_branch .LBB275_8
.LBB275_6:
                                        ; implicit-def: $vgpr4_vgpr5
                                        ; implicit-def: $vgpr2_vgpr3
.LBB275_7:
	s_lshl_b64 s[2:3], s[22:23], 4
	s_add_u32 s2, s0, s2
	s_addc_u32 s3, s1, s3
	v_mul_lo_u32 v4, v7, s20
	v_mul_lo_u32 v5, v6, s21
	v_mad_u64_u32 v[2:3], s[0:1], v6, s20, 0
	v_add3_u32 v3, v3, v5, v4
	v_lshlrev_b64 v[2:3], 4, v[2:3]
	v_mov_b32_e32 v4, s3
	v_add_co_u32_e32 v2, vcc, s2, v2
	v_addc_co_u32_e32 v3, vcc, v4, v3, vcc
	v_lshlrev_b64 v[4:5], 4, v[0:1]
	v_add_co_u32_e32 v8, vcc, v2, v4
	v_addc_co_u32_e32 v9, vcc, v3, v5, vcc
	global_load_dwordx4 v[0:3], v[8:9], off
	v_mul_lo_u32 v28, v7, s26
	v_mul_lo_u32 v29, v6, s27
	v_mad_u64_u32 v[6:7], s[0:1], v6, s26, 0
	v_add3_u32 v7, v7, v29, v28
	v_lshlrev_b64 v[6:7], 4, v[6:7]
	v_mov_b32_e32 v30, s8
	v_add_co_u32_e32 v6, vcc, s7, v6
	v_addc_co_u32_e32 v7, vcc, v30, v7, vcc
	v_add_co_u32_e32 v4, vcc, v6, v4
	v_mul_f64 v[26:27], s[40:41], v[24:25]
	v_mul_f64 v[24:25], s[38:39], v[24:25]
	v_addc_co_u32_e32 v5, vcc, v7, v5, vcc
	v_fma_f64 v[26:27], s[38:39], v[22:23], -v[26:27]
	v_fmac_f64_e32 v[24:25], s[40:41], v[22:23]
	s_lshl_b64 s[0:1], s[20:21], 8
	s_waitcnt vmcnt(0)
	v_mul_f64 v[6:7], s[16:17], v[2:3]
	v_mul_f64 v[2:3], s[14:15], v[2:3]
	v_fma_f64 v[6:7], s[14:15], v[0:1], -v[6:7]
	v_fmac_f64_e32 v[2:3], s[16:17], v[0:1]
	v_add_f64 v[0:1], v[26:27], v[6:7]
	v_add_f64 v[2:3], v[24:25], v[2:3]
	global_store_dwordx4 v[4:5], v[0:3], off
	global_load_dwordx4 v[0:3], v[8:9], off offset:256
	v_mul_f64 v[6:7], s[40:41], v[16:17]
	v_mul_f64 v[16:17], s[38:39], v[16:17]
	v_fma_f64 v[6:7], s[38:39], v[14:15], -v[6:7]
	v_fmac_f64_e32 v[16:17], s[40:41], v[14:15]
	v_mov_b32_e32 v14, s1
	v_add_co_u32_e32 v8, vcc, s0, v8
	v_addc_co_u32_e32 v9, vcc, v9, v14, vcc
	s_lshl_b64 s[0:1], s[26:27], 8
	s_waitcnt vmcnt(0)
	v_mul_f64 v[14:15], s[16:17], v[2:3]
	v_mul_f64 v[2:3], s[14:15], v[2:3]
	v_fma_f64 v[14:15], s[14:15], v[0:1], -v[14:15]
	v_fmac_f64_e32 v[2:3], s[16:17], v[0:1]
	v_add_f64 v[0:1], v[6:7], v[14:15]
	v_add_f64 v[2:3], v[16:17], v[2:3]
	global_store_dwordx4 v[4:5], v[0:3], off offset:256
	global_load_dwordx4 v[0:3], v[8:9], off
	v_mov_b32_e32 v17, s1
	v_add_co_u32_e32 v16, vcc, s0, v4
	v_mul_f64 v[6:7], s[40:41], v[20:21]
	v_mul_f64 v[14:15], s[38:39], v[20:21]
	v_addc_co_u32_e32 v17, vcc, v5, v17, vcc
	v_fma_f64 v[6:7], s[38:39], v[18:19], -v[6:7]
	v_fmac_f64_e32 v[14:15], s[40:41], v[18:19]
	s_waitcnt vmcnt(0)
	v_mul_f64 v[4:5], s[16:17], v[2:3]
	v_mul_f64 v[2:3], s[14:15], v[2:3]
	v_fma_f64 v[4:5], s[14:15], v[0:1], -v[4:5]
	v_fmac_f64_e32 v[2:3], s[16:17], v[0:1]
	v_add_f64 v[0:1], v[6:7], v[4:5]
	v_add_f64 v[2:3], v[14:15], v[2:3]
	global_store_dwordx4 v[16:17], v[0:3], off
	global_load_dwordx4 v[4:7], v[8:9], off offset:256
	v_mul_f64 v[0:1], s[40:41], v[10:11]
	v_mul_f64 v[8:9], s[38:39], v[10:11]
	v_fma_f64 v[0:1], s[38:39], v[12:13], -v[0:1]
	v_fmac_f64_e32 v[8:9], s[40:41], v[12:13]
	v_add_co_u32_e32 v2, vcc, 0x100, v16
	v_addc_co_u32_e32 v3, vcc, 0, v17, vcc
	s_waitcnt vmcnt(0)
	v_mul_f64 v[10:11], s[16:17], v[6:7]
	v_mul_f64 v[6:7], s[14:15], v[6:7]
	v_fma_f64 v[10:11], s[14:15], v[4:5], -v[10:11]
	v_fmac_f64_e32 v[6:7], s[16:17], v[4:5]
	v_add_f64 v[0:1], v[0:1], v[10:11]
	v_add_f64 v[4:5], v[8:9], v[6:7]
	global_store_dwordx2 v[16:17], v[0:1], off offset:256
.LBB275_8:
	global_store_dwordx2 v[2:3], v[4:5], off offset:8
	s_endpgm
	.section	.rodata,"a",@progbits
	.p2align	6, 0x0
	.amdhsa_kernel _ZN12_GLOBAL__N_127rocblas_gemm_batched_kernelI19rocblas_complex_numIdELi16ELi16ELi32ELi32ELi8ELi32ELi8ELi8ELi32ELc84ELc84EKPKS2_S5_KPS2_EEvlllT_PT11_llSA_llS8_PT12_llPT13_lli
		.amdhsa_group_segment_fixed_size 8192
		.amdhsa_private_segment_fixed_size 0
		.amdhsa_kernarg_size 156
		.amdhsa_user_sgpr_count 6
		.amdhsa_user_sgpr_private_segment_buffer 1
		.amdhsa_user_sgpr_dispatch_ptr 0
		.amdhsa_user_sgpr_queue_ptr 0
		.amdhsa_user_sgpr_kernarg_segment_ptr 1
		.amdhsa_user_sgpr_dispatch_id 0
		.amdhsa_user_sgpr_flat_scratch_init 0
		.amdhsa_user_sgpr_kernarg_preload_length 0
		.amdhsa_user_sgpr_kernarg_preload_offset 0
		.amdhsa_user_sgpr_private_segment_size 0
		.amdhsa_uses_dynamic_stack 0
		.amdhsa_system_sgpr_private_segment_wavefront_offset 0
		.amdhsa_system_sgpr_workgroup_id_x 1
		.amdhsa_system_sgpr_workgroup_id_y 1
		.amdhsa_system_sgpr_workgroup_id_z 1
		.amdhsa_system_sgpr_workgroup_info 0
		.amdhsa_system_vgpr_workitem_id 1
		.amdhsa_next_free_vgpr 56
		.amdhsa_next_free_sgpr 52
		.amdhsa_accum_offset 56
		.amdhsa_reserve_vcc 1
		.amdhsa_reserve_flat_scratch 0
		.amdhsa_float_round_mode_32 0
		.amdhsa_float_round_mode_16_64 0
		.amdhsa_float_denorm_mode_32 3
		.amdhsa_float_denorm_mode_16_64 3
		.amdhsa_dx10_clamp 1
		.amdhsa_ieee_mode 1
		.amdhsa_fp16_overflow 0
		.amdhsa_tg_split 0
		.amdhsa_exception_fp_ieee_invalid_op 0
		.amdhsa_exception_fp_denorm_src 0
		.amdhsa_exception_fp_ieee_div_zero 0
		.amdhsa_exception_fp_ieee_overflow 0
		.amdhsa_exception_fp_ieee_underflow 0
		.amdhsa_exception_fp_ieee_inexact 0
		.amdhsa_exception_int_div_zero 0
	.end_amdhsa_kernel
	.section	.text._ZN12_GLOBAL__N_127rocblas_gemm_batched_kernelI19rocblas_complex_numIdELi16ELi16ELi32ELi32ELi8ELi32ELi8ELi8ELi32ELc84ELc84EKPKS2_S5_KPS2_EEvlllT_PT11_llSA_llS8_PT12_llPT13_lli,"axG",@progbits,_ZN12_GLOBAL__N_127rocblas_gemm_batched_kernelI19rocblas_complex_numIdELi16ELi16ELi32ELi32ELi8ELi32ELi8ELi8ELi32ELc84ELc84EKPKS2_S5_KPS2_EEvlllT_PT11_llSA_llS8_PT12_llPT13_lli,comdat
.Lfunc_end275:
	.size	_ZN12_GLOBAL__N_127rocblas_gemm_batched_kernelI19rocblas_complex_numIdELi16ELi16ELi32ELi32ELi8ELi32ELi8ELi8ELi32ELc84ELc84EKPKS2_S5_KPS2_EEvlllT_PT11_llSA_llS8_PT12_llPT13_lli, .Lfunc_end275-_ZN12_GLOBAL__N_127rocblas_gemm_batched_kernelI19rocblas_complex_numIdELi16ELi16ELi32ELi32ELi8ELi32ELi8ELi8ELi32ELc84ELc84EKPKS2_S5_KPS2_EEvlllT_PT11_llSA_llS8_PT12_llPT13_lli
                                        ; -- End function
	.section	.AMDGPU.csdata,"",@progbits
; Kernel info:
; codeLenInByte = 3288
; NumSgprs: 56
; NumVgprs: 56
; NumAgprs: 0
; TotalNumVgprs: 56
; ScratchSize: 0
; MemoryBound: 0
; FloatMode: 240
; IeeeMode: 1
; LDSByteSize: 8192 bytes/workgroup (compile time only)
; SGPRBlocks: 6
; VGPRBlocks: 6
; NumSGPRsForWavesPerEU: 56
; NumVGPRsForWavesPerEU: 56
; AccumOffset: 56
; Occupancy: 8
; WaveLimiterHint : 1
; COMPUTE_PGM_RSRC2:SCRATCH_EN: 0
; COMPUTE_PGM_RSRC2:USER_SGPR: 6
; COMPUTE_PGM_RSRC2:TRAP_HANDLER: 0
; COMPUTE_PGM_RSRC2:TGID_X_EN: 1
; COMPUTE_PGM_RSRC2:TGID_Y_EN: 1
; COMPUTE_PGM_RSRC2:TGID_Z_EN: 1
; COMPUTE_PGM_RSRC2:TIDIG_COMP_CNT: 1
; COMPUTE_PGM_RSRC3_GFX90A:ACCUM_OFFSET: 13
; COMPUTE_PGM_RSRC3_GFX90A:TG_SPLIT: 0
	.section	.text._ZN12_GLOBAL__N_127rocblas_gemm_batched_kernelI19rocblas_complex_numIdELi16ELi16ELi32ELi32ELi8ELi32ELi8ELi8ELi32ELc67ELc67EKPKS2_S5_KPS2_EEvlllT_PT11_llSA_llS8_PT12_llPT13_lli,"axG",@progbits,_ZN12_GLOBAL__N_127rocblas_gemm_batched_kernelI19rocblas_complex_numIdELi16ELi16ELi32ELi32ELi8ELi32ELi8ELi8ELi32ELc67ELc67EKPKS2_S5_KPS2_EEvlllT_PT11_llSA_llS8_PT12_llPT13_lli,comdat
	.globl	_ZN12_GLOBAL__N_127rocblas_gemm_batched_kernelI19rocblas_complex_numIdELi16ELi16ELi32ELi32ELi8ELi32ELi8ELi8ELi32ELc67ELc67EKPKS2_S5_KPS2_EEvlllT_PT11_llSA_llS8_PT12_llPT13_lli ; -- Begin function _ZN12_GLOBAL__N_127rocblas_gemm_batched_kernelI19rocblas_complex_numIdELi16ELi16ELi32ELi32ELi8ELi32ELi8ELi8ELi32ELc67ELc67EKPKS2_S5_KPS2_EEvlllT_PT11_llSA_llS8_PT12_llPT13_lli
	.p2align	8
	.type	_ZN12_GLOBAL__N_127rocblas_gemm_batched_kernelI19rocblas_complex_numIdELi16ELi16ELi32ELi32ELi8ELi32ELi8ELi8ELi32ELc67ELc67EKPKS2_S5_KPS2_EEvlllT_PT11_llSA_llS8_PT12_llPT13_lli,@function
_ZN12_GLOBAL__N_127rocblas_gemm_batched_kernelI19rocblas_complex_numIdELi16ELi16ELi32ELi32ELi8ELi32ELi8ELi8ELi32ELc67ELc67EKPKS2_S5_KPS2_EEvlllT_PT11_llSA_llS8_PT12_llPT13_lli: ; @_ZN12_GLOBAL__N_127rocblas_gemm_batched_kernelI19rocblas_complex_numIdELi16ELi16ELi32ELi32ELi8ELi32ELi8ELi8ELi32ELc67ELc67EKPKS2_S5_KPS2_EEvlllT_PT11_llSA_llS8_PT12_llPT13_lli
; %bb.0:
	s_load_dwordx16 s[36:51], s[4:5], 0x10
	s_load_dwordx16 s[12:27], s[4:5], 0x50
	s_mov_b32 s9, 0
	s_lshl_b64 s[28:29], s[8:9], 3
	s_mov_b32 s10, s7
	v_bfe_u32 v27, v0, 10, 10
	s_waitcnt lgkmcnt(0)
	s_add_u32 s0, s18, s28
	s_addc_u32 s1, s19, s29
	s_add_u32 s2, s24, s28
	s_addc_u32 s3, s25, s29
	s_load_dwordx2 s[0:1], s[0:1], 0x0
	s_ashr_i32 s7, s6, 31
	s_load_dwordx2 s[8:9], s[2:3], 0x0
	s_ashr_i32 s11, s10, 31
	v_cmp_lt_i64_e64 s[18:19], s[36:37], 1
	v_and_b32_e32 v26, 0x3ff, v0
	s_lshl_b64 s[2:3], s[6:7], 5
	s_lshl_b64 s[6:7], s[10:11], 5
	s_mov_b64 s[10:11], 0
	s_and_b64 vcc, exec, s[18:19]
	s_cbranch_vccnz .LBB276_3
; %bb.1:
	v_lshl_add_u32 v4, v27, 4, v26
	s_add_u32 s18, s42, s28
	v_lshrrev_b32_e32 v5, 3, v4
	s_addc_u32 s19, s43, s29
	v_mov_b32_e32 v1, s7
	v_add_co_u32_e32 v0, vcc, s6, v5
	s_add_u32 s24, s48, s28
	v_addc_co_u32_e32 v1, vcc, 0, v1, vcc
	v_and_b32_e32 v6, 7, v26
	s_addc_u32 s25, s49, s29
	v_mad_u64_u32 v[0:1], s[28:29], v6, s50, v[0:1]
	v_mov_b32_e32 v2, v1
	v_mad_u64_u32 v[2:3], s[28:29], v6, s51, v[2:3]
	v_mov_b32_e32 v1, v2
	v_and_b32_e32 v2, 31, v4
	v_lshrrev_b32_e32 v4, 5, v4
	v_lshlrev_b32_e32 v3, 4, v2
	v_lshl_or_b32 v28, v4, 9, v3
	v_lshlrev_b32_e32 v3, 4, v6
	v_lshl_or_b32 v3, v5, 7, v3
	v_add_u32_e32 v29, 0x1000, v3
	v_mov_b32_e32 v3, 0x1000
	v_lshl_add_u32 v31, v27, 7, v3
	v_mov_b32_e32 v3, s3
	v_add_co_u32_e32 v2, vcc, s2, v2
	v_addc_co_u32_e32 v3, vcc, 0, v3, vcc
	v_mul_lo_u32 v5, s45, v2
	v_mul_lo_u32 v6, s44, v3
	v_mad_u64_u32 v[2:3], s[28:29], s44, v2, 0
	v_add3_u32 v3, v3, v6, v5
	s_load_dwordx2 s[18:19], s[18:19], 0x0
	v_lshlrev_b64 v[2:3], 4, v[2:3]
	s_lshl_b64 s[28:29], s[46:47], 4
	v_mov_b32_e32 v5, s29
	v_add_co_u32_e32 v2, vcc, s28, v2
	s_load_dwordx2 s[24:25], s[24:25], 0x0
	v_addc_co_u32_e32 v3, vcc, v3, v5, vcc
	v_lshlrev_b32_e32 v4, 4, v4
	v_add_co_u32_e32 v2, vcc, v2, v4
	v_addc_co_u32_e32 v3, vcc, 0, v3, vcc
	s_waitcnt lgkmcnt(0)
	v_mov_b32_e32 v4, s19
	v_add_co_u32_e32 v2, vcc, s18, v2
	v_addc_co_u32_e32 v3, vcc, v3, v4, vcc
	s_lshl_b64 s[12:13], s[12:13], 4
	v_add_co_u32_e32 v4, vcc, 8, v2
	s_add_u32 s12, s24, s12
	v_addc_co_u32_e32 v5, vcc, 0, v3, vcc
	v_lshlrev_b64 v[0:1], 4, v[0:1]
	s_addc_u32 s13, s25, s13
	v_mov_b32_e32 v2, s13
	v_add_co_u32_e32 v0, vcc, s12, v0
	v_addc_co_u32_e32 v1, vcc, v2, v1, vcc
	v_add_co_u32_e32 v6, vcc, 8, v0
	s_lshl_b64 s[12:13], s[50:51], 7
	v_lshlrev_b32_e32 v30, 4, v26
	v_addc_co_u32_e32 v7, vcc, 0, v1, vcc
	v_pk_mov_b32 v[10:11], 0, 0
	v_mov_b32_e32 v32, s13
	v_pk_mov_b32 v[8:9], s[36:37], s[36:37] op_sel:[0,1]
	v_pk_mov_b32 v[12:13], 0, 0
	v_pk_mov_b32 v[20:21], 0, 0
	;; [unrolled: 1-line block ×7, first 2 shown]
.LBB276_2:                              ; =>This Inner Loop Header: Depth=1
	global_load_dwordx4 v[0:3], v[4:5], off offset:-8
	v_add_co_u32_e32 v4, vcc, 0x80, v4
	v_addc_co_u32_e32 v5, vcc, 0, v5, vcc
	s_add_u32 s10, s10, 8
	s_addc_u32 s11, s11, 0
	s_waitcnt vmcnt(0)
	v_xor_b32_e32 v3, 0x80000000, v3
	ds_write_b128 v28, v[0:3]
	global_load_dwordx4 v[0:3], v[6:7], off offset:-8
	v_add_co_u32_e32 v6, vcc, s12, v6
	v_addc_co_u32_e32 v7, vcc, v7, v32, vcc
	v_cmp_lt_i64_e32 vcc, s[10:11], v[8:9]
	s_and_b64 vcc, exec, vcc
	s_waitcnt vmcnt(0)
	v_xor_b32_e32 v3, 0x80000000, v3
	ds_write_b128 v29, v[0:3]
	s_waitcnt lgkmcnt(0)
	s_barrier
	ds_read_b128 v[34:37], v31
	ds_read_b128 v[38:41], v31 offset:16
	ds_read_b128 v[42:45], v31 offset:32
	;; [unrolled: 1-line block ×3, first 2 shown]
	ds_read_b128 v[46:49], v30
	s_waitcnt lgkmcnt(0)
	v_mul_f64 v[50:51], v[36:37], v[48:49]
	v_mul_f64 v[52:53], v[34:35], v[48:49]
	v_fma_f64 v[50:51], v[34:35], v[46:47], -v[50:51]
	v_fmac_f64_e32 v[52:53], v[36:37], v[46:47]
	v_add_f64 v[50:51], v[22:23], v[50:51]
	v_add_f64 v[52:53], v[24:25], v[52:53]
	ds_read_b128 v[22:25], v30 offset:256
	s_waitcnt lgkmcnt(0)
	v_mul_f64 v[54:55], v[36:37], v[24:25]
	v_fma_f64 v[54:55], v[34:35], v[22:23], -v[54:55]
	v_mul_f64 v[34:35], v[34:35], v[24:25]
	v_fmac_f64_e32 v[34:35], v[36:37], v[22:23]
	v_add_f64 v[36:37], v[14:15], v[54:55]
	v_add_f64 v[34:35], v[16:17], v[34:35]
	ds_read_b128 v[14:17], v31 offset:2048
	s_waitcnt lgkmcnt(0)
	v_mul_f64 v[54:55], v[16:17], v[48:49]
	v_fma_f64 v[54:55], v[14:15], v[46:47], -v[54:55]
	v_mul_f64 v[48:49], v[14:15], v[48:49]
	v_fmac_f64_e32 v[48:49], v[16:17], v[46:47]
	v_add_f64 v[46:47], v[18:19], v[54:55]
	v_mul_f64 v[18:19], v[16:17], v[24:25]
	v_fma_f64 v[18:19], v[14:15], v[22:23], -v[18:19]
	v_mul_f64 v[14:15], v[14:15], v[24:25]
	v_fmac_f64_e32 v[14:15], v[16:17], v[22:23]
	v_add_f64 v[22:23], v[12:13], v[18:19]
	v_add_f64 v[24:25], v[10:11], v[14:15]
	ds_read_b128 v[10:13], v30 offset:512
	v_add_f64 v[48:49], v[20:21], v[48:49]
	s_waitcnt lgkmcnt(0)
	v_mul_f64 v[14:15], v[40:41], v[12:13]
	v_mul_f64 v[16:17], v[38:39], v[12:13]
	v_fma_f64 v[14:15], v[38:39], v[10:11], -v[14:15]
	v_fmac_f64_e32 v[16:17], v[40:41], v[10:11]
	v_add_f64 v[50:51], v[50:51], v[14:15]
	v_add_f64 v[52:53], v[52:53], v[16:17]
	ds_read_b128 v[14:17], v30 offset:768
	s_waitcnt lgkmcnt(0)
	v_mul_f64 v[18:19], v[40:41], v[16:17]
	v_mul_f64 v[20:21], v[38:39], v[16:17]
	v_fma_f64 v[18:19], v[38:39], v[14:15], -v[18:19]
	v_fmac_f64_e32 v[20:21], v[40:41], v[14:15]
	v_add_f64 v[36:37], v[36:37], v[18:19]
	v_add_f64 v[34:35], v[34:35], v[20:21]
	ds_read_b128 v[18:21], v31 offset:2064
	s_waitcnt lgkmcnt(0)
	v_mul_f64 v[38:39], v[20:21], v[12:13]
	v_mul_f64 v[12:13], v[18:19], v[12:13]
	v_fmac_f64_e32 v[12:13], v[20:21], v[10:11]
	v_fma_f64 v[38:39], v[18:19], v[10:11], -v[38:39]
	v_add_f64 v[40:41], v[48:49], v[12:13]
	v_mul_f64 v[10:11], v[20:21], v[16:17]
	v_mul_f64 v[12:13], v[18:19], v[16:17]
	v_fma_f64 v[10:11], v[18:19], v[14:15], -v[10:11]
	v_fmac_f64_e32 v[12:13], v[20:21], v[14:15]
	v_add_f64 v[22:23], v[22:23], v[10:11]
	v_add_f64 v[24:25], v[24:25], v[12:13]
	ds_read_b128 v[10:13], v30 offset:1024
	v_add_f64 v[38:39], v[46:47], v[38:39]
	s_waitcnt lgkmcnt(0)
	v_mul_f64 v[14:15], v[44:45], v[12:13]
	v_mul_f64 v[16:17], v[42:43], v[12:13]
	v_fma_f64 v[14:15], v[42:43], v[10:11], -v[14:15]
	v_fmac_f64_e32 v[16:17], v[44:45], v[10:11]
	v_add_f64 v[46:47], v[50:51], v[14:15]
	v_add_f64 v[48:49], v[52:53], v[16:17]
	ds_read_b128 v[14:17], v30 offset:1280
	s_waitcnt lgkmcnt(0)
	v_mul_f64 v[18:19], v[44:45], v[16:17]
	v_mul_f64 v[20:21], v[42:43], v[16:17]
	v_fma_f64 v[18:19], v[42:43], v[14:15], -v[18:19]
	v_fmac_f64_e32 v[20:21], v[44:45], v[14:15]
	v_add_f64 v[36:37], v[36:37], v[18:19]
	v_add_f64 v[34:35], v[34:35], v[20:21]
	ds_read_b128 v[18:21], v31 offset:2080
	s_waitcnt lgkmcnt(0)
	v_mul_f64 v[42:43], v[20:21], v[12:13]
	v_mul_f64 v[12:13], v[18:19], v[12:13]
	v_fmac_f64_e32 v[12:13], v[20:21], v[10:11]
	v_fma_f64 v[42:43], v[18:19], v[10:11], -v[42:43]
	v_add_f64 v[40:41], v[40:41], v[12:13]
	v_mul_f64 v[10:11], v[20:21], v[16:17]
	v_mul_f64 v[12:13], v[18:19], v[16:17]
	v_fma_f64 v[10:11], v[18:19], v[14:15], -v[10:11]
	v_fmac_f64_e32 v[12:13], v[20:21], v[14:15]
	v_add_f64 v[18:19], v[22:23], v[10:11]
	v_add_f64 v[20:21], v[24:25], v[12:13]
	ds_read_b128 v[10:13], v30 offset:1536
	v_add_f64 v[38:39], v[38:39], v[42:43]
	s_waitcnt lgkmcnt(0)
	v_mul_f64 v[14:15], v[2:3], v[12:13]
	v_mul_f64 v[16:17], v[0:1], v[12:13]
	v_fma_f64 v[14:15], v[0:1], v[10:11], -v[14:15]
	v_fmac_f64_e32 v[16:17], v[2:3], v[10:11]
	v_add_f64 v[22:23], v[46:47], v[14:15]
	v_add_f64 v[24:25], v[48:49], v[16:17]
	ds_read_b128 v[14:17], v30 offset:1792
	s_waitcnt lgkmcnt(0)
	v_mul_f64 v[42:43], v[2:3], v[16:17]
	v_fma_f64 v[42:43], v[0:1], v[14:15], -v[42:43]
	v_mul_f64 v[0:1], v[0:1], v[16:17]
	v_fmac_f64_e32 v[0:1], v[2:3], v[14:15]
	v_add_f64 v[34:35], v[34:35], v[0:1]
	ds_read_b128 v[0:3], v31 offset:2096
	v_add_f64 v[36:37], v[36:37], v[42:43]
	s_waitcnt lgkmcnt(0)
	v_mul_f64 v[42:43], v[2:3], v[12:13]
	v_mul_f64 v[12:13], v[0:1], v[12:13]
	v_fma_f64 v[42:43], v[0:1], v[10:11], -v[42:43]
	v_fmac_f64_e32 v[12:13], v[2:3], v[10:11]
	v_mul_f64 v[10:11], v[2:3], v[16:17]
	v_fma_f64 v[10:11], v[0:1], v[14:15], -v[10:11]
	v_mul_f64 v[0:1], v[0:1], v[16:17]
	v_fmac_f64_e32 v[0:1], v[2:3], v[14:15]
	v_add_f64 v[40:41], v[40:41], v[12:13]
	v_add_f64 v[18:19], v[18:19], v[10:11]
	v_add_f64 v[20:21], v[20:21], v[0:1]
	ds_read_b128 v[0:3], v31 offset:64
	ds_read_b128 v[10:13], v30 offset:2048
	v_add_f64 v[38:39], v[38:39], v[42:43]
	s_waitcnt lgkmcnt(0)
	v_mul_f64 v[14:15], v[2:3], v[12:13]
	v_mul_f64 v[16:17], v[0:1], v[12:13]
	v_fma_f64 v[14:15], v[0:1], v[10:11], -v[14:15]
	v_fmac_f64_e32 v[16:17], v[2:3], v[10:11]
	v_add_f64 v[22:23], v[22:23], v[14:15]
	v_add_f64 v[24:25], v[24:25], v[16:17]
	ds_read_b128 v[14:17], v30 offset:2304
	s_waitcnt lgkmcnt(0)
	v_mul_f64 v[42:43], v[2:3], v[16:17]
	v_fma_f64 v[42:43], v[0:1], v[14:15], -v[42:43]
	v_mul_f64 v[0:1], v[0:1], v[16:17]
	v_fmac_f64_e32 v[0:1], v[2:3], v[14:15]
	v_add_f64 v[34:35], v[34:35], v[0:1]
	ds_read_b128 v[0:3], v31 offset:2112
	v_add_f64 v[36:37], v[36:37], v[42:43]
	s_waitcnt lgkmcnt(0)
	v_mul_f64 v[42:43], v[2:3], v[12:13]
	v_mul_f64 v[12:13], v[0:1], v[12:13]
	v_fma_f64 v[42:43], v[0:1], v[10:11], -v[42:43]
	v_fmac_f64_e32 v[12:13], v[2:3], v[10:11]
	v_mul_f64 v[10:11], v[2:3], v[16:17]
	v_fma_f64 v[10:11], v[0:1], v[14:15], -v[10:11]
	v_mul_f64 v[0:1], v[0:1], v[16:17]
	v_fmac_f64_e32 v[0:1], v[2:3], v[14:15]
	v_add_f64 v[40:41], v[40:41], v[12:13]
	v_add_f64 v[18:19], v[18:19], v[10:11]
	v_add_f64 v[20:21], v[20:21], v[0:1]
	ds_read_b128 v[0:3], v31 offset:80
	ds_read_b128 v[10:13], v30 offset:2560
	v_add_f64 v[38:39], v[38:39], v[42:43]
	s_waitcnt lgkmcnt(0)
	v_mul_f64 v[14:15], v[2:3], v[12:13]
	v_mul_f64 v[16:17], v[0:1], v[12:13]
	v_fma_f64 v[14:15], v[0:1], v[10:11], -v[14:15]
	v_fmac_f64_e32 v[16:17], v[2:3], v[10:11]
	v_add_f64 v[22:23], v[22:23], v[14:15]
	v_add_f64 v[24:25], v[24:25], v[16:17]
	ds_read_b128 v[14:17], v30 offset:2816
	s_waitcnt lgkmcnt(0)
	v_mul_f64 v[42:43], v[2:3], v[16:17]
	v_fma_f64 v[42:43], v[0:1], v[14:15], -v[42:43]
	v_mul_f64 v[0:1], v[0:1], v[16:17]
	v_fmac_f64_e32 v[0:1], v[2:3], v[14:15]
	v_add_f64 v[34:35], v[34:35], v[0:1]
	ds_read_b128 v[0:3], v31 offset:2128
	v_add_f64 v[36:37], v[36:37], v[42:43]
	s_waitcnt lgkmcnt(0)
	v_mul_f64 v[42:43], v[2:3], v[12:13]
	v_mul_f64 v[12:13], v[0:1], v[12:13]
	v_fma_f64 v[42:43], v[0:1], v[10:11], -v[42:43]
	v_fmac_f64_e32 v[12:13], v[2:3], v[10:11]
	v_mul_f64 v[10:11], v[2:3], v[16:17]
	v_fma_f64 v[10:11], v[0:1], v[14:15], -v[10:11]
	v_mul_f64 v[0:1], v[0:1], v[16:17]
	v_fmac_f64_e32 v[0:1], v[2:3], v[14:15]
	v_add_f64 v[40:41], v[40:41], v[12:13]
	v_add_f64 v[18:19], v[18:19], v[10:11]
	v_add_f64 v[20:21], v[20:21], v[0:1]
	ds_read_b128 v[0:3], v31 offset:96
	ds_read_b128 v[10:13], v30 offset:3072
	v_add_f64 v[38:39], v[38:39], v[42:43]
	s_waitcnt lgkmcnt(0)
	v_mul_f64 v[14:15], v[2:3], v[12:13]
	v_mul_f64 v[16:17], v[0:1], v[12:13]
	v_fma_f64 v[14:15], v[0:1], v[10:11], -v[14:15]
	v_fmac_f64_e32 v[16:17], v[2:3], v[10:11]
	v_add_f64 v[22:23], v[22:23], v[14:15]
	v_add_f64 v[24:25], v[24:25], v[16:17]
	ds_read_b128 v[14:17], v30 offset:3328
	s_waitcnt lgkmcnt(0)
	v_mul_f64 v[42:43], v[2:3], v[16:17]
	v_fma_f64 v[42:43], v[0:1], v[14:15], -v[42:43]
	v_mul_f64 v[0:1], v[0:1], v[16:17]
	v_fmac_f64_e32 v[0:1], v[2:3], v[14:15]
	v_add_f64 v[44:45], v[34:35], v[0:1]
	ds_read_b128 v[0:3], v31 offset:2144
	v_add_f64 v[42:43], v[36:37], v[42:43]
	s_waitcnt lgkmcnt(0)
	v_mul_f64 v[34:35], v[2:3], v[12:13]
	v_mul_f64 v[12:13], v[0:1], v[12:13]
	v_fma_f64 v[34:35], v[0:1], v[10:11], -v[34:35]
	v_fmac_f64_e32 v[12:13], v[2:3], v[10:11]
	v_mul_f64 v[10:11], v[2:3], v[16:17]
	v_fma_f64 v[10:11], v[0:1], v[14:15], -v[10:11]
	v_mul_f64 v[0:1], v[0:1], v[16:17]
	v_fmac_f64_e32 v[0:1], v[2:3], v[14:15]
	v_add_f64 v[40:41], v[40:41], v[12:13]
	v_add_f64 v[46:47], v[18:19], v[10:11]
	v_add_f64 v[48:49], v[20:21], v[0:1]
	ds_read_b128 v[0:3], v31 offset:112
	ds_read_b128 v[10:13], v30 offset:3584
	v_add_f64 v[38:39], v[38:39], v[34:35]
	ds_read_b128 v[34:37], v30 offset:3840
	s_waitcnt lgkmcnt(1)
	v_mul_f64 v[14:15], v[2:3], v[12:13]
	v_fma_f64 v[14:15], v[0:1], v[10:11], -v[14:15]
	v_add_f64 v[22:23], v[22:23], v[14:15]
	s_waitcnt lgkmcnt(0)
	v_mul_f64 v[14:15], v[2:3], v[36:37]
	v_mul_f64 v[16:17], v[0:1], v[12:13]
	v_fma_f64 v[14:15], v[0:1], v[34:35], -v[14:15]
	v_mul_f64 v[0:1], v[0:1], v[36:37]
	v_fmac_f64_e32 v[16:17], v[2:3], v[10:11]
	v_fmac_f64_e32 v[0:1], v[2:3], v[34:35]
	v_add_f64 v[24:25], v[24:25], v[16:17]
	v_add_f64 v[16:17], v[44:45], v[0:1]
	ds_read_b128 v[0:3], v31 offset:2160
	v_add_f64 v[14:15], v[42:43], v[14:15]
	s_waitcnt lgkmcnt(0)
	s_barrier
	v_mul_f64 v[18:19], v[2:3], v[12:13]
	v_mul_f64 v[12:13], v[0:1], v[12:13]
	v_fma_f64 v[18:19], v[0:1], v[10:11], -v[18:19]
	v_fmac_f64_e32 v[12:13], v[2:3], v[10:11]
	v_mul_f64 v[10:11], v[2:3], v[36:37]
	v_fma_f64 v[10:11], v[0:1], v[34:35], -v[10:11]
	v_mul_f64 v[0:1], v[0:1], v[36:37]
	v_fmac_f64_e32 v[0:1], v[2:3], v[34:35]
	v_add_f64 v[18:19], v[38:39], v[18:19]
	v_add_f64 v[20:21], v[40:41], v[12:13]
	v_add_f64 v[12:13], v[46:47], v[10:11]
	v_add_f64 v[10:11], v[48:49], v[0:1]
	s_cbranch_vccnz .LBB276_2
	s_branch .LBB276_4
.LBB276_3:
	v_pk_mov_b32 v[22:23], 0, 0
	v_pk_mov_b32 v[24:25], 0, 0
	;; [unrolled: 1-line block ×8, first 2 shown]
.LBB276_4:
	s_load_dwordx2 s[4:5], s[4:5], 0x90
	v_mov_b32_e32 v0, s7
	v_add_co_u32_e32 v6, vcc, s6, v27
	v_addc_co_u32_e32 v7, vcc, 0, v0, vcc
	s_waitcnt lgkmcnt(0)
	s_lshl_b64 s[4:5], s[4:5], 4
	s_add_u32 s7, s8, s4
	v_cmp_neq_f64_e64 s[10:11], s[14:15], 0
	v_cmp_neq_f64_e64 s[12:13], s[16:17], 0
	v_mov_b32_e32 v1, s3
	v_add_co_u32_e32 v0, vcc, s2, v26
	s_addc_u32 s8, s9, s5
	s_or_b64 s[10:11], s[10:11], s[12:13]
	v_addc_co_u32_e32 v1, vcc, 0, v1, vcc
	s_mov_b64 s[4:5], 0
	s_and_b64 vcc, exec, s[10:11]
	s_cbranch_vccnz .LBB276_6
; %bb.5:
	v_mul_lo_u32 v4, v7, s26
	v_mul_lo_u32 v5, v6, s27
	v_mad_u64_u32 v[2:3], s[2:3], v6, s26, 0
	v_add3_u32 v3, v3, v5, v4
	v_lshlrev_b64 v[2:3], 4, v[2:3]
	v_mov_b32_e32 v4, s8
	v_add_co_u32_e32 v26, vcc, s7, v2
	v_addc_co_u32_e32 v27, vcc, v4, v3, vcc
	v_lshlrev_b64 v[8:9], 4, v[0:1]
	v_mul_f64 v[2:3], s[40:41], v[24:25]
	v_mul_f64 v[4:5], s[38:39], v[24:25]
	v_add_co_u32_e32 v8, vcc, v26, v8
	v_fma_f64 v[2:3], s[38:39], v[22:23], -v[2:3]
	v_fmac_f64_e32 v[4:5], s[40:41], v[22:23]
	v_addc_co_u32_e32 v9, vcc, v27, v9, vcc
	global_store_dwordx4 v[8:9], v[2:5], off
	s_lshl_b64 s[2:3], s[26:27], 8
	v_mul_f64 v[2:3], s[40:41], v[16:17]
	v_mul_f64 v[4:5], s[38:39], v[16:17]
	v_fma_f64 v[2:3], s[38:39], v[14:15], -v[2:3]
	v_fmac_f64_e32 v[4:5], s[40:41], v[14:15]
	global_store_dwordx4 v[8:9], v[2:5], off offset:256
	v_mov_b32_e32 v26, s3
	v_mul_f64 v[2:3], s[40:41], v[20:21]
	v_mul_f64 v[4:5], s[38:39], v[20:21]
	v_add_co_u32_e32 v8, vcc, s2, v8
	v_fma_f64 v[2:3], s[38:39], v[18:19], -v[2:3]
	v_fmac_f64_e32 v[4:5], s[40:41], v[18:19]
	v_addc_co_u32_e32 v9, vcc, v9, v26, vcc
	global_store_dwordx4 v[8:9], v[2:5], off
	s_nop 0
	v_mul_f64 v[2:3], s[40:41], v[10:11]
	v_fma_f64 v[26:27], s[38:39], v[12:13], -v[2:3]
	v_mul_f64 v[4:5], s[38:39], v[10:11]
	v_add_co_u32_e32 v2, vcc, 0x100, v8
	v_fmac_f64_e32 v[4:5], s[40:41], v[12:13]
	v_addc_co_u32_e32 v3, vcc, 0, v9, vcc
	global_store_dwordx2 v[8:9], v[26:27], off offset:256
	s_andn2_b64 vcc, exec, s[4:5]
	s_cbranch_vccz .LBB276_7
	s_branch .LBB276_8
.LBB276_6:
                                        ; implicit-def: $vgpr4_vgpr5
                                        ; implicit-def: $vgpr2_vgpr3
.LBB276_7:
	s_lshl_b64 s[2:3], s[22:23], 4
	s_add_u32 s2, s0, s2
	s_addc_u32 s3, s1, s3
	v_mul_lo_u32 v4, v7, s20
	v_mul_lo_u32 v5, v6, s21
	v_mad_u64_u32 v[2:3], s[0:1], v6, s20, 0
	v_add3_u32 v3, v3, v5, v4
	v_lshlrev_b64 v[2:3], 4, v[2:3]
	v_mov_b32_e32 v4, s3
	v_add_co_u32_e32 v2, vcc, s2, v2
	v_addc_co_u32_e32 v3, vcc, v4, v3, vcc
	v_lshlrev_b64 v[4:5], 4, v[0:1]
	v_add_co_u32_e32 v8, vcc, v2, v4
	v_addc_co_u32_e32 v9, vcc, v3, v5, vcc
	global_load_dwordx4 v[0:3], v[8:9], off
	v_mul_lo_u32 v28, v7, s26
	v_mul_lo_u32 v29, v6, s27
	v_mad_u64_u32 v[6:7], s[0:1], v6, s26, 0
	v_add3_u32 v7, v7, v29, v28
	v_lshlrev_b64 v[6:7], 4, v[6:7]
	v_mov_b32_e32 v30, s8
	v_add_co_u32_e32 v6, vcc, s7, v6
	v_addc_co_u32_e32 v7, vcc, v30, v7, vcc
	v_add_co_u32_e32 v4, vcc, v6, v4
	v_mul_f64 v[26:27], s[40:41], v[24:25]
	v_mul_f64 v[24:25], s[38:39], v[24:25]
	v_addc_co_u32_e32 v5, vcc, v7, v5, vcc
	v_fma_f64 v[26:27], s[38:39], v[22:23], -v[26:27]
	v_fmac_f64_e32 v[24:25], s[40:41], v[22:23]
	s_lshl_b64 s[0:1], s[20:21], 8
	s_waitcnt vmcnt(0)
	v_mul_f64 v[6:7], s[16:17], v[2:3]
	v_mul_f64 v[2:3], s[14:15], v[2:3]
	v_fma_f64 v[6:7], s[14:15], v[0:1], -v[6:7]
	v_fmac_f64_e32 v[2:3], s[16:17], v[0:1]
	v_add_f64 v[0:1], v[26:27], v[6:7]
	v_add_f64 v[2:3], v[24:25], v[2:3]
	global_store_dwordx4 v[4:5], v[0:3], off
	global_load_dwordx4 v[0:3], v[8:9], off offset:256
	v_mul_f64 v[6:7], s[40:41], v[16:17]
	v_mul_f64 v[16:17], s[38:39], v[16:17]
	v_fma_f64 v[6:7], s[38:39], v[14:15], -v[6:7]
	v_fmac_f64_e32 v[16:17], s[40:41], v[14:15]
	v_mov_b32_e32 v14, s1
	v_add_co_u32_e32 v8, vcc, s0, v8
	v_addc_co_u32_e32 v9, vcc, v9, v14, vcc
	s_lshl_b64 s[0:1], s[26:27], 8
	s_waitcnt vmcnt(0)
	v_mul_f64 v[14:15], s[16:17], v[2:3]
	v_mul_f64 v[2:3], s[14:15], v[2:3]
	v_fma_f64 v[14:15], s[14:15], v[0:1], -v[14:15]
	v_fmac_f64_e32 v[2:3], s[16:17], v[0:1]
	v_add_f64 v[0:1], v[6:7], v[14:15]
	v_add_f64 v[2:3], v[16:17], v[2:3]
	global_store_dwordx4 v[4:5], v[0:3], off offset:256
	global_load_dwordx4 v[0:3], v[8:9], off
	v_mov_b32_e32 v17, s1
	v_add_co_u32_e32 v16, vcc, s0, v4
	v_mul_f64 v[6:7], s[40:41], v[20:21]
	v_mul_f64 v[14:15], s[38:39], v[20:21]
	v_addc_co_u32_e32 v17, vcc, v5, v17, vcc
	v_fma_f64 v[6:7], s[38:39], v[18:19], -v[6:7]
	v_fmac_f64_e32 v[14:15], s[40:41], v[18:19]
	s_waitcnt vmcnt(0)
	v_mul_f64 v[4:5], s[16:17], v[2:3]
	v_mul_f64 v[2:3], s[14:15], v[2:3]
	v_fma_f64 v[4:5], s[14:15], v[0:1], -v[4:5]
	v_fmac_f64_e32 v[2:3], s[16:17], v[0:1]
	v_add_f64 v[0:1], v[6:7], v[4:5]
	v_add_f64 v[2:3], v[14:15], v[2:3]
	global_store_dwordx4 v[16:17], v[0:3], off
	global_load_dwordx4 v[4:7], v[8:9], off offset:256
	v_mul_f64 v[0:1], s[40:41], v[10:11]
	v_mul_f64 v[8:9], s[38:39], v[10:11]
	v_fma_f64 v[0:1], s[38:39], v[12:13], -v[0:1]
	v_fmac_f64_e32 v[8:9], s[40:41], v[12:13]
	v_add_co_u32_e32 v2, vcc, 0x100, v16
	v_addc_co_u32_e32 v3, vcc, 0, v17, vcc
	s_waitcnt vmcnt(0)
	v_mul_f64 v[10:11], s[16:17], v[6:7]
	v_mul_f64 v[6:7], s[14:15], v[6:7]
	v_fma_f64 v[10:11], s[14:15], v[4:5], -v[10:11]
	v_fmac_f64_e32 v[6:7], s[16:17], v[4:5]
	v_add_f64 v[0:1], v[0:1], v[10:11]
	v_add_f64 v[4:5], v[8:9], v[6:7]
	global_store_dwordx2 v[16:17], v[0:1], off offset:256
.LBB276_8:
	global_store_dwordx2 v[2:3], v[4:5], off offset:8
	s_endpgm
	.section	.rodata,"a",@progbits
	.p2align	6, 0x0
	.amdhsa_kernel _ZN12_GLOBAL__N_127rocblas_gemm_batched_kernelI19rocblas_complex_numIdELi16ELi16ELi32ELi32ELi8ELi32ELi8ELi8ELi32ELc67ELc67EKPKS2_S5_KPS2_EEvlllT_PT11_llSA_llS8_PT12_llPT13_lli
		.amdhsa_group_segment_fixed_size 8192
		.amdhsa_private_segment_fixed_size 0
		.amdhsa_kernarg_size 156
		.amdhsa_user_sgpr_count 6
		.amdhsa_user_sgpr_private_segment_buffer 1
		.amdhsa_user_sgpr_dispatch_ptr 0
		.amdhsa_user_sgpr_queue_ptr 0
		.amdhsa_user_sgpr_kernarg_segment_ptr 1
		.amdhsa_user_sgpr_dispatch_id 0
		.amdhsa_user_sgpr_flat_scratch_init 0
		.amdhsa_user_sgpr_kernarg_preload_length 0
		.amdhsa_user_sgpr_kernarg_preload_offset 0
		.amdhsa_user_sgpr_private_segment_size 0
		.amdhsa_uses_dynamic_stack 0
		.amdhsa_system_sgpr_private_segment_wavefront_offset 0
		.amdhsa_system_sgpr_workgroup_id_x 1
		.amdhsa_system_sgpr_workgroup_id_y 1
		.amdhsa_system_sgpr_workgroup_id_z 1
		.amdhsa_system_sgpr_workgroup_info 0
		.amdhsa_system_vgpr_workitem_id 1
		.amdhsa_next_free_vgpr 56
		.amdhsa_next_free_sgpr 52
		.amdhsa_accum_offset 56
		.amdhsa_reserve_vcc 1
		.amdhsa_reserve_flat_scratch 0
		.amdhsa_float_round_mode_32 0
		.amdhsa_float_round_mode_16_64 0
		.amdhsa_float_denorm_mode_32 3
		.amdhsa_float_denorm_mode_16_64 3
		.amdhsa_dx10_clamp 1
		.amdhsa_ieee_mode 1
		.amdhsa_fp16_overflow 0
		.amdhsa_tg_split 0
		.amdhsa_exception_fp_ieee_invalid_op 0
		.amdhsa_exception_fp_denorm_src 0
		.amdhsa_exception_fp_ieee_div_zero 0
		.amdhsa_exception_fp_ieee_overflow 0
		.amdhsa_exception_fp_ieee_underflow 0
		.amdhsa_exception_fp_ieee_inexact 0
		.amdhsa_exception_int_div_zero 0
	.end_amdhsa_kernel
	.section	.text._ZN12_GLOBAL__N_127rocblas_gemm_batched_kernelI19rocblas_complex_numIdELi16ELi16ELi32ELi32ELi8ELi32ELi8ELi8ELi32ELc67ELc67EKPKS2_S5_KPS2_EEvlllT_PT11_llSA_llS8_PT12_llPT13_lli,"axG",@progbits,_ZN12_GLOBAL__N_127rocblas_gemm_batched_kernelI19rocblas_complex_numIdELi16ELi16ELi32ELi32ELi8ELi32ELi8ELi8ELi32ELc67ELc67EKPKS2_S5_KPS2_EEvlllT_PT11_llSA_llS8_PT12_llPT13_lli,comdat
.Lfunc_end276:
	.size	_ZN12_GLOBAL__N_127rocblas_gemm_batched_kernelI19rocblas_complex_numIdELi16ELi16ELi32ELi32ELi8ELi32ELi8ELi8ELi32ELc67ELc67EKPKS2_S5_KPS2_EEvlllT_PT11_llSA_llS8_PT12_llPT13_lli, .Lfunc_end276-_ZN12_GLOBAL__N_127rocblas_gemm_batched_kernelI19rocblas_complex_numIdELi16ELi16ELi32ELi32ELi8ELi32ELi8ELi8ELi32ELc67ELc67EKPKS2_S5_KPS2_EEvlllT_PT11_llSA_llS8_PT12_llPT13_lli
                                        ; -- End function
	.section	.AMDGPU.csdata,"",@progbits
; Kernel info:
; codeLenInByte = 3320
; NumSgprs: 56
; NumVgprs: 56
; NumAgprs: 0
; TotalNumVgprs: 56
; ScratchSize: 0
; MemoryBound: 0
; FloatMode: 240
; IeeeMode: 1
; LDSByteSize: 8192 bytes/workgroup (compile time only)
; SGPRBlocks: 6
; VGPRBlocks: 6
; NumSGPRsForWavesPerEU: 56
; NumVGPRsForWavesPerEU: 56
; AccumOffset: 56
; Occupancy: 8
; WaveLimiterHint : 1
; COMPUTE_PGM_RSRC2:SCRATCH_EN: 0
; COMPUTE_PGM_RSRC2:USER_SGPR: 6
; COMPUTE_PGM_RSRC2:TRAP_HANDLER: 0
; COMPUTE_PGM_RSRC2:TGID_X_EN: 1
; COMPUTE_PGM_RSRC2:TGID_Y_EN: 1
; COMPUTE_PGM_RSRC2:TGID_Z_EN: 1
; COMPUTE_PGM_RSRC2:TIDIG_COMP_CNT: 1
; COMPUTE_PGM_RSRC3_GFX90A:ACCUM_OFFSET: 13
; COMPUTE_PGM_RSRC3_GFX90A:TG_SPLIT: 0
	.section	.text._ZN12_GLOBAL__N_127rocblas_gemm_batched_kernelI19rocblas_complex_numIdELi16ELi16ELi32ELi32ELi8ELi32ELi8ELi8ELi32ELc67ELc78EKPKS2_S5_KPS2_EEvlllT_PT11_llSA_llS8_PT12_llPT13_lli,"axG",@progbits,_ZN12_GLOBAL__N_127rocblas_gemm_batched_kernelI19rocblas_complex_numIdELi16ELi16ELi32ELi32ELi8ELi32ELi8ELi8ELi32ELc67ELc78EKPKS2_S5_KPS2_EEvlllT_PT11_llSA_llS8_PT12_llPT13_lli,comdat
	.globl	_ZN12_GLOBAL__N_127rocblas_gemm_batched_kernelI19rocblas_complex_numIdELi16ELi16ELi32ELi32ELi8ELi32ELi8ELi8ELi32ELc67ELc78EKPKS2_S5_KPS2_EEvlllT_PT11_llSA_llS8_PT12_llPT13_lli ; -- Begin function _ZN12_GLOBAL__N_127rocblas_gemm_batched_kernelI19rocblas_complex_numIdELi16ELi16ELi32ELi32ELi8ELi32ELi8ELi8ELi32ELc67ELc78EKPKS2_S5_KPS2_EEvlllT_PT11_llSA_llS8_PT12_llPT13_lli
	.p2align	8
	.type	_ZN12_GLOBAL__N_127rocblas_gemm_batched_kernelI19rocblas_complex_numIdELi16ELi16ELi32ELi32ELi8ELi32ELi8ELi8ELi32ELc67ELc78EKPKS2_S5_KPS2_EEvlllT_PT11_llSA_llS8_PT12_llPT13_lli,@function
_ZN12_GLOBAL__N_127rocblas_gemm_batched_kernelI19rocblas_complex_numIdELi16ELi16ELi32ELi32ELi8ELi32ELi8ELi8ELi32ELc67ELc78EKPKS2_S5_KPS2_EEvlllT_PT11_llSA_llS8_PT12_llPT13_lli: ; @_ZN12_GLOBAL__N_127rocblas_gemm_batched_kernelI19rocblas_complex_numIdELi16ELi16ELi32ELi32ELi8ELi32ELi8ELi8ELi32ELc67ELc78EKPKS2_S5_KPS2_EEvlllT_PT11_llSA_llS8_PT12_llPT13_lli
; %bb.0:
	s_load_dwordx16 s[36:51], s[4:5], 0x10
	s_load_dwordx16 s[12:27], s[4:5], 0x50
	s_mov_b32 s9, 0
	s_lshl_b64 s[28:29], s[8:9], 3
	s_mov_b32 s10, s7
	v_bfe_u32 v27, v0, 10, 10
	s_waitcnt lgkmcnt(0)
	s_add_u32 s0, s18, s28
	s_addc_u32 s1, s19, s29
	s_add_u32 s2, s24, s28
	s_addc_u32 s3, s25, s29
	s_load_dwordx2 s[0:1], s[0:1], 0x0
	s_ashr_i32 s7, s6, 31
	s_load_dwordx2 s[8:9], s[2:3], 0x0
	s_ashr_i32 s11, s10, 31
	v_cmp_lt_i64_e64 s[18:19], s[36:37], 1
	v_and_b32_e32 v26, 0x3ff, v0
	s_lshl_b64 s[2:3], s[6:7], 5
	s_lshl_b64 s[6:7], s[10:11], 5
	s_mov_b64 s[10:11], 0
	s_and_b64 vcc, exec, s[18:19]
	s_cbranch_vccnz .LBB277_3
; %bb.1:
	v_lshl_add_u32 v0, v27, 4, v26
	v_and_b32_e32 v4, 7, v26
	v_and_b32_e32 v5, 31, v0
	v_lshrrev_b32_e32 v1, 3, v0
	v_lshrrev_b32_e32 v6, 5, v0
	v_lshlrev_b32_e32 v0, 4, v5
	v_lshlrev_b32_e32 v7, 4, v4
	v_mov_b32_e32 v2, s7
	v_add_co_u32_e32 v3, vcc, s6, v1
	v_lshl_or_b32 v28, v6, 9, v0
	v_lshl_or_b32 v0, v1, 7, v7
	s_add_u32 s18, s42, s28
	v_addc_co_u32_e32 v2, vcc, 0, v2, vcc
	v_add_u32_e32 v29, 0x1000, v0
	v_mov_b32_e32 v0, 0x1000
	s_addc_u32 s19, s43, s29
	v_lshl_add_u32 v31, v27, 7, v0
	v_mov_b32_e32 v0, s3
	v_add_co_u32_e32 v1, vcc, s2, v5
	s_add_u32 s24, s48, s28
	v_addc_co_u32_e32 v0, vcc, 0, v0, vcc
	s_addc_u32 s25, s49, s29
	v_mul_lo_u32 v4, s45, v1
	v_mul_lo_u32 v5, s44, v0
	v_mad_u64_u32 v[0:1], s[28:29], s44, v1, 0
	v_add3_u32 v1, v1, v5, v4
	s_load_dwordx2 s[18:19], s[18:19], 0x0
	v_lshlrev_b64 v[0:1], 4, v[0:1]
	s_lshl_b64 s[28:29], s[46:47], 4
	v_mov_b32_e32 v4, s29
	v_add_co_u32_e32 v0, vcc, s28, v0
	v_addc_co_u32_e32 v1, vcc, v1, v4, vcc
	v_lshlrev_b32_e32 v4, 4, v6
	v_add_co_u32_e32 v0, vcc, v0, v4
	v_addc_co_u32_e32 v1, vcc, 0, v1, vcc
	s_waitcnt lgkmcnt(0)
	v_mov_b32_e32 v4, s19
	v_add_co_u32_e32 v0, vcc, s18, v0
	v_addc_co_u32_e32 v1, vcc, v1, v4, vcc
	v_add_co_u32_e32 v4, vcc, 8, v0
	v_addc_co_u32_e32 v5, vcc, 0, v1, vcc
	v_mul_lo_u32 v6, s51, v3
	v_mul_lo_u32 v2, s50, v2
	v_mad_u64_u32 v[0:1], s[18:19], s50, v3, 0
	v_add3_u32 v1, v1, v2, v6
	s_load_dwordx2 s[24:25], s[24:25], 0x0
	v_lshlrev_b64 v[0:1], 4, v[0:1]
	s_lshl_b64 s[12:13], s[12:13], 4
	v_mov_b32_e32 v2, s13
	v_add_co_u32_e32 v0, vcc, s12, v0
	v_addc_co_u32_e32 v1, vcc, v1, v2, vcc
	v_add_co_u32_e32 v0, vcc, v0, v7
	v_addc_co_u32_e32 v1, vcc, 0, v1, vcc
	s_waitcnt lgkmcnt(0)
	v_mov_b32_e32 v2, s25
	v_add_co_u32_e32 v6, vcc, s24, v0
	v_lshlrev_b32_e32 v30, 4, v26
	v_addc_co_u32_e32 v7, vcc, v2, v1, vcc
	v_pk_mov_b32 v[10:11], 0, 0
	v_pk_mov_b32 v[8:9], s[36:37], s[36:37] op_sel:[0,1]
	v_pk_mov_b32 v[12:13], 0, 0
	v_pk_mov_b32 v[20:21], 0, 0
	;; [unrolled: 1-line block ×7, first 2 shown]
.LBB277_2:                              ; =>This Inner Loop Header: Depth=1
	global_load_dwordx4 v[0:3], v[4:5], off offset:-8
	v_add_co_u32_e32 v4, vcc, 0x80, v4
	v_addc_co_u32_e32 v5, vcc, 0, v5, vcc
	s_add_u32 s10, s10, 8
	s_addc_u32 s11, s11, 0
	s_waitcnt vmcnt(0)
	v_xor_b32_e32 v3, 0x80000000, v3
	ds_write_b128 v28, v[0:3]
	global_load_dwordx4 v[0:3], v[6:7], off
	v_add_co_u32_e32 v6, vcc, 0x80, v6
	v_addc_co_u32_e32 v7, vcc, 0, v7, vcc
	v_cmp_lt_i64_e32 vcc, s[10:11], v[8:9]
	s_and_b64 vcc, exec, vcc
	s_waitcnt vmcnt(0)
	ds_write2_b64 v29, v[0:1], v[2:3] offset1:1
	s_waitcnt lgkmcnt(0)
	s_barrier
	ds_read_b128 v[32:35], v31
	ds_read_b128 v[36:39], v31 offset:16
	ds_read_b128 v[40:43], v31 offset:32
	;; [unrolled: 1-line block ×3, first 2 shown]
	ds_read_b128 v[44:47], v30
	s_waitcnt lgkmcnt(0)
	v_mul_f64 v[48:49], v[34:35], v[46:47]
	v_mul_f64 v[50:51], v[32:33], v[46:47]
	v_fma_f64 v[48:49], v[32:33], v[44:45], -v[48:49]
	v_fmac_f64_e32 v[50:51], v[34:35], v[44:45]
	v_add_f64 v[48:49], v[22:23], v[48:49]
	v_add_f64 v[50:51], v[24:25], v[50:51]
	ds_read_b128 v[22:25], v30 offset:256
	s_waitcnt lgkmcnt(0)
	v_mul_f64 v[52:53], v[34:35], v[24:25]
	v_fma_f64 v[52:53], v[32:33], v[22:23], -v[52:53]
	v_mul_f64 v[32:33], v[32:33], v[24:25]
	v_fmac_f64_e32 v[32:33], v[34:35], v[22:23]
	v_add_f64 v[34:35], v[14:15], v[52:53]
	v_add_f64 v[32:33], v[16:17], v[32:33]
	ds_read_b128 v[14:17], v31 offset:2048
	s_waitcnt lgkmcnt(0)
	v_mul_f64 v[52:53], v[16:17], v[46:47]
	v_fma_f64 v[52:53], v[14:15], v[44:45], -v[52:53]
	v_mul_f64 v[46:47], v[14:15], v[46:47]
	v_fmac_f64_e32 v[46:47], v[16:17], v[44:45]
	v_add_f64 v[44:45], v[18:19], v[52:53]
	v_mul_f64 v[18:19], v[16:17], v[24:25]
	v_fma_f64 v[18:19], v[14:15], v[22:23], -v[18:19]
	v_mul_f64 v[14:15], v[14:15], v[24:25]
	v_fmac_f64_e32 v[14:15], v[16:17], v[22:23]
	v_add_f64 v[22:23], v[12:13], v[18:19]
	v_add_f64 v[24:25], v[10:11], v[14:15]
	ds_read_b128 v[10:13], v30 offset:512
	v_add_f64 v[46:47], v[20:21], v[46:47]
	s_waitcnt lgkmcnt(0)
	v_mul_f64 v[14:15], v[38:39], v[12:13]
	v_mul_f64 v[16:17], v[36:37], v[12:13]
	v_fma_f64 v[14:15], v[36:37], v[10:11], -v[14:15]
	v_fmac_f64_e32 v[16:17], v[38:39], v[10:11]
	v_add_f64 v[48:49], v[48:49], v[14:15]
	v_add_f64 v[50:51], v[50:51], v[16:17]
	ds_read_b128 v[14:17], v30 offset:768
	s_waitcnt lgkmcnt(0)
	v_mul_f64 v[18:19], v[38:39], v[16:17]
	v_mul_f64 v[20:21], v[36:37], v[16:17]
	v_fma_f64 v[18:19], v[36:37], v[14:15], -v[18:19]
	v_fmac_f64_e32 v[20:21], v[38:39], v[14:15]
	v_add_f64 v[34:35], v[34:35], v[18:19]
	v_add_f64 v[32:33], v[32:33], v[20:21]
	ds_read_b128 v[18:21], v31 offset:2064
	s_waitcnt lgkmcnt(0)
	v_mul_f64 v[36:37], v[20:21], v[12:13]
	v_mul_f64 v[12:13], v[18:19], v[12:13]
	v_fmac_f64_e32 v[12:13], v[20:21], v[10:11]
	v_fma_f64 v[36:37], v[18:19], v[10:11], -v[36:37]
	v_add_f64 v[38:39], v[46:47], v[12:13]
	v_mul_f64 v[10:11], v[20:21], v[16:17]
	v_mul_f64 v[12:13], v[18:19], v[16:17]
	v_fma_f64 v[10:11], v[18:19], v[14:15], -v[10:11]
	v_fmac_f64_e32 v[12:13], v[20:21], v[14:15]
	v_add_f64 v[22:23], v[22:23], v[10:11]
	v_add_f64 v[24:25], v[24:25], v[12:13]
	ds_read_b128 v[10:13], v30 offset:1024
	v_add_f64 v[36:37], v[44:45], v[36:37]
	s_waitcnt lgkmcnt(0)
	v_mul_f64 v[14:15], v[42:43], v[12:13]
	v_mul_f64 v[16:17], v[40:41], v[12:13]
	v_fma_f64 v[14:15], v[40:41], v[10:11], -v[14:15]
	v_fmac_f64_e32 v[16:17], v[42:43], v[10:11]
	v_add_f64 v[44:45], v[48:49], v[14:15]
	v_add_f64 v[46:47], v[50:51], v[16:17]
	ds_read_b128 v[14:17], v30 offset:1280
	s_waitcnt lgkmcnt(0)
	v_mul_f64 v[18:19], v[42:43], v[16:17]
	v_mul_f64 v[20:21], v[40:41], v[16:17]
	v_fma_f64 v[18:19], v[40:41], v[14:15], -v[18:19]
	v_fmac_f64_e32 v[20:21], v[42:43], v[14:15]
	v_add_f64 v[34:35], v[34:35], v[18:19]
	v_add_f64 v[32:33], v[32:33], v[20:21]
	ds_read_b128 v[18:21], v31 offset:2080
	s_waitcnt lgkmcnt(0)
	v_mul_f64 v[40:41], v[20:21], v[12:13]
	v_mul_f64 v[12:13], v[18:19], v[12:13]
	v_fmac_f64_e32 v[12:13], v[20:21], v[10:11]
	v_fma_f64 v[40:41], v[18:19], v[10:11], -v[40:41]
	v_add_f64 v[38:39], v[38:39], v[12:13]
	v_mul_f64 v[10:11], v[20:21], v[16:17]
	v_mul_f64 v[12:13], v[18:19], v[16:17]
	v_fma_f64 v[10:11], v[18:19], v[14:15], -v[10:11]
	v_fmac_f64_e32 v[12:13], v[20:21], v[14:15]
	v_add_f64 v[18:19], v[22:23], v[10:11]
	v_add_f64 v[20:21], v[24:25], v[12:13]
	ds_read_b128 v[10:13], v30 offset:1536
	v_add_f64 v[36:37], v[36:37], v[40:41]
	s_waitcnt lgkmcnt(0)
	v_mul_f64 v[14:15], v[2:3], v[12:13]
	v_mul_f64 v[16:17], v[0:1], v[12:13]
	v_fma_f64 v[14:15], v[0:1], v[10:11], -v[14:15]
	v_fmac_f64_e32 v[16:17], v[2:3], v[10:11]
	v_add_f64 v[22:23], v[44:45], v[14:15]
	v_add_f64 v[24:25], v[46:47], v[16:17]
	ds_read_b128 v[14:17], v30 offset:1792
	s_waitcnt lgkmcnt(0)
	v_mul_f64 v[40:41], v[2:3], v[16:17]
	v_fma_f64 v[40:41], v[0:1], v[14:15], -v[40:41]
	v_mul_f64 v[0:1], v[0:1], v[16:17]
	v_fmac_f64_e32 v[0:1], v[2:3], v[14:15]
	v_add_f64 v[32:33], v[32:33], v[0:1]
	ds_read_b128 v[0:3], v31 offset:2096
	v_add_f64 v[34:35], v[34:35], v[40:41]
	s_waitcnt lgkmcnt(0)
	v_mul_f64 v[40:41], v[2:3], v[12:13]
	v_mul_f64 v[12:13], v[0:1], v[12:13]
	v_fma_f64 v[40:41], v[0:1], v[10:11], -v[40:41]
	v_fmac_f64_e32 v[12:13], v[2:3], v[10:11]
	v_mul_f64 v[10:11], v[2:3], v[16:17]
	v_fma_f64 v[10:11], v[0:1], v[14:15], -v[10:11]
	v_mul_f64 v[0:1], v[0:1], v[16:17]
	v_fmac_f64_e32 v[0:1], v[2:3], v[14:15]
	v_add_f64 v[38:39], v[38:39], v[12:13]
	v_add_f64 v[18:19], v[18:19], v[10:11]
	v_add_f64 v[20:21], v[20:21], v[0:1]
	ds_read_b128 v[0:3], v31 offset:64
	ds_read_b128 v[10:13], v30 offset:2048
	v_add_f64 v[36:37], v[36:37], v[40:41]
	s_waitcnt lgkmcnt(0)
	v_mul_f64 v[14:15], v[2:3], v[12:13]
	v_mul_f64 v[16:17], v[0:1], v[12:13]
	v_fma_f64 v[14:15], v[0:1], v[10:11], -v[14:15]
	v_fmac_f64_e32 v[16:17], v[2:3], v[10:11]
	v_add_f64 v[22:23], v[22:23], v[14:15]
	v_add_f64 v[24:25], v[24:25], v[16:17]
	ds_read_b128 v[14:17], v30 offset:2304
	s_waitcnt lgkmcnt(0)
	v_mul_f64 v[40:41], v[2:3], v[16:17]
	v_fma_f64 v[40:41], v[0:1], v[14:15], -v[40:41]
	v_mul_f64 v[0:1], v[0:1], v[16:17]
	v_fmac_f64_e32 v[0:1], v[2:3], v[14:15]
	v_add_f64 v[32:33], v[32:33], v[0:1]
	ds_read_b128 v[0:3], v31 offset:2112
	v_add_f64 v[34:35], v[34:35], v[40:41]
	s_waitcnt lgkmcnt(0)
	v_mul_f64 v[40:41], v[2:3], v[12:13]
	v_mul_f64 v[12:13], v[0:1], v[12:13]
	v_fma_f64 v[40:41], v[0:1], v[10:11], -v[40:41]
	v_fmac_f64_e32 v[12:13], v[2:3], v[10:11]
	v_mul_f64 v[10:11], v[2:3], v[16:17]
	v_fma_f64 v[10:11], v[0:1], v[14:15], -v[10:11]
	v_mul_f64 v[0:1], v[0:1], v[16:17]
	v_fmac_f64_e32 v[0:1], v[2:3], v[14:15]
	v_add_f64 v[38:39], v[38:39], v[12:13]
	v_add_f64 v[18:19], v[18:19], v[10:11]
	v_add_f64 v[20:21], v[20:21], v[0:1]
	ds_read_b128 v[0:3], v31 offset:80
	;; [unrolled: 31-line block ×4, first 2 shown]
	ds_read_b128 v[10:13], v30 offset:3584
	v_add_f64 v[36:37], v[36:37], v[32:33]
	ds_read_b128 v[32:35], v30 offset:3840
	s_waitcnt lgkmcnt(1)
	v_mul_f64 v[14:15], v[2:3], v[12:13]
	v_fma_f64 v[14:15], v[0:1], v[10:11], -v[14:15]
	v_add_f64 v[22:23], v[22:23], v[14:15]
	s_waitcnt lgkmcnt(0)
	v_mul_f64 v[14:15], v[2:3], v[34:35]
	v_mul_f64 v[16:17], v[0:1], v[12:13]
	v_fma_f64 v[14:15], v[0:1], v[32:33], -v[14:15]
	v_mul_f64 v[0:1], v[0:1], v[34:35]
	v_fmac_f64_e32 v[16:17], v[2:3], v[10:11]
	v_fmac_f64_e32 v[0:1], v[2:3], v[32:33]
	v_add_f64 v[24:25], v[24:25], v[16:17]
	v_add_f64 v[16:17], v[42:43], v[0:1]
	ds_read_b128 v[0:3], v31 offset:2160
	v_add_f64 v[14:15], v[40:41], v[14:15]
	s_waitcnt lgkmcnt(0)
	s_barrier
	v_mul_f64 v[18:19], v[2:3], v[12:13]
	v_mul_f64 v[12:13], v[0:1], v[12:13]
	v_fma_f64 v[18:19], v[0:1], v[10:11], -v[18:19]
	v_fmac_f64_e32 v[12:13], v[2:3], v[10:11]
	v_mul_f64 v[10:11], v[2:3], v[34:35]
	v_fma_f64 v[10:11], v[0:1], v[32:33], -v[10:11]
	v_mul_f64 v[0:1], v[0:1], v[34:35]
	v_fmac_f64_e32 v[0:1], v[2:3], v[32:33]
	v_add_f64 v[18:19], v[36:37], v[18:19]
	v_add_f64 v[20:21], v[38:39], v[12:13]
	;; [unrolled: 1-line block ×4, first 2 shown]
	s_cbranch_vccnz .LBB277_2
	s_branch .LBB277_4
.LBB277_3:
	v_pk_mov_b32 v[22:23], 0, 0
	v_pk_mov_b32 v[24:25], 0, 0
	;; [unrolled: 1-line block ×8, first 2 shown]
.LBB277_4:
	s_load_dwordx2 s[4:5], s[4:5], 0x90
	v_mov_b32_e32 v0, s7
	v_add_co_u32_e32 v6, vcc, s6, v27
	v_addc_co_u32_e32 v7, vcc, 0, v0, vcc
	s_waitcnt lgkmcnt(0)
	s_lshl_b64 s[4:5], s[4:5], 4
	s_add_u32 s7, s8, s4
	v_cmp_neq_f64_e64 s[10:11], s[14:15], 0
	v_cmp_neq_f64_e64 s[12:13], s[16:17], 0
	v_mov_b32_e32 v1, s3
	v_add_co_u32_e32 v0, vcc, s2, v26
	s_addc_u32 s8, s9, s5
	s_or_b64 s[10:11], s[10:11], s[12:13]
	v_addc_co_u32_e32 v1, vcc, 0, v1, vcc
	s_mov_b64 s[4:5], 0
	s_and_b64 vcc, exec, s[10:11]
	s_cbranch_vccnz .LBB277_6
; %bb.5:
	v_mul_lo_u32 v4, v7, s26
	v_mul_lo_u32 v5, v6, s27
	v_mad_u64_u32 v[2:3], s[2:3], v6, s26, 0
	v_add3_u32 v3, v3, v5, v4
	v_lshlrev_b64 v[2:3], 4, v[2:3]
	v_mov_b32_e32 v4, s8
	v_add_co_u32_e32 v26, vcc, s7, v2
	v_addc_co_u32_e32 v27, vcc, v4, v3, vcc
	v_lshlrev_b64 v[8:9], 4, v[0:1]
	v_mul_f64 v[2:3], s[40:41], v[24:25]
	v_mul_f64 v[4:5], s[38:39], v[24:25]
	v_add_co_u32_e32 v8, vcc, v26, v8
	v_fma_f64 v[2:3], s[38:39], v[22:23], -v[2:3]
	v_fmac_f64_e32 v[4:5], s[40:41], v[22:23]
	v_addc_co_u32_e32 v9, vcc, v27, v9, vcc
	global_store_dwordx4 v[8:9], v[2:5], off
	s_lshl_b64 s[2:3], s[26:27], 8
	v_mul_f64 v[2:3], s[40:41], v[16:17]
	v_mul_f64 v[4:5], s[38:39], v[16:17]
	v_fma_f64 v[2:3], s[38:39], v[14:15], -v[2:3]
	v_fmac_f64_e32 v[4:5], s[40:41], v[14:15]
	global_store_dwordx4 v[8:9], v[2:5], off offset:256
	v_mov_b32_e32 v26, s3
	v_mul_f64 v[2:3], s[40:41], v[20:21]
	v_mul_f64 v[4:5], s[38:39], v[20:21]
	v_add_co_u32_e32 v8, vcc, s2, v8
	v_fma_f64 v[2:3], s[38:39], v[18:19], -v[2:3]
	v_fmac_f64_e32 v[4:5], s[40:41], v[18:19]
	v_addc_co_u32_e32 v9, vcc, v9, v26, vcc
	global_store_dwordx4 v[8:9], v[2:5], off
	s_nop 0
	v_mul_f64 v[2:3], s[40:41], v[10:11]
	v_fma_f64 v[26:27], s[38:39], v[12:13], -v[2:3]
	v_mul_f64 v[4:5], s[38:39], v[10:11]
	v_add_co_u32_e32 v2, vcc, 0x100, v8
	v_fmac_f64_e32 v[4:5], s[40:41], v[12:13]
	v_addc_co_u32_e32 v3, vcc, 0, v9, vcc
	global_store_dwordx2 v[8:9], v[26:27], off offset:256
	s_andn2_b64 vcc, exec, s[4:5]
	s_cbranch_vccz .LBB277_7
	s_branch .LBB277_8
.LBB277_6:
                                        ; implicit-def: $vgpr4_vgpr5
                                        ; implicit-def: $vgpr2_vgpr3
.LBB277_7:
	s_lshl_b64 s[2:3], s[22:23], 4
	s_add_u32 s2, s0, s2
	s_addc_u32 s3, s1, s3
	v_mul_lo_u32 v4, v7, s20
	v_mul_lo_u32 v5, v6, s21
	v_mad_u64_u32 v[2:3], s[0:1], v6, s20, 0
	v_add3_u32 v3, v3, v5, v4
	v_lshlrev_b64 v[2:3], 4, v[2:3]
	v_mov_b32_e32 v4, s3
	v_add_co_u32_e32 v2, vcc, s2, v2
	v_addc_co_u32_e32 v3, vcc, v4, v3, vcc
	v_lshlrev_b64 v[4:5], 4, v[0:1]
	v_add_co_u32_e32 v8, vcc, v2, v4
	v_addc_co_u32_e32 v9, vcc, v3, v5, vcc
	global_load_dwordx4 v[0:3], v[8:9], off
	v_mul_lo_u32 v28, v7, s26
	v_mul_lo_u32 v29, v6, s27
	v_mad_u64_u32 v[6:7], s[0:1], v6, s26, 0
	v_add3_u32 v7, v7, v29, v28
	v_lshlrev_b64 v[6:7], 4, v[6:7]
	v_mov_b32_e32 v30, s8
	v_add_co_u32_e32 v6, vcc, s7, v6
	v_addc_co_u32_e32 v7, vcc, v30, v7, vcc
	v_add_co_u32_e32 v4, vcc, v6, v4
	v_mul_f64 v[26:27], s[40:41], v[24:25]
	v_mul_f64 v[24:25], s[38:39], v[24:25]
	v_addc_co_u32_e32 v5, vcc, v7, v5, vcc
	v_fma_f64 v[26:27], s[38:39], v[22:23], -v[26:27]
	v_fmac_f64_e32 v[24:25], s[40:41], v[22:23]
	s_lshl_b64 s[0:1], s[20:21], 8
	s_waitcnt vmcnt(0)
	v_mul_f64 v[6:7], s[16:17], v[2:3]
	v_mul_f64 v[2:3], s[14:15], v[2:3]
	v_fma_f64 v[6:7], s[14:15], v[0:1], -v[6:7]
	v_fmac_f64_e32 v[2:3], s[16:17], v[0:1]
	v_add_f64 v[0:1], v[26:27], v[6:7]
	v_add_f64 v[2:3], v[24:25], v[2:3]
	global_store_dwordx4 v[4:5], v[0:3], off
	global_load_dwordx4 v[0:3], v[8:9], off offset:256
	v_mul_f64 v[6:7], s[40:41], v[16:17]
	v_mul_f64 v[16:17], s[38:39], v[16:17]
	v_fma_f64 v[6:7], s[38:39], v[14:15], -v[6:7]
	v_fmac_f64_e32 v[16:17], s[40:41], v[14:15]
	v_mov_b32_e32 v14, s1
	v_add_co_u32_e32 v8, vcc, s0, v8
	v_addc_co_u32_e32 v9, vcc, v9, v14, vcc
	s_lshl_b64 s[0:1], s[26:27], 8
	s_waitcnt vmcnt(0)
	v_mul_f64 v[14:15], s[16:17], v[2:3]
	v_mul_f64 v[2:3], s[14:15], v[2:3]
	v_fma_f64 v[14:15], s[14:15], v[0:1], -v[14:15]
	v_fmac_f64_e32 v[2:3], s[16:17], v[0:1]
	v_add_f64 v[0:1], v[6:7], v[14:15]
	v_add_f64 v[2:3], v[16:17], v[2:3]
	global_store_dwordx4 v[4:5], v[0:3], off offset:256
	global_load_dwordx4 v[0:3], v[8:9], off
	v_mov_b32_e32 v17, s1
	v_add_co_u32_e32 v16, vcc, s0, v4
	v_mul_f64 v[6:7], s[40:41], v[20:21]
	v_mul_f64 v[14:15], s[38:39], v[20:21]
	v_addc_co_u32_e32 v17, vcc, v5, v17, vcc
	v_fma_f64 v[6:7], s[38:39], v[18:19], -v[6:7]
	v_fmac_f64_e32 v[14:15], s[40:41], v[18:19]
	s_waitcnt vmcnt(0)
	v_mul_f64 v[4:5], s[16:17], v[2:3]
	v_mul_f64 v[2:3], s[14:15], v[2:3]
	v_fma_f64 v[4:5], s[14:15], v[0:1], -v[4:5]
	v_fmac_f64_e32 v[2:3], s[16:17], v[0:1]
	v_add_f64 v[0:1], v[6:7], v[4:5]
	v_add_f64 v[2:3], v[14:15], v[2:3]
	global_store_dwordx4 v[16:17], v[0:3], off
	global_load_dwordx4 v[4:7], v[8:9], off offset:256
	v_mul_f64 v[0:1], s[40:41], v[10:11]
	v_mul_f64 v[8:9], s[38:39], v[10:11]
	v_fma_f64 v[0:1], s[38:39], v[12:13], -v[0:1]
	v_fmac_f64_e32 v[8:9], s[40:41], v[12:13]
	v_add_co_u32_e32 v2, vcc, 0x100, v16
	v_addc_co_u32_e32 v3, vcc, 0, v17, vcc
	s_waitcnt vmcnt(0)
	v_mul_f64 v[10:11], s[16:17], v[6:7]
	v_mul_f64 v[6:7], s[14:15], v[6:7]
	v_fma_f64 v[10:11], s[14:15], v[4:5], -v[10:11]
	v_fmac_f64_e32 v[6:7], s[16:17], v[4:5]
	v_add_f64 v[0:1], v[0:1], v[10:11]
	v_add_f64 v[4:5], v[8:9], v[6:7]
	global_store_dwordx2 v[16:17], v[0:1], off offset:256
.LBB277_8:
	global_store_dwordx2 v[2:3], v[4:5], off offset:8
	s_endpgm
	.section	.rodata,"a",@progbits
	.p2align	6, 0x0
	.amdhsa_kernel _ZN12_GLOBAL__N_127rocblas_gemm_batched_kernelI19rocblas_complex_numIdELi16ELi16ELi32ELi32ELi8ELi32ELi8ELi8ELi32ELc67ELc78EKPKS2_S5_KPS2_EEvlllT_PT11_llSA_llS8_PT12_llPT13_lli
		.amdhsa_group_segment_fixed_size 8192
		.amdhsa_private_segment_fixed_size 0
		.amdhsa_kernarg_size 156
		.amdhsa_user_sgpr_count 6
		.amdhsa_user_sgpr_private_segment_buffer 1
		.amdhsa_user_sgpr_dispatch_ptr 0
		.amdhsa_user_sgpr_queue_ptr 0
		.amdhsa_user_sgpr_kernarg_segment_ptr 1
		.amdhsa_user_sgpr_dispatch_id 0
		.amdhsa_user_sgpr_flat_scratch_init 0
		.amdhsa_user_sgpr_kernarg_preload_length 0
		.amdhsa_user_sgpr_kernarg_preload_offset 0
		.amdhsa_user_sgpr_private_segment_size 0
		.amdhsa_uses_dynamic_stack 0
		.amdhsa_system_sgpr_private_segment_wavefront_offset 0
		.amdhsa_system_sgpr_workgroup_id_x 1
		.amdhsa_system_sgpr_workgroup_id_y 1
		.amdhsa_system_sgpr_workgroup_id_z 1
		.amdhsa_system_sgpr_workgroup_info 0
		.amdhsa_system_vgpr_workitem_id 1
		.amdhsa_next_free_vgpr 54
		.amdhsa_next_free_sgpr 52
		.amdhsa_accum_offset 56
		.amdhsa_reserve_vcc 1
		.amdhsa_reserve_flat_scratch 0
		.amdhsa_float_round_mode_32 0
		.amdhsa_float_round_mode_16_64 0
		.amdhsa_float_denorm_mode_32 3
		.amdhsa_float_denorm_mode_16_64 3
		.amdhsa_dx10_clamp 1
		.amdhsa_ieee_mode 1
		.amdhsa_fp16_overflow 0
		.amdhsa_tg_split 0
		.amdhsa_exception_fp_ieee_invalid_op 0
		.amdhsa_exception_fp_denorm_src 0
		.amdhsa_exception_fp_ieee_div_zero 0
		.amdhsa_exception_fp_ieee_overflow 0
		.amdhsa_exception_fp_ieee_underflow 0
		.amdhsa_exception_fp_ieee_inexact 0
		.amdhsa_exception_int_div_zero 0
	.end_amdhsa_kernel
	.section	.text._ZN12_GLOBAL__N_127rocblas_gemm_batched_kernelI19rocblas_complex_numIdELi16ELi16ELi32ELi32ELi8ELi32ELi8ELi8ELi32ELc67ELc78EKPKS2_S5_KPS2_EEvlllT_PT11_llSA_llS8_PT12_llPT13_lli,"axG",@progbits,_ZN12_GLOBAL__N_127rocblas_gemm_batched_kernelI19rocblas_complex_numIdELi16ELi16ELi32ELi32ELi8ELi32ELi8ELi8ELi32ELc67ELc78EKPKS2_S5_KPS2_EEvlllT_PT11_llSA_llS8_PT12_llPT13_lli,comdat
.Lfunc_end277:
	.size	_ZN12_GLOBAL__N_127rocblas_gemm_batched_kernelI19rocblas_complex_numIdELi16ELi16ELi32ELi32ELi8ELi32ELi8ELi8ELi32ELc67ELc78EKPKS2_S5_KPS2_EEvlllT_PT11_llSA_llS8_PT12_llPT13_lli, .Lfunc_end277-_ZN12_GLOBAL__N_127rocblas_gemm_batched_kernelI19rocblas_complex_numIdELi16ELi16ELi32ELi32ELi8ELi32ELi8ELi8ELi32ELc67ELc78EKPKS2_S5_KPS2_EEvlllT_PT11_llSA_llS8_PT12_llPT13_lli
                                        ; -- End function
	.section	.AMDGPU.csdata,"",@progbits
; Kernel info:
; codeLenInByte = 3324
; NumSgprs: 56
; NumVgprs: 54
; NumAgprs: 0
; TotalNumVgprs: 54
; ScratchSize: 0
; MemoryBound: 0
; FloatMode: 240
; IeeeMode: 1
; LDSByteSize: 8192 bytes/workgroup (compile time only)
; SGPRBlocks: 6
; VGPRBlocks: 6
; NumSGPRsForWavesPerEU: 56
; NumVGPRsForWavesPerEU: 54
; AccumOffset: 56
; Occupancy: 8
; WaveLimiterHint : 1
; COMPUTE_PGM_RSRC2:SCRATCH_EN: 0
; COMPUTE_PGM_RSRC2:USER_SGPR: 6
; COMPUTE_PGM_RSRC2:TRAP_HANDLER: 0
; COMPUTE_PGM_RSRC2:TGID_X_EN: 1
; COMPUTE_PGM_RSRC2:TGID_Y_EN: 1
; COMPUTE_PGM_RSRC2:TGID_Z_EN: 1
; COMPUTE_PGM_RSRC2:TIDIG_COMP_CNT: 1
; COMPUTE_PGM_RSRC3_GFX90A:ACCUM_OFFSET: 13
; COMPUTE_PGM_RSRC3_GFX90A:TG_SPLIT: 0
	.section	.text._ZN12_GLOBAL__N_127rocblas_gemm_batched_kernelI19rocblas_complex_numIdELi16ELi16ELi32ELi32ELi8ELi32ELi8ELi8ELi32ELc67ELc84EKPKS2_S5_KPS2_EEvlllT_PT11_llSA_llS8_PT12_llPT13_lli,"axG",@progbits,_ZN12_GLOBAL__N_127rocblas_gemm_batched_kernelI19rocblas_complex_numIdELi16ELi16ELi32ELi32ELi8ELi32ELi8ELi8ELi32ELc67ELc84EKPKS2_S5_KPS2_EEvlllT_PT11_llSA_llS8_PT12_llPT13_lli,comdat
	.globl	_ZN12_GLOBAL__N_127rocblas_gemm_batched_kernelI19rocblas_complex_numIdELi16ELi16ELi32ELi32ELi8ELi32ELi8ELi8ELi32ELc67ELc84EKPKS2_S5_KPS2_EEvlllT_PT11_llSA_llS8_PT12_llPT13_lli ; -- Begin function _ZN12_GLOBAL__N_127rocblas_gemm_batched_kernelI19rocblas_complex_numIdELi16ELi16ELi32ELi32ELi8ELi32ELi8ELi8ELi32ELc67ELc84EKPKS2_S5_KPS2_EEvlllT_PT11_llSA_llS8_PT12_llPT13_lli
	.p2align	8
	.type	_ZN12_GLOBAL__N_127rocblas_gemm_batched_kernelI19rocblas_complex_numIdELi16ELi16ELi32ELi32ELi8ELi32ELi8ELi8ELi32ELc67ELc84EKPKS2_S5_KPS2_EEvlllT_PT11_llSA_llS8_PT12_llPT13_lli,@function
_ZN12_GLOBAL__N_127rocblas_gemm_batched_kernelI19rocblas_complex_numIdELi16ELi16ELi32ELi32ELi8ELi32ELi8ELi8ELi32ELc67ELc84EKPKS2_S5_KPS2_EEvlllT_PT11_llSA_llS8_PT12_llPT13_lli: ; @_ZN12_GLOBAL__N_127rocblas_gemm_batched_kernelI19rocblas_complex_numIdELi16ELi16ELi32ELi32ELi8ELi32ELi8ELi8ELi32ELc67ELc84EKPKS2_S5_KPS2_EEvlllT_PT11_llSA_llS8_PT12_llPT13_lli
; %bb.0:
	s_load_dwordx16 s[36:51], s[4:5], 0x10
	s_load_dwordx16 s[12:27], s[4:5], 0x50
	s_mov_b32 s9, 0
	s_lshl_b64 s[28:29], s[8:9], 3
	s_mov_b32 s10, s7
	v_bfe_u32 v27, v0, 10, 10
	s_waitcnt lgkmcnt(0)
	s_add_u32 s0, s18, s28
	s_addc_u32 s1, s19, s29
	s_add_u32 s2, s24, s28
	s_addc_u32 s3, s25, s29
	s_load_dwordx2 s[0:1], s[0:1], 0x0
	s_ashr_i32 s7, s6, 31
	s_load_dwordx2 s[8:9], s[2:3], 0x0
	s_ashr_i32 s11, s10, 31
	v_cmp_lt_i64_e64 s[18:19], s[36:37], 1
	v_and_b32_e32 v26, 0x3ff, v0
	s_lshl_b64 s[2:3], s[6:7], 5
	s_lshl_b64 s[6:7], s[10:11], 5
	s_mov_b64 s[10:11], 0
	s_and_b64 vcc, exec, s[18:19]
	s_cbranch_vccnz .LBB278_3
; %bb.1:
	v_lshl_add_u32 v4, v27, 4, v26
	s_add_u32 s18, s42, s28
	v_lshrrev_b32_e32 v5, 3, v4
	s_addc_u32 s19, s43, s29
	v_mov_b32_e32 v1, s7
	v_add_co_u32_e32 v0, vcc, s6, v5
	s_add_u32 s24, s48, s28
	v_addc_co_u32_e32 v1, vcc, 0, v1, vcc
	v_and_b32_e32 v6, 7, v26
	s_addc_u32 s25, s49, s29
	v_mad_u64_u32 v[0:1], s[28:29], v6, s50, v[0:1]
	v_mov_b32_e32 v2, v1
	v_mad_u64_u32 v[2:3], s[28:29], v6, s51, v[2:3]
	v_mov_b32_e32 v1, v2
	v_and_b32_e32 v2, 31, v4
	v_lshrrev_b32_e32 v4, 5, v4
	v_lshlrev_b32_e32 v3, 4, v2
	v_lshl_or_b32 v28, v4, 9, v3
	v_lshlrev_b32_e32 v3, 4, v6
	v_lshl_or_b32 v3, v5, 7, v3
	v_add_u32_e32 v29, 0x1000, v3
	v_mov_b32_e32 v3, 0x1000
	v_lshl_add_u32 v31, v27, 7, v3
	v_mov_b32_e32 v3, s3
	v_add_co_u32_e32 v2, vcc, s2, v2
	v_addc_co_u32_e32 v3, vcc, 0, v3, vcc
	v_mul_lo_u32 v5, s45, v2
	v_mul_lo_u32 v6, s44, v3
	v_mad_u64_u32 v[2:3], s[28:29], s44, v2, 0
	v_add3_u32 v3, v3, v6, v5
	s_load_dwordx2 s[18:19], s[18:19], 0x0
	v_lshlrev_b64 v[2:3], 4, v[2:3]
	s_lshl_b64 s[28:29], s[46:47], 4
	v_mov_b32_e32 v5, s29
	v_add_co_u32_e32 v2, vcc, s28, v2
	s_load_dwordx2 s[24:25], s[24:25], 0x0
	v_addc_co_u32_e32 v3, vcc, v3, v5, vcc
	v_lshlrev_b32_e32 v4, 4, v4
	v_add_co_u32_e32 v2, vcc, v2, v4
	v_addc_co_u32_e32 v3, vcc, 0, v3, vcc
	s_waitcnt lgkmcnt(0)
	v_mov_b32_e32 v4, s19
	v_add_co_u32_e32 v2, vcc, s18, v2
	v_addc_co_u32_e32 v3, vcc, v3, v4, vcc
	s_lshl_b64 s[12:13], s[12:13], 4
	v_add_co_u32_e32 v4, vcc, 8, v2
	s_add_u32 s12, s24, s12
	v_addc_co_u32_e32 v5, vcc, 0, v3, vcc
	v_lshlrev_b64 v[0:1], 4, v[0:1]
	s_addc_u32 s13, s25, s13
	v_mov_b32_e32 v2, s13
	v_add_co_u32_e32 v6, vcc, s12, v0
	s_lshl_b64 s[12:13], s[50:51], 7
	v_lshlrev_b32_e32 v30, 4, v26
	v_addc_co_u32_e32 v7, vcc, v2, v1, vcc
	v_pk_mov_b32 v[10:11], 0, 0
	v_mov_b32_e32 v32, s13
	v_pk_mov_b32 v[8:9], s[36:37], s[36:37] op_sel:[0,1]
	v_pk_mov_b32 v[12:13], 0, 0
	v_pk_mov_b32 v[20:21], 0, 0
	;; [unrolled: 1-line block ×7, first 2 shown]
.LBB278_2:                              ; =>This Inner Loop Header: Depth=1
	global_load_dwordx4 v[0:3], v[4:5], off offset:-8
	v_add_co_u32_e32 v4, vcc, 0x80, v4
	v_addc_co_u32_e32 v5, vcc, 0, v5, vcc
	s_add_u32 s10, s10, 8
	s_addc_u32 s11, s11, 0
	s_waitcnt vmcnt(0)
	v_xor_b32_e32 v3, 0x80000000, v3
	ds_write_b128 v28, v[0:3]
	global_load_dwordx4 v[0:3], v[6:7], off
	v_add_co_u32_e32 v6, vcc, s12, v6
	v_addc_co_u32_e32 v7, vcc, v7, v32, vcc
	v_cmp_lt_i64_e32 vcc, s[10:11], v[8:9]
	s_and_b64 vcc, exec, vcc
	s_waitcnt vmcnt(0)
	ds_write2_b64 v29, v[0:1], v[2:3] offset1:1
	s_waitcnt lgkmcnt(0)
	s_barrier
	ds_read_b128 v[34:37], v31
	ds_read_b128 v[38:41], v31 offset:16
	ds_read_b128 v[42:45], v31 offset:32
	;; [unrolled: 1-line block ×3, first 2 shown]
	ds_read_b128 v[46:49], v30
	s_waitcnt lgkmcnt(0)
	v_mul_f64 v[50:51], v[36:37], v[48:49]
	v_mul_f64 v[52:53], v[34:35], v[48:49]
	v_fma_f64 v[50:51], v[34:35], v[46:47], -v[50:51]
	v_fmac_f64_e32 v[52:53], v[36:37], v[46:47]
	v_add_f64 v[50:51], v[22:23], v[50:51]
	v_add_f64 v[52:53], v[24:25], v[52:53]
	ds_read_b128 v[22:25], v30 offset:256
	s_waitcnt lgkmcnt(0)
	v_mul_f64 v[54:55], v[36:37], v[24:25]
	v_fma_f64 v[54:55], v[34:35], v[22:23], -v[54:55]
	v_mul_f64 v[34:35], v[34:35], v[24:25]
	v_fmac_f64_e32 v[34:35], v[36:37], v[22:23]
	v_add_f64 v[36:37], v[14:15], v[54:55]
	v_add_f64 v[34:35], v[16:17], v[34:35]
	ds_read_b128 v[14:17], v31 offset:2048
	s_waitcnt lgkmcnt(0)
	v_mul_f64 v[54:55], v[16:17], v[48:49]
	v_fma_f64 v[54:55], v[14:15], v[46:47], -v[54:55]
	v_mul_f64 v[48:49], v[14:15], v[48:49]
	v_fmac_f64_e32 v[48:49], v[16:17], v[46:47]
	v_add_f64 v[46:47], v[18:19], v[54:55]
	v_mul_f64 v[18:19], v[16:17], v[24:25]
	v_fma_f64 v[18:19], v[14:15], v[22:23], -v[18:19]
	v_mul_f64 v[14:15], v[14:15], v[24:25]
	v_fmac_f64_e32 v[14:15], v[16:17], v[22:23]
	v_add_f64 v[22:23], v[12:13], v[18:19]
	v_add_f64 v[24:25], v[10:11], v[14:15]
	ds_read_b128 v[10:13], v30 offset:512
	v_add_f64 v[48:49], v[20:21], v[48:49]
	s_waitcnt lgkmcnt(0)
	v_mul_f64 v[14:15], v[40:41], v[12:13]
	v_mul_f64 v[16:17], v[38:39], v[12:13]
	v_fma_f64 v[14:15], v[38:39], v[10:11], -v[14:15]
	v_fmac_f64_e32 v[16:17], v[40:41], v[10:11]
	v_add_f64 v[50:51], v[50:51], v[14:15]
	v_add_f64 v[52:53], v[52:53], v[16:17]
	ds_read_b128 v[14:17], v30 offset:768
	s_waitcnt lgkmcnt(0)
	v_mul_f64 v[18:19], v[40:41], v[16:17]
	v_mul_f64 v[20:21], v[38:39], v[16:17]
	v_fma_f64 v[18:19], v[38:39], v[14:15], -v[18:19]
	v_fmac_f64_e32 v[20:21], v[40:41], v[14:15]
	v_add_f64 v[36:37], v[36:37], v[18:19]
	v_add_f64 v[34:35], v[34:35], v[20:21]
	ds_read_b128 v[18:21], v31 offset:2064
	s_waitcnt lgkmcnt(0)
	v_mul_f64 v[38:39], v[20:21], v[12:13]
	v_mul_f64 v[12:13], v[18:19], v[12:13]
	v_fmac_f64_e32 v[12:13], v[20:21], v[10:11]
	v_fma_f64 v[38:39], v[18:19], v[10:11], -v[38:39]
	v_add_f64 v[40:41], v[48:49], v[12:13]
	v_mul_f64 v[10:11], v[20:21], v[16:17]
	v_mul_f64 v[12:13], v[18:19], v[16:17]
	v_fma_f64 v[10:11], v[18:19], v[14:15], -v[10:11]
	v_fmac_f64_e32 v[12:13], v[20:21], v[14:15]
	v_add_f64 v[22:23], v[22:23], v[10:11]
	v_add_f64 v[24:25], v[24:25], v[12:13]
	ds_read_b128 v[10:13], v30 offset:1024
	v_add_f64 v[38:39], v[46:47], v[38:39]
	s_waitcnt lgkmcnt(0)
	v_mul_f64 v[14:15], v[44:45], v[12:13]
	v_mul_f64 v[16:17], v[42:43], v[12:13]
	v_fma_f64 v[14:15], v[42:43], v[10:11], -v[14:15]
	v_fmac_f64_e32 v[16:17], v[44:45], v[10:11]
	v_add_f64 v[46:47], v[50:51], v[14:15]
	v_add_f64 v[48:49], v[52:53], v[16:17]
	ds_read_b128 v[14:17], v30 offset:1280
	s_waitcnt lgkmcnt(0)
	v_mul_f64 v[18:19], v[44:45], v[16:17]
	v_mul_f64 v[20:21], v[42:43], v[16:17]
	v_fma_f64 v[18:19], v[42:43], v[14:15], -v[18:19]
	v_fmac_f64_e32 v[20:21], v[44:45], v[14:15]
	v_add_f64 v[36:37], v[36:37], v[18:19]
	v_add_f64 v[34:35], v[34:35], v[20:21]
	ds_read_b128 v[18:21], v31 offset:2080
	s_waitcnt lgkmcnt(0)
	v_mul_f64 v[42:43], v[20:21], v[12:13]
	v_mul_f64 v[12:13], v[18:19], v[12:13]
	v_fmac_f64_e32 v[12:13], v[20:21], v[10:11]
	v_fma_f64 v[42:43], v[18:19], v[10:11], -v[42:43]
	v_add_f64 v[40:41], v[40:41], v[12:13]
	v_mul_f64 v[10:11], v[20:21], v[16:17]
	v_mul_f64 v[12:13], v[18:19], v[16:17]
	v_fma_f64 v[10:11], v[18:19], v[14:15], -v[10:11]
	v_fmac_f64_e32 v[12:13], v[20:21], v[14:15]
	v_add_f64 v[18:19], v[22:23], v[10:11]
	v_add_f64 v[20:21], v[24:25], v[12:13]
	ds_read_b128 v[10:13], v30 offset:1536
	v_add_f64 v[38:39], v[38:39], v[42:43]
	s_waitcnt lgkmcnt(0)
	v_mul_f64 v[14:15], v[2:3], v[12:13]
	v_mul_f64 v[16:17], v[0:1], v[12:13]
	v_fma_f64 v[14:15], v[0:1], v[10:11], -v[14:15]
	v_fmac_f64_e32 v[16:17], v[2:3], v[10:11]
	v_add_f64 v[22:23], v[46:47], v[14:15]
	v_add_f64 v[24:25], v[48:49], v[16:17]
	ds_read_b128 v[14:17], v30 offset:1792
	s_waitcnt lgkmcnt(0)
	v_mul_f64 v[42:43], v[2:3], v[16:17]
	v_fma_f64 v[42:43], v[0:1], v[14:15], -v[42:43]
	v_mul_f64 v[0:1], v[0:1], v[16:17]
	v_fmac_f64_e32 v[0:1], v[2:3], v[14:15]
	v_add_f64 v[34:35], v[34:35], v[0:1]
	ds_read_b128 v[0:3], v31 offset:2096
	v_add_f64 v[36:37], v[36:37], v[42:43]
	s_waitcnt lgkmcnt(0)
	v_mul_f64 v[42:43], v[2:3], v[12:13]
	v_mul_f64 v[12:13], v[0:1], v[12:13]
	v_fma_f64 v[42:43], v[0:1], v[10:11], -v[42:43]
	v_fmac_f64_e32 v[12:13], v[2:3], v[10:11]
	v_mul_f64 v[10:11], v[2:3], v[16:17]
	v_fma_f64 v[10:11], v[0:1], v[14:15], -v[10:11]
	v_mul_f64 v[0:1], v[0:1], v[16:17]
	v_fmac_f64_e32 v[0:1], v[2:3], v[14:15]
	v_add_f64 v[40:41], v[40:41], v[12:13]
	v_add_f64 v[18:19], v[18:19], v[10:11]
	v_add_f64 v[20:21], v[20:21], v[0:1]
	ds_read_b128 v[0:3], v31 offset:64
	ds_read_b128 v[10:13], v30 offset:2048
	v_add_f64 v[38:39], v[38:39], v[42:43]
	s_waitcnt lgkmcnt(0)
	v_mul_f64 v[14:15], v[2:3], v[12:13]
	v_mul_f64 v[16:17], v[0:1], v[12:13]
	v_fma_f64 v[14:15], v[0:1], v[10:11], -v[14:15]
	v_fmac_f64_e32 v[16:17], v[2:3], v[10:11]
	v_add_f64 v[22:23], v[22:23], v[14:15]
	v_add_f64 v[24:25], v[24:25], v[16:17]
	ds_read_b128 v[14:17], v30 offset:2304
	s_waitcnt lgkmcnt(0)
	v_mul_f64 v[42:43], v[2:3], v[16:17]
	v_fma_f64 v[42:43], v[0:1], v[14:15], -v[42:43]
	v_mul_f64 v[0:1], v[0:1], v[16:17]
	v_fmac_f64_e32 v[0:1], v[2:3], v[14:15]
	v_add_f64 v[34:35], v[34:35], v[0:1]
	ds_read_b128 v[0:3], v31 offset:2112
	v_add_f64 v[36:37], v[36:37], v[42:43]
	s_waitcnt lgkmcnt(0)
	v_mul_f64 v[42:43], v[2:3], v[12:13]
	v_mul_f64 v[12:13], v[0:1], v[12:13]
	v_fma_f64 v[42:43], v[0:1], v[10:11], -v[42:43]
	v_fmac_f64_e32 v[12:13], v[2:3], v[10:11]
	v_mul_f64 v[10:11], v[2:3], v[16:17]
	v_fma_f64 v[10:11], v[0:1], v[14:15], -v[10:11]
	v_mul_f64 v[0:1], v[0:1], v[16:17]
	v_fmac_f64_e32 v[0:1], v[2:3], v[14:15]
	v_add_f64 v[40:41], v[40:41], v[12:13]
	v_add_f64 v[18:19], v[18:19], v[10:11]
	v_add_f64 v[20:21], v[20:21], v[0:1]
	ds_read_b128 v[0:3], v31 offset:80
	;; [unrolled: 31-line block ×4, first 2 shown]
	ds_read_b128 v[10:13], v30 offset:3584
	v_add_f64 v[38:39], v[38:39], v[34:35]
	ds_read_b128 v[34:37], v30 offset:3840
	s_waitcnt lgkmcnt(1)
	v_mul_f64 v[14:15], v[2:3], v[12:13]
	v_fma_f64 v[14:15], v[0:1], v[10:11], -v[14:15]
	v_add_f64 v[22:23], v[22:23], v[14:15]
	s_waitcnt lgkmcnt(0)
	v_mul_f64 v[14:15], v[2:3], v[36:37]
	v_mul_f64 v[16:17], v[0:1], v[12:13]
	v_fma_f64 v[14:15], v[0:1], v[34:35], -v[14:15]
	v_mul_f64 v[0:1], v[0:1], v[36:37]
	v_fmac_f64_e32 v[16:17], v[2:3], v[10:11]
	v_fmac_f64_e32 v[0:1], v[2:3], v[34:35]
	v_add_f64 v[24:25], v[24:25], v[16:17]
	v_add_f64 v[16:17], v[44:45], v[0:1]
	ds_read_b128 v[0:3], v31 offset:2160
	v_add_f64 v[14:15], v[42:43], v[14:15]
	s_waitcnt lgkmcnt(0)
	s_barrier
	v_mul_f64 v[18:19], v[2:3], v[12:13]
	v_mul_f64 v[12:13], v[0:1], v[12:13]
	v_fma_f64 v[18:19], v[0:1], v[10:11], -v[18:19]
	v_fmac_f64_e32 v[12:13], v[2:3], v[10:11]
	v_mul_f64 v[10:11], v[2:3], v[36:37]
	v_fma_f64 v[10:11], v[0:1], v[34:35], -v[10:11]
	v_mul_f64 v[0:1], v[0:1], v[36:37]
	v_fmac_f64_e32 v[0:1], v[2:3], v[34:35]
	v_add_f64 v[18:19], v[38:39], v[18:19]
	v_add_f64 v[20:21], v[40:41], v[12:13]
	;; [unrolled: 1-line block ×4, first 2 shown]
	s_cbranch_vccnz .LBB278_2
	s_branch .LBB278_4
.LBB278_3:
	v_pk_mov_b32 v[22:23], 0, 0
	v_pk_mov_b32 v[24:25], 0, 0
	;; [unrolled: 1-line block ×8, first 2 shown]
.LBB278_4:
	s_load_dwordx2 s[4:5], s[4:5], 0x90
	v_mov_b32_e32 v0, s7
	v_add_co_u32_e32 v6, vcc, s6, v27
	v_addc_co_u32_e32 v7, vcc, 0, v0, vcc
	s_waitcnt lgkmcnt(0)
	s_lshl_b64 s[4:5], s[4:5], 4
	s_add_u32 s7, s8, s4
	v_cmp_neq_f64_e64 s[10:11], s[14:15], 0
	v_cmp_neq_f64_e64 s[12:13], s[16:17], 0
	v_mov_b32_e32 v1, s3
	v_add_co_u32_e32 v0, vcc, s2, v26
	s_addc_u32 s8, s9, s5
	s_or_b64 s[10:11], s[10:11], s[12:13]
	v_addc_co_u32_e32 v1, vcc, 0, v1, vcc
	s_mov_b64 s[4:5], 0
	s_and_b64 vcc, exec, s[10:11]
	s_cbranch_vccnz .LBB278_6
; %bb.5:
	v_mul_lo_u32 v4, v7, s26
	v_mul_lo_u32 v5, v6, s27
	v_mad_u64_u32 v[2:3], s[2:3], v6, s26, 0
	v_add3_u32 v3, v3, v5, v4
	v_lshlrev_b64 v[2:3], 4, v[2:3]
	v_mov_b32_e32 v4, s8
	v_add_co_u32_e32 v26, vcc, s7, v2
	v_addc_co_u32_e32 v27, vcc, v4, v3, vcc
	v_lshlrev_b64 v[8:9], 4, v[0:1]
	v_mul_f64 v[2:3], s[40:41], v[24:25]
	v_mul_f64 v[4:5], s[38:39], v[24:25]
	v_add_co_u32_e32 v8, vcc, v26, v8
	v_fma_f64 v[2:3], s[38:39], v[22:23], -v[2:3]
	v_fmac_f64_e32 v[4:5], s[40:41], v[22:23]
	v_addc_co_u32_e32 v9, vcc, v27, v9, vcc
	global_store_dwordx4 v[8:9], v[2:5], off
	s_lshl_b64 s[2:3], s[26:27], 8
	v_mul_f64 v[2:3], s[40:41], v[16:17]
	v_mul_f64 v[4:5], s[38:39], v[16:17]
	v_fma_f64 v[2:3], s[38:39], v[14:15], -v[2:3]
	v_fmac_f64_e32 v[4:5], s[40:41], v[14:15]
	global_store_dwordx4 v[8:9], v[2:5], off offset:256
	v_mov_b32_e32 v26, s3
	v_mul_f64 v[2:3], s[40:41], v[20:21]
	v_mul_f64 v[4:5], s[38:39], v[20:21]
	v_add_co_u32_e32 v8, vcc, s2, v8
	v_fma_f64 v[2:3], s[38:39], v[18:19], -v[2:3]
	v_fmac_f64_e32 v[4:5], s[40:41], v[18:19]
	v_addc_co_u32_e32 v9, vcc, v9, v26, vcc
	global_store_dwordx4 v[8:9], v[2:5], off
	s_nop 0
	v_mul_f64 v[2:3], s[40:41], v[10:11]
	v_fma_f64 v[26:27], s[38:39], v[12:13], -v[2:3]
	v_mul_f64 v[4:5], s[38:39], v[10:11]
	v_add_co_u32_e32 v2, vcc, 0x100, v8
	v_fmac_f64_e32 v[4:5], s[40:41], v[12:13]
	v_addc_co_u32_e32 v3, vcc, 0, v9, vcc
	global_store_dwordx2 v[8:9], v[26:27], off offset:256
	s_andn2_b64 vcc, exec, s[4:5]
	s_cbranch_vccz .LBB278_7
	s_branch .LBB278_8
.LBB278_6:
                                        ; implicit-def: $vgpr4_vgpr5
                                        ; implicit-def: $vgpr2_vgpr3
.LBB278_7:
	s_lshl_b64 s[2:3], s[22:23], 4
	s_add_u32 s2, s0, s2
	s_addc_u32 s3, s1, s3
	v_mul_lo_u32 v4, v7, s20
	v_mul_lo_u32 v5, v6, s21
	v_mad_u64_u32 v[2:3], s[0:1], v6, s20, 0
	v_add3_u32 v3, v3, v5, v4
	v_lshlrev_b64 v[2:3], 4, v[2:3]
	v_mov_b32_e32 v4, s3
	v_add_co_u32_e32 v2, vcc, s2, v2
	v_addc_co_u32_e32 v3, vcc, v4, v3, vcc
	v_lshlrev_b64 v[4:5], 4, v[0:1]
	v_add_co_u32_e32 v8, vcc, v2, v4
	v_addc_co_u32_e32 v9, vcc, v3, v5, vcc
	global_load_dwordx4 v[0:3], v[8:9], off
	v_mul_lo_u32 v28, v7, s26
	v_mul_lo_u32 v29, v6, s27
	v_mad_u64_u32 v[6:7], s[0:1], v6, s26, 0
	v_add3_u32 v7, v7, v29, v28
	v_lshlrev_b64 v[6:7], 4, v[6:7]
	v_mov_b32_e32 v30, s8
	v_add_co_u32_e32 v6, vcc, s7, v6
	v_addc_co_u32_e32 v7, vcc, v30, v7, vcc
	v_add_co_u32_e32 v4, vcc, v6, v4
	v_mul_f64 v[26:27], s[40:41], v[24:25]
	v_mul_f64 v[24:25], s[38:39], v[24:25]
	v_addc_co_u32_e32 v5, vcc, v7, v5, vcc
	v_fma_f64 v[26:27], s[38:39], v[22:23], -v[26:27]
	v_fmac_f64_e32 v[24:25], s[40:41], v[22:23]
	s_lshl_b64 s[0:1], s[20:21], 8
	s_waitcnt vmcnt(0)
	v_mul_f64 v[6:7], s[16:17], v[2:3]
	v_mul_f64 v[2:3], s[14:15], v[2:3]
	v_fma_f64 v[6:7], s[14:15], v[0:1], -v[6:7]
	v_fmac_f64_e32 v[2:3], s[16:17], v[0:1]
	v_add_f64 v[0:1], v[26:27], v[6:7]
	v_add_f64 v[2:3], v[24:25], v[2:3]
	global_store_dwordx4 v[4:5], v[0:3], off
	global_load_dwordx4 v[0:3], v[8:9], off offset:256
	v_mul_f64 v[6:7], s[40:41], v[16:17]
	v_mul_f64 v[16:17], s[38:39], v[16:17]
	v_fma_f64 v[6:7], s[38:39], v[14:15], -v[6:7]
	v_fmac_f64_e32 v[16:17], s[40:41], v[14:15]
	v_mov_b32_e32 v14, s1
	v_add_co_u32_e32 v8, vcc, s0, v8
	v_addc_co_u32_e32 v9, vcc, v9, v14, vcc
	s_lshl_b64 s[0:1], s[26:27], 8
	s_waitcnt vmcnt(0)
	v_mul_f64 v[14:15], s[16:17], v[2:3]
	v_mul_f64 v[2:3], s[14:15], v[2:3]
	v_fma_f64 v[14:15], s[14:15], v[0:1], -v[14:15]
	v_fmac_f64_e32 v[2:3], s[16:17], v[0:1]
	v_add_f64 v[0:1], v[6:7], v[14:15]
	v_add_f64 v[2:3], v[16:17], v[2:3]
	global_store_dwordx4 v[4:5], v[0:3], off offset:256
	global_load_dwordx4 v[0:3], v[8:9], off
	v_mov_b32_e32 v17, s1
	v_add_co_u32_e32 v16, vcc, s0, v4
	v_mul_f64 v[6:7], s[40:41], v[20:21]
	v_mul_f64 v[14:15], s[38:39], v[20:21]
	v_addc_co_u32_e32 v17, vcc, v5, v17, vcc
	v_fma_f64 v[6:7], s[38:39], v[18:19], -v[6:7]
	v_fmac_f64_e32 v[14:15], s[40:41], v[18:19]
	s_waitcnt vmcnt(0)
	v_mul_f64 v[4:5], s[16:17], v[2:3]
	v_mul_f64 v[2:3], s[14:15], v[2:3]
	v_fma_f64 v[4:5], s[14:15], v[0:1], -v[4:5]
	v_fmac_f64_e32 v[2:3], s[16:17], v[0:1]
	v_add_f64 v[0:1], v[6:7], v[4:5]
	v_add_f64 v[2:3], v[14:15], v[2:3]
	global_store_dwordx4 v[16:17], v[0:3], off
	global_load_dwordx4 v[4:7], v[8:9], off offset:256
	v_mul_f64 v[0:1], s[40:41], v[10:11]
	v_mul_f64 v[8:9], s[38:39], v[10:11]
	v_fma_f64 v[0:1], s[38:39], v[12:13], -v[0:1]
	v_fmac_f64_e32 v[8:9], s[40:41], v[12:13]
	v_add_co_u32_e32 v2, vcc, 0x100, v16
	v_addc_co_u32_e32 v3, vcc, 0, v17, vcc
	s_waitcnt vmcnt(0)
	v_mul_f64 v[10:11], s[16:17], v[6:7]
	v_mul_f64 v[6:7], s[14:15], v[6:7]
	v_fma_f64 v[10:11], s[14:15], v[4:5], -v[10:11]
	v_fmac_f64_e32 v[6:7], s[16:17], v[4:5]
	v_add_f64 v[0:1], v[0:1], v[10:11]
	v_add_f64 v[4:5], v[8:9], v[6:7]
	global_store_dwordx2 v[16:17], v[0:1], off offset:256
.LBB278_8:
	global_store_dwordx2 v[2:3], v[4:5], off offset:8
	s_endpgm
	.section	.rodata,"a",@progbits
	.p2align	6, 0x0
	.amdhsa_kernel _ZN12_GLOBAL__N_127rocblas_gemm_batched_kernelI19rocblas_complex_numIdELi16ELi16ELi32ELi32ELi8ELi32ELi8ELi8ELi32ELc67ELc84EKPKS2_S5_KPS2_EEvlllT_PT11_llSA_llS8_PT12_llPT13_lli
		.amdhsa_group_segment_fixed_size 8192
		.amdhsa_private_segment_fixed_size 0
		.amdhsa_kernarg_size 156
		.amdhsa_user_sgpr_count 6
		.amdhsa_user_sgpr_private_segment_buffer 1
		.amdhsa_user_sgpr_dispatch_ptr 0
		.amdhsa_user_sgpr_queue_ptr 0
		.amdhsa_user_sgpr_kernarg_segment_ptr 1
		.amdhsa_user_sgpr_dispatch_id 0
		.amdhsa_user_sgpr_flat_scratch_init 0
		.amdhsa_user_sgpr_kernarg_preload_length 0
		.amdhsa_user_sgpr_kernarg_preload_offset 0
		.amdhsa_user_sgpr_private_segment_size 0
		.amdhsa_uses_dynamic_stack 0
		.amdhsa_system_sgpr_private_segment_wavefront_offset 0
		.amdhsa_system_sgpr_workgroup_id_x 1
		.amdhsa_system_sgpr_workgroup_id_y 1
		.amdhsa_system_sgpr_workgroup_id_z 1
		.amdhsa_system_sgpr_workgroup_info 0
		.amdhsa_system_vgpr_workitem_id 1
		.amdhsa_next_free_vgpr 56
		.amdhsa_next_free_sgpr 52
		.amdhsa_accum_offset 56
		.amdhsa_reserve_vcc 1
		.amdhsa_reserve_flat_scratch 0
		.amdhsa_float_round_mode_32 0
		.amdhsa_float_round_mode_16_64 0
		.amdhsa_float_denorm_mode_32 3
		.amdhsa_float_denorm_mode_16_64 3
		.amdhsa_dx10_clamp 1
		.amdhsa_ieee_mode 1
		.amdhsa_fp16_overflow 0
		.amdhsa_tg_split 0
		.amdhsa_exception_fp_ieee_invalid_op 0
		.amdhsa_exception_fp_denorm_src 0
		.amdhsa_exception_fp_ieee_div_zero 0
		.amdhsa_exception_fp_ieee_overflow 0
		.amdhsa_exception_fp_ieee_underflow 0
		.amdhsa_exception_fp_ieee_inexact 0
		.amdhsa_exception_int_div_zero 0
	.end_amdhsa_kernel
	.section	.text._ZN12_GLOBAL__N_127rocblas_gemm_batched_kernelI19rocblas_complex_numIdELi16ELi16ELi32ELi32ELi8ELi32ELi8ELi8ELi32ELc67ELc84EKPKS2_S5_KPS2_EEvlllT_PT11_llSA_llS8_PT12_llPT13_lli,"axG",@progbits,_ZN12_GLOBAL__N_127rocblas_gemm_batched_kernelI19rocblas_complex_numIdELi16ELi16ELi32ELi32ELi8ELi32ELi8ELi8ELi32ELc67ELc84EKPKS2_S5_KPS2_EEvlllT_PT11_llSA_llS8_PT12_llPT13_lli,comdat
.Lfunc_end278:
	.size	_ZN12_GLOBAL__N_127rocblas_gemm_batched_kernelI19rocblas_complex_numIdELi16ELi16ELi32ELi32ELi8ELi32ELi8ELi8ELi32ELc67ELc84EKPKS2_S5_KPS2_EEvlllT_PT11_llSA_llS8_PT12_llPT13_lli, .Lfunc_end278-_ZN12_GLOBAL__N_127rocblas_gemm_batched_kernelI19rocblas_complex_numIdELi16ELi16ELi32ELi32ELi8ELi32ELi8ELi8ELi32ELc67ELc84EKPKS2_S5_KPS2_EEvlllT_PT11_llSA_llS8_PT12_llPT13_lli
                                        ; -- End function
	.section	.AMDGPU.csdata,"",@progbits
; Kernel info:
; codeLenInByte = 3304
; NumSgprs: 56
; NumVgprs: 56
; NumAgprs: 0
; TotalNumVgprs: 56
; ScratchSize: 0
; MemoryBound: 0
; FloatMode: 240
; IeeeMode: 1
; LDSByteSize: 8192 bytes/workgroup (compile time only)
; SGPRBlocks: 6
; VGPRBlocks: 6
; NumSGPRsForWavesPerEU: 56
; NumVGPRsForWavesPerEU: 56
; AccumOffset: 56
; Occupancy: 8
; WaveLimiterHint : 1
; COMPUTE_PGM_RSRC2:SCRATCH_EN: 0
; COMPUTE_PGM_RSRC2:USER_SGPR: 6
; COMPUTE_PGM_RSRC2:TRAP_HANDLER: 0
; COMPUTE_PGM_RSRC2:TGID_X_EN: 1
; COMPUTE_PGM_RSRC2:TGID_Y_EN: 1
; COMPUTE_PGM_RSRC2:TGID_Z_EN: 1
; COMPUTE_PGM_RSRC2:TIDIG_COMP_CNT: 1
; COMPUTE_PGM_RSRC3_GFX90A:ACCUM_OFFSET: 13
; COMPUTE_PGM_RSRC3_GFX90A:TG_SPLIT: 0
	.section	.text._ZN12_GLOBAL__N_127rocblas_gemm_batched_kernelI19rocblas_complex_numIdELi16ELi16ELi32ELi32ELi8ELi32ELi8ELi8ELi32ELc78ELc67EKPKS2_S5_KPS2_EEvlllT_PT11_llSA_llS8_PT12_llPT13_lli,"axG",@progbits,_ZN12_GLOBAL__N_127rocblas_gemm_batched_kernelI19rocblas_complex_numIdELi16ELi16ELi32ELi32ELi8ELi32ELi8ELi8ELi32ELc78ELc67EKPKS2_S5_KPS2_EEvlllT_PT11_llSA_llS8_PT12_llPT13_lli,comdat
	.globl	_ZN12_GLOBAL__N_127rocblas_gemm_batched_kernelI19rocblas_complex_numIdELi16ELi16ELi32ELi32ELi8ELi32ELi8ELi8ELi32ELc78ELc67EKPKS2_S5_KPS2_EEvlllT_PT11_llSA_llS8_PT12_llPT13_lli ; -- Begin function _ZN12_GLOBAL__N_127rocblas_gemm_batched_kernelI19rocblas_complex_numIdELi16ELi16ELi32ELi32ELi8ELi32ELi8ELi8ELi32ELc78ELc67EKPKS2_S5_KPS2_EEvlllT_PT11_llSA_llS8_PT12_llPT13_lli
	.p2align	8
	.type	_ZN12_GLOBAL__N_127rocblas_gemm_batched_kernelI19rocblas_complex_numIdELi16ELi16ELi32ELi32ELi8ELi32ELi8ELi8ELi32ELc78ELc67EKPKS2_S5_KPS2_EEvlllT_PT11_llSA_llS8_PT12_llPT13_lli,@function
_ZN12_GLOBAL__N_127rocblas_gemm_batched_kernelI19rocblas_complex_numIdELi16ELi16ELi32ELi32ELi8ELi32ELi8ELi8ELi32ELc78ELc67EKPKS2_S5_KPS2_EEvlllT_PT11_llSA_llS8_PT12_llPT13_lli: ; @_ZN12_GLOBAL__N_127rocblas_gemm_batched_kernelI19rocblas_complex_numIdELi16ELi16ELi32ELi32ELi8ELi32ELi8ELi8ELi32ELc78ELc67EKPKS2_S5_KPS2_EEvlllT_PT11_llSA_llS8_PT12_llPT13_lli
; %bb.0:
	s_load_dwordx16 s[36:51], s[4:5], 0x10
	s_load_dwordx16 s[12:27], s[4:5], 0x50
	s_mov_b32 s9, 0
	s_lshl_b64 s[28:29], s[8:9], 3
	s_mov_b32 s10, s7
	v_bfe_u32 v27, v0, 10, 10
	s_waitcnt lgkmcnt(0)
	s_add_u32 s0, s18, s28
	s_addc_u32 s1, s19, s29
	s_add_u32 s2, s24, s28
	s_addc_u32 s3, s25, s29
	s_load_dwordx2 s[0:1], s[0:1], 0x0
	s_ashr_i32 s7, s6, 31
	s_load_dwordx2 s[8:9], s[2:3], 0x0
	s_ashr_i32 s11, s10, 31
	v_cmp_lt_i64_e64 s[18:19], s[36:37], 1
	v_and_b32_e32 v26, 0x3ff, v0
	s_lshl_b64 s[2:3], s[6:7], 5
	s_lshl_b64 s[6:7], s[10:11], 5
	s_mov_b64 s[10:11], 0
	s_and_b64 vcc, exec, s[18:19]
	s_cbranch_vccnz .LBB279_3
; %bb.1:
	v_lshl_add_u32 v4, v27, 4, v26
	s_add_u32 s18, s42, s28
	v_lshrrev_b32_e32 v5, 3, v4
	s_addc_u32 s19, s43, s29
	v_mov_b32_e32 v1, s7
	v_add_co_u32_e32 v0, vcc, s6, v5
	s_add_u32 s24, s48, s28
	v_addc_co_u32_e32 v1, vcc, 0, v1, vcc
	v_and_b32_e32 v6, 7, v26
	s_addc_u32 s25, s49, s29
	v_mad_u64_u32 v[0:1], s[28:29], v6, s50, v[0:1]
	v_mov_b32_e32 v2, v1
	v_mad_u64_u32 v[2:3], s[28:29], v6, s51, v[2:3]
	v_and_b32_e32 v7, 31, v4
	v_mov_b32_e32 v1, v2
	v_lshrrev_b32_e32 v8, 5, v4
	v_lshlrev_b32_e32 v2, 4, v7
	v_lshl_or_b32 v28, v8, 9, v2
	v_lshlrev_b32_e32 v2, 4, v6
	v_lshl_or_b32 v2, v5, 7, v2
	v_add_u32_e32 v29, 0x1000, v2
	v_mov_b32_e32 v2, 0x1000
	s_load_dwordx2 s[18:19], s[18:19], 0x0
	v_lshl_add_u32 v31, v27, 7, v2
	v_pk_mov_b32 v[2:3], s[2:3], s[2:3] op_sel:[0,1]
	v_mad_u64_u32 v[2:3], s[30:31], v8, s44, v[2:3]
	v_mov_b32_e32 v4, v3
	s_load_dwordx2 s[24:25], s[24:25], 0x0
	v_mad_u64_u32 v[4:5], s[30:31], v8, s45, v[4:5]
	s_lshl_b64 s[28:29], s[46:47], 4
	v_mov_b32_e32 v3, v4
	v_add_co_u32_e32 v2, vcc, v2, v7
	v_addc_co_u32_e32 v3, vcc, 0, v3, vcc
	s_waitcnt lgkmcnt(0)
	s_add_u32 s18, s18, s28
	v_lshlrev_b64 v[2:3], 4, v[2:3]
	s_addc_u32 s19, s19, s29
	v_mov_b32_e32 v5, s19
	v_add_co_u32_e32 v4, vcc, s18, v2
	s_lshl_b64 s[18:19], s[44:45], 7
	s_lshl_b64 s[12:13], s[12:13], 4
	s_add_u32 s12, s24, s12
	v_addc_co_u32_e32 v5, vcc, v5, v3, vcc
	v_lshlrev_b64 v[0:1], 4, v[0:1]
	s_addc_u32 s13, s25, s13
	v_mov_b32_e32 v2, s13
	v_add_co_u32_e32 v0, vcc, s12, v0
	v_addc_co_u32_e32 v1, vcc, v2, v1, vcc
	v_add_co_u32_e32 v6, vcc, 8, v0
	s_lshl_b64 s[12:13], s[50:51], 7
	v_lshlrev_b32_e32 v30, 4, v26
	v_addc_co_u32_e32 v7, vcc, 0, v1, vcc
	v_pk_mov_b32 v[10:11], 0, 0
	v_mov_b32_e32 v32, s19
	v_mov_b32_e32 v33, s13
	v_pk_mov_b32 v[8:9], s[36:37], s[36:37] op_sel:[0,1]
	v_pk_mov_b32 v[12:13], 0, 0
	v_pk_mov_b32 v[20:21], 0, 0
	;; [unrolled: 1-line block ×7, first 2 shown]
.LBB279_2:                              ; =>This Inner Loop Header: Depth=1
	global_load_dwordx4 v[0:3], v[4:5], off
	v_add_co_u32_e32 v4, vcc, s18, v4
	v_addc_co_u32_e32 v5, vcc, v5, v32, vcc
	s_add_u32 s10, s10, 8
	s_addc_u32 s11, s11, 0
	s_waitcnt vmcnt(0)
	ds_write2_b64 v28, v[0:1], v[2:3] offset1:1
	global_load_dwordx4 v[0:3], v[6:7], off offset:-8
	v_add_co_u32_e32 v6, vcc, s12, v6
	v_addc_co_u32_e32 v7, vcc, v7, v33, vcc
	v_cmp_lt_i64_e32 vcc, s[10:11], v[8:9]
	s_and_b64 vcc, exec, vcc
	s_waitcnt vmcnt(0)
	v_xor_b32_e32 v3, 0x80000000, v3
	ds_write_b128 v29, v[0:3]
	s_waitcnt lgkmcnt(0)
	s_barrier
	ds_read_b128 v[34:37], v31
	ds_read_b128 v[38:41], v31 offset:16
	ds_read_b128 v[42:45], v31 offset:32
	;; [unrolled: 1-line block ×3, first 2 shown]
	ds_read_b128 v[46:49], v30
	s_waitcnt lgkmcnt(0)
	v_mul_f64 v[50:51], v[36:37], v[48:49]
	v_mul_f64 v[52:53], v[34:35], v[48:49]
	v_fma_f64 v[50:51], v[34:35], v[46:47], -v[50:51]
	v_fmac_f64_e32 v[52:53], v[36:37], v[46:47]
	v_add_f64 v[50:51], v[22:23], v[50:51]
	v_add_f64 v[52:53], v[24:25], v[52:53]
	ds_read_b128 v[22:25], v30 offset:256
	s_waitcnt lgkmcnt(0)
	v_mul_f64 v[54:55], v[36:37], v[24:25]
	v_fma_f64 v[54:55], v[34:35], v[22:23], -v[54:55]
	v_mul_f64 v[34:35], v[34:35], v[24:25]
	v_fmac_f64_e32 v[34:35], v[36:37], v[22:23]
	v_add_f64 v[36:37], v[14:15], v[54:55]
	v_add_f64 v[34:35], v[16:17], v[34:35]
	ds_read_b128 v[14:17], v31 offset:2048
	s_waitcnt lgkmcnt(0)
	v_mul_f64 v[54:55], v[16:17], v[48:49]
	v_fma_f64 v[54:55], v[14:15], v[46:47], -v[54:55]
	v_mul_f64 v[48:49], v[14:15], v[48:49]
	v_fmac_f64_e32 v[48:49], v[16:17], v[46:47]
	v_add_f64 v[46:47], v[18:19], v[54:55]
	v_mul_f64 v[18:19], v[16:17], v[24:25]
	v_fma_f64 v[18:19], v[14:15], v[22:23], -v[18:19]
	v_mul_f64 v[14:15], v[14:15], v[24:25]
	v_fmac_f64_e32 v[14:15], v[16:17], v[22:23]
	v_add_f64 v[22:23], v[12:13], v[18:19]
	v_add_f64 v[24:25], v[10:11], v[14:15]
	ds_read_b128 v[10:13], v30 offset:512
	v_add_f64 v[48:49], v[20:21], v[48:49]
	s_waitcnt lgkmcnt(0)
	v_mul_f64 v[14:15], v[40:41], v[12:13]
	v_mul_f64 v[16:17], v[38:39], v[12:13]
	v_fma_f64 v[14:15], v[38:39], v[10:11], -v[14:15]
	v_fmac_f64_e32 v[16:17], v[40:41], v[10:11]
	v_add_f64 v[50:51], v[50:51], v[14:15]
	v_add_f64 v[52:53], v[52:53], v[16:17]
	ds_read_b128 v[14:17], v30 offset:768
	s_waitcnt lgkmcnt(0)
	v_mul_f64 v[18:19], v[40:41], v[16:17]
	v_mul_f64 v[20:21], v[38:39], v[16:17]
	v_fma_f64 v[18:19], v[38:39], v[14:15], -v[18:19]
	v_fmac_f64_e32 v[20:21], v[40:41], v[14:15]
	v_add_f64 v[36:37], v[36:37], v[18:19]
	v_add_f64 v[34:35], v[34:35], v[20:21]
	ds_read_b128 v[18:21], v31 offset:2064
	s_waitcnt lgkmcnt(0)
	v_mul_f64 v[38:39], v[20:21], v[12:13]
	v_mul_f64 v[12:13], v[18:19], v[12:13]
	v_fmac_f64_e32 v[12:13], v[20:21], v[10:11]
	v_fma_f64 v[38:39], v[18:19], v[10:11], -v[38:39]
	v_add_f64 v[40:41], v[48:49], v[12:13]
	v_mul_f64 v[10:11], v[20:21], v[16:17]
	v_mul_f64 v[12:13], v[18:19], v[16:17]
	v_fma_f64 v[10:11], v[18:19], v[14:15], -v[10:11]
	v_fmac_f64_e32 v[12:13], v[20:21], v[14:15]
	v_add_f64 v[22:23], v[22:23], v[10:11]
	v_add_f64 v[24:25], v[24:25], v[12:13]
	ds_read_b128 v[10:13], v30 offset:1024
	v_add_f64 v[38:39], v[46:47], v[38:39]
	s_waitcnt lgkmcnt(0)
	v_mul_f64 v[14:15], v[44:45], v[12:13]
	v_mul_f64 v[16:17], v[42:43], v[12:13]
	v_fma_f64 v[14:15], v[42:43], v[10:11], -v[14:15]
	v_fmac_f64_e32 v[16:17], v[44:45], v[10:11]
	v_add_f64 v[46:47], v[50:51], v[14:15]
	v_add_f64 v[48:49], v[52:53], v[16:17]
	ds_read_b128 v[14:17], v30 offset:1280
	s_waitcnt lgkmcnt(0)
	v_mul_f64 v[18:19], v[44:45], v[16:17]
	v_mul_f64 v[20:21], v[42:43], v[16:17]
	v_fma_f64 v[18:19], v[42:43], v[14:15], -v[18:19]
	v_fmac_f64_e32 v[20:21], v[44:45], v[14:15]
	v_add_f64 v[36:37], v[36:37], v[18:19]
	v_add_f64 v[34:35], v[34:35], v[20:21]
	ds_read_b128 v[18:21], v31 offset:2080
	s_waitcnt lgkmcnt(0)
	v_mul_f64 v[42:43], v[20:21], v[12:13]
	v_mul_f64 v[12:13], v[18:19], v[12:13]
	v_fmac_f64_e32 v[12:13], v[20:21], v[10:11]
	v_fma_f64 v[42:43], v[18:19], v[10:11], -v[42:43]
	v_add_f64 v[40:41], v[40:41], v[12:13]
	v_mul_f64 v[10:11], v[20:21], v[16:17]
	v_mul_f64 v[12:13], v[18:19], v[16:17]
	v_fma_f64 v[10:11], v[18:19], v[14:15], -v[10:11]
	v_fmac_f64_e32 v[12:13], v[20:21], v[14:15]
	v_add_f64 v[18:19], v[22:23], v[10:11]
	v_add_f64 v[20:21], v[24:25], v[12:13]
	ds_read_b128 v[10:13], v30 offset:1536
	v_add_f64 v[38:39], v[38:39], v[42:43]
	s_waitcnt lgkmcnt(0)
	v_mul_f64 v[14:15], v[2:3], v[12:13]
	v_mul_f64 v[16:17], v[0:1], v[12:13]
	v_fma_f64 v[14:15], v[0:1], v[10:11], -v[14:15]
	v_fmac_f64_e32 v[16:17], v[2:3], v[10:11]
	v_add_f64 v[22:23], v[46:47], v[14:15]
	v_add_f64 v[24:25], v[48:49], v[16:17]
	ds_read_b128 v[14:17], v30 offset:1792
	s_waitcnt lgkmcnt(0)
	v_mul_f64 v[42:43], v[2:3], v[16:17]
	v_fma_f64 v[42:43], v[0:1], v[14:15], -v[42:43]
	v_mul_f64 v[0:1], v[0:1], v[16:17]
	v_fmac_f64_e32 v[0:1], v[2:3], v[14:15]
	v_add_f64 v[34:35], v[34:35], v[0:1]
	ds_read_b128 v[0:3], v31 offset:2096
	v_add_f64 v[36:37], v[36:37], v[42:43]
	s_waitcnt lgkmcnt(0)
	v_mul_f64 v[42:43], v[2:3], v[12:13]
	v_mul_f64 v[12:13], v[0:1], v[12:13]
	v_fma_f64 v[42:43], v[0:1], v[10:11], -v[42:43]
	v_fmac_f64_e32 v[12:13], v[2:3], v[10:11]
	v_mul_f64 v[10:11], v[2:3], v[16:17]
	v_fma_f64 v[10:11], v[0:1], v[14:15], -v[10:11]
	v_mul_f64 v[0:1], v[0:1], v[16:17]
	v_fmac_f64_e32 v[0:1], v[2:3], v[14:15]
	v_add_f64 v[40:41], v[40:41], v[12:13]
	v_add_f64 v[18:19], v[18:19], v[10:11]
	v_add_f64 v[20:21], v[20:21], v[0:1]
	ds_read_b128 v[0:3], v31 offset:64
	ds_read_b128 v[10:13], v30 offset:2048
	v_add_f64 v[38:39], v[38:39], v[42:43]
	s_waitcnt lgkmcnt(0)
	v_mul_f64 v[14:15], v[2:3], v[12:13]
	v_mul_f64 v[16:17], v[0:1], v[12:13]
	v_fma_f64 v[14:15], v[0:1], v[10:11], -v[14:15]
	v_fmac_f64_e32 v[16:17], v[2:3], v[10:11]
	v_add_f64 v[22:23], v[22:23], v[14:15]
	v_add_f64 v[24:25], v[24:25], v[16:17]
	ds_read_b128 v[14:17], v30 offset:2304
	s_waitcnt lgkmcnt(0)
	v_mul_f64 v[42:43], v[2:3], v[16:17]
	v_fma_f64 v[42:43], v[0:1], v[14:15], -v[42:43]
	v_mul_f64 v[0:1], v[0:1], v[16:17]
	v_fmac_f64_e32 v[0:1], v[2:3], v[14:15]
	v_add_f64 v[34:35], v[34:35], v[0:1]
	ds_read_b128 v[0:3], v31 offset:2112
	v_add_f64 v[36:37], v[36:37], v[42:43]
	s_waitcnt lgkmcnt(0)
	v_mul_f64 v[42:43], v[2:3], v[12:13]
	v_mul_f64 v[12:13], v[0:1], v[12:13]
	v_fma_f64 v[42:43], v[0:1], v[10:11], -v[42:43]
	v_fmac_f64_e32 v[12:13], v[2:3], v[10:11]
	v_mul_f64 v[10:11], v[2:3], v[16:17]
	v_fma_f64 v[10:11], v[0:1], v[14:15], -v[10:11]
	v_mul_f64 v[0:1], v[0:1], v[16:17]
	v_fmac_f64_e32 v[0:1], v[2:3], v[14:15]
	v_add_f64 v[40:41], v[40:41], v[12:13]
	v_add_f64 v[18:19], v[18:19], v[10:11]
	v_add_f64 v[20:21], v[20:21], v[0:1]
	ds_read_b128 v[0:3], v31 offset:80
	;; [unrolled: 31-line block ×4, first 2 shown]
	ds_read_b128 v[10:13], v30 offset:3584
	v_add_f64 v[38:39], v[38:39], v[34:35]
	ds_read_b128 v[34:37], v30 offset:3840
	s_waitcnt lgkmcnt(1)
	v_mul_f64 v[14:15], v[2:3], v[12:13]
	v_fma_f64 v[14:15], v[0:1], v[10:11], -v[14:15]
	v_add_f64 v[22:23], v[22:23], v[14:15]
	s_waitcnt lgkmcnt(0)
	v_mul_f64 v[14:15], v[2:3], v[36:37]
	v_mul_f64 v[16:17], v[0:1], v[12:13]
	v_fma_f64 v[14:15], v[0:1], v[34:35], -v[14:15]
	v_mul_f64 v[0:1], v[0:1], v[36:37]
	v_fmac_f64_e32 v[16:17], v[2:3], v[10:11]
	v_fmac_f64_e32 v[0:1], v[2:3], v[34:35]
	v_add_f64 v[24:25], v[24:25], v[16:17]
	v_add_f64 v[16:17], v[44:45], v[0:1]
	ds_read_b128 v[0:3], v31 offset:2160
	v_add_f64 v[14:15], v[42:43], v[14:15]
	s_waitcnt lgkmcnt(0)
	s_barrier
	v_mul_f64 v[18:19], v[2:3], v[12:13]
	v_mul_f64 v[12:13], v[0:1], v[12:13]
	v_fma_f64 v[18:19], v[0:1], v[10:11], -v[18:19]
	v_fmac_f64_e32 v[12:13], v[2:3], v[10:11]
	v_mul_f64 v[10:11], v[2:3], v[36:37]
	v_fma_f64 v[10:11], v[0:1], v[34:35], -v[10:11]
	v_mul_f64 v[0:1], v[0:1], v[36:37]
	v_fmac_f64_e32 v[0:1], v[2:3], v[34:35]
	v_add_f64 v[18:19], v[38:39], v[18:19]
	v_add_f64 v[20:21], v[40:41], v[12:13]
	;; [unrolled: 1-line block ×4, first 2 shown]
	s_cbranch_vccnz .LBB279_2
	s_branch .LBB279_4
.LBB279_3:
	v_pk_mov_b32 v[22:23], 0, 0
	v_pk_mov_b32 v[24:25], 0, 0
	;; [unrolled: 1-line block ×8, first 2 shown]
.LBB279_4:
	s_load_dwordx2 s[4:5], s[4:5], 0x90
	v_mov_b32_e32 v0, s7
	v_add_co_u32_e32 v6, vcc, s6, v27
	v_addc_co_u32_e32 v7, vcc, 0, v0, vcc
	s_waitcnt lgkmcnt(0)
	s_lshl_b64 s[4:5], s[4:5], 4
	s_add_u32 s7, s8, s4
	v_cmp_neq_f64_e64 s[10:11], s[14:15], 0
	v_cmp_neq_f64_e64 s[12:13], s[16:17], 0
	v_mov_b32_e32 v1, s3
	v_add_co_u32_e32 v0, vcc, s2, v26
	s_addc_u32 s8, s9, s5
	s_or_b64 s[10:11], s[10:11], s[12:13]
	v_addc_co_u32_e32 v1, vcc, 0, v1, vcc
	s_mov_b64 s[4:5], 0
	s_and_b64 vcc, exec, s[10:11]
	s_cbranch_vccnz .LBB279_6
; %bb.5:
	v_mul_lo_u32 v4, v7, s26
	v_mul_lo_u32 v5, v6, s27
	v_mad_u64_u32 v[2:3], s[2:3], v6, s26, 0
	v_add3_u32 v3, v3, v5, v4
	v_lshlrev_b64 v[2:3], 4, v[2:3]
	v_mov_b32_e32 v4, s8
	v_add_co_u32_e32 v26, vcc, s7, v2
	v_addc_co_u32_e32 v27, vcc, v4, v3, vcc
	v_lshlrev_b64 v[8:9], 4, v[0:1]
	v_mul_f64 v[2:3], s[40:41], v[24:25]
	v_mul_f64 v[4:5], s[38:39], v[24:25]
	v_add_co_u32_e32 v8, vcc, v26, v8
	v_fma_f64 v[2:3], s[38:39], v[22:23], -v[2:3]
	v_fmac_f64_e32 v[4:5], s[40:41], v[22:23]
	v_addc_co_u32_e32 v9, vcc, v27, v9, vcc
	global_store_dwordx4 v[8:9], v[2:5], off
	s_lshl_b64 s[2:3], s[26:27], 8
	v_mul_f64 v[2:3], s[40:41], v[16:17]
	v_mul_f64 v[4:5], s[38:39], v[16:17]
	v_fma_f64 v[2:3], s[38:39], v[14:15], -v[2:3]
	v_fmac_f64_e32 v[4:5], s[40:41], v[14:15]
	global_store_dwordx4 v[8:9], v[2:5], off offset:256
	v_mov_b32_e32 v26, s3
	v_mul_f64 v[2:3], s[40:41], v[20:21]
	v_mul_f64 v[4:5], s[38:39], v[20:21]
	v_add_co_u32_e32 v8, vcc, s2, v8
	v_fma_f64 v[2:3], s[38:39], v[18:19], -v[2:3]
	v_fmac_f64_e32 v[4:5], s[40:41], v[18:19]
	v_addc_co_u32_e32 v9, vcc, v9, v26, vcc
	global_store_dwordx4 v[8:9], v[2:5], off
	s_nop 0
	v_mul_f64 v[2:3], s[40:41], v[10:11]
	v_fma_f64 v[26:27], s[38:39], v[12:13], -v[2:3]
	v_mul_f64 v[4:5], s[38:39], v[10:11]
	v_add_co_u32_e32 v2, vcc, 0x100, v8
	v_fmac_f64_e32 v[4:5], s[40:41], v[12:13]
	v_addc_co_u32_e32 v3, vcc, 0, v9, vcc
	global_store_dwordx2 v[8:9], v[26:27], off offset:256
	s_andn2_b64 vcc, exec, s[4:5]
	s_cbranch_vccz .LBB279_7
	s_branch .LBB279_8
.LBB279_6:
                                        ; implicit-def: $vgpr4_vgpr5
                                        ; implicit-def: $vgpr2_vgpr3
.LBB279_7:
	s_lshl_b64 s[2:3], s[22:23], 4
	s_add_u32 s2, s0, s2
	s_addc_u32 s3, s1, s3
	v_mul_lo_u32 v4, v7, s20
	v_mul_lo_u32 v5, v6, s21
	v_mad_u64_u32 v[2:3], s[0:1], v6, s20, 0
	v_add3_u32 v3, v3, v5, v4
	v_lshlrev_b64 v[2:3], 4, v[2:3]
	v_mov_b32_e32 v4, s3
	v_add_co_u32_e32 v2, vcc, s2, v2
	v_addc_co_u32_e32 v3, vcc, v4, v3, vcc
	v_lshlrev_b64 v[4:5], 4, v[0:1]
	v_add_co_u32_e32 v8, vcc, v2, v4
	v_addc_co_u32_e32 v9, vcc, v3, v5, vcc
	global_load_dwordx4 v[0:3], v[8:9], off
	v_mul_lo_u32 v28, v7, s26
	v_mul_lo_u32 v29, v6, s27
	v_mad_u64_u32 v[6:7], s[0:1], v6, s26, 0
	v_add3_u32 v7, v7, v29, v28
	v_lshlrev_b64 v[6:7], 4, v[6:7]
	v_mov_b32_e32 v30, s8
	v_add_co_u32_e32 v6, vcc, s7, v6
	v_addc_co_u32_e32 v7, vcc, v30, v7, vcc
	v_add_co_u32_e32 v4, vcc, v6, v4
	v_mul_f64 v[26:27], s[40:41], v[24:25]
	v_mul_f64 v[24:25], s[38:39], v[24:25]
	v_addc_co_u32_e32 v5, vcc, v7, v5, vcc
	v_fma_f64 v[26:27], s[38:39], v[22:23], -v[26:27]
	v_fmac_f64_e32 v[24:25], s[40:41], v[22:23]
	s_lshl_b64 s[0:1], s[20:21], 8
	s_waitcnt vmcnt(0)
	v_mul_f64 v[6:7], s[16:17], v[2:3]
	v_mul_f64 v[2:3], s[14:15], v[2:3]
	v_fma_f64 v[6:7], s[14:15], v[0:1], -v[6:7]
	v_fmac_f64_e32 v[2:3], s[16:17], v[0:1]
	v_add_f64 v[0:1], v[26:27], v[6:7]
	v_add_f64 v[2:3], v[24:25], v[2:3]
	global_store_dwordx4 v[4:5], v[0:3], off
	global_load_dwordx4 v[0:3], v[8:9], off offset:256
	v_mul_f64 v[6:7], s[40:41], v[16:17]
	v_mul_f64 v[16:17], s[38:39], v[16:17]
	v_fma_f64 v[6:7], s[38:39], v[14:15], -v[6:7]
	v_fmac_f64_e32 v[16:17], s[40:41], v[14:15]
	v_mov_b32_e32 v14, s1
	v_add_co_u32_e32 v8, vcc, s0, v8
	v_addc_co_u32_e32 v9, vcc, v9, v14, vcc
	s_lshl_b64 s[0:1], s[26:27], 8
	s_waitcnt vmcnt(0)
	v_mul_f64 v[14:15], s[16:17], v[2:3]
	v_mul_f64 v[2:3], s[14:15], v[2:3]
	v_fma_f64 v[14:15], s[14:15], v[0:1], -v[14:15]
	v_fmac_f64_e32 v[2:3], s[16:17], v[0:1]
	v_add_f64 v[0:1], v[6:7], v[14:15]
	v_add_f64 v[2:3], v[16:17], v[2:3]
	global_store_dwordx4 v[4:5], v[0:3], off offset:256
	global_load_dwordx4 v[0:3], v[8:9], off
	v_mov_b32_e32 v17, s1
	v_add_co_u32_e32 v16, vcc, s0, v4
	v_mul_f64 v[6:7], s[40:41], v[20:21]
	v_mul_f64 v[14:15], s[38:39], v[20:21]
	v_addc_co_u32_e32 v17, vcc, v5, v17, vcc
	v_fma_f64 v[6:7], s[38:39], v[18:19], -v[6:7]
	v_fmac_f64_e32 v[14:15], s[40:41], v[18:19]
	s_waitcnt vmcnt(0)
	v_mul_f64 v[4:5], s[16:17], v[2:3]
	v_mul_f64 v[2:3], s[14:15], v[2:3]
	v_fma_f64 v[4:5], s[14:15], v[0:1], -v[4:5]
	v_fmac_f64_e32 v[2:3], s[16:17], v[0:1]
	v_add_f64 v[0:1], v[6:7], v[4:5]
	v_add_f64 v[2:3], v[14:15], v[2:3]
	global_store_dwordx4 v[16:17], v[0:3], off
	global_load_dwordx4 v[4:7], v[8:9], off offset:256
	v_mul_f64 v[0:1], s[40:41], v[10:11]
	v_mul_f64 v[8:9], s[38:39], v[10:11]
	v_fma_f64 v[0:1], s[38:39], v[12:13], -v[0:1]
	v_fmac_f64_e32 v[8:9], s[40:41], v[12:13]
	v_add_co_u32_e32 v2, vcc, 0x100, v16
	v_addc_co_u32_e32 v3, vcc, 0, v17, vcc
	s_waitcnt vmcnt(0)
	v_mul_f64 v[10:11], s[16:17], v[6:7]
	v_mul_f64 v[6:7], s[14:15], v[6:7]
	v_fma_f64 v[10:11], s[14:15], v[4:5], -v[10:11]
	v_fmac_f64_e32 v[6:7], s[16:17], v[4:5]
	v_add_f64 v[0:1], v[0:1], v[10:11]
	v_add_f64 v[4:5], v[8:9], v[6:7]
	global_store_dwordx2 v[16:17], v[0:1], off offset:256
.LBB279_8:
	global_store_dwordx2 v[2:3], v[4:5], off offset:8
	s_endpgm
	.section	.rodata,"a",@progbits
	.p2align	6, 0x0
	.amdhsa_kernel _ZN12_GLOBAL__N_127rocblas_gemm_batched_kernelI19rocblas_complex_numIdELi16ELi16ELi32ELi32ELi8ELi32ELi8ELi8ELi32ELc78ELc67EKPKS2_S5_KPS2_EEvlllT_PT11_llSA_llS8_PT12_llPT13_lli
		.amdhsa_group_segment_fixed_size 8192
		.amdhsa_private_segment_fixed_size 0
		.amdhsa_kernarg_size 156
		.amdhsa_user_sgpr_count 6
		.amdhsa_user_sgpr_private_segment_buffer 1
		.amdhsa_user_sgpr_dispatch_ptr 0
		.amdhsa_user_sgpr_queue_ptr 0
		.amdhsa_user_sgpr_kernarg_segment_ptr 1
		.amdhsa_user_sgpr_dispatch_id 0
		.amdhsa_user_sgpr_flat_scratch_init 0
		.amdhsa_user_sgpr_kernarg_preload_length 0
		.amdhsa_user_sgpr_kernarg_preload_offset 0
		.amdhsa_user_sgpr_private_segment_size 0
		.amdhsa_uses_dynamic_stack 0
		.amdhsa_system_sgpr_private_segment_wavefront_offset 0
		.amdhsa_system_sgpr_workgroup_id_x 1
		.amdhsa_system_sgpr_workgroup_id_y 1
		.amdhsa_system_sgpr_workgroup_id_z 1
		.amdhsa_system_sgpr_workgroup_info 0
		.amdhsa_system_vgpr_workitem_id 1
		.amdhsa_next_free_vgpr 56
		.amdhsa_next_free_sgpr 52
		.amdhsa_accum_offset 56
		.amdhsa_reserve_vcc 1
		.amdhsa_reserve_flat_scratch 0
		.amdhsa_float_round_mode_32 0
		.amdhsa_float_round_mode_16_64 0
		.amdhsa_float_denorm_mode_32 3
		.amdhsa_float_denorm_mode_16_64 3
		.amdhsa_dx10_clamp 1
		.amdhsa_ieee_mode 1
		.amdhsa_fp16_overflow 0
		.amdhsa_tg_split 0
		.amdhsa_exception_fp_ieee_invalid_op 0
		.amdhsa_exception_fp_denorm_src 0
		.amdhsa_exception_fp_ieee_div_zero 0
		.amdhsa_exception_fp_ieee_overflow 0
		.amdhsa_exception_fp_ieee_underflow 0
		.amdhsa_exception_fp_ieee_inexact 0
		.amdhsa_exception_int_div_zero 0
	.end_amdhsa_kernel
	.section	.text._ZN12_GLOBAL__N_127rocblas_gemm_batched_kernelI19rocblas_complex_numIdELi16ELi16ELi32ELi32ELi8ELi32ELi8ELi8ELi32ELc78ELc67EKPKS2_S5_KPS2_EEvlllT_PT11_llSA_llS8_PT12_llPT13_lli,"axG",@progbits,_ZN12_GLOBAL__N_127rocblas_gemm_batched_kernelI19rocblas_complex_numIdELi16ELi16ELi32ELi32ELi8ELi32ELi8ELi8ELi32ELc78ELc67EKPKS2_S5_KPS2_EEvlllT_PT11_llSA_llS8_PT12_llPT13_lli,comdat
.Lfunc_end279:
	.size	_ZN12_GLOBAL__N_127rocblas_gemm_batched_kernelI19rocblas_complex_numIdELi16ELi16ELi32ELi32ELi8ELi32ELi8ELi8ELi32ELc78ELc67EKPKS2_S5_KPS2_EEvlllT_PT11_llSA_llS8_PT12_llPT13_lli, .Lfunc_end279-_ZN12_GLOBAL__N_127rocblas_gemm_batched_kernelI19rocblas_complex_numIdELi16ELi16ELi32ELi32ELi8ELi32ELi8ELi8ELi32ELc78ELc67EKPKS2_S5_KPS2_EEvlllT_PT11_llSA_llS8_PT12_llPT13_lli
                                        ; -- End function
	.section	.AMDGPU.csdata,"",@progbits
; Kernel info:
; codeLenInByte = 3288
; NumSgprs: 56
; NumVgprs: 56
; NumAgprs: 0
; TotalNumVgprs: 56
; ScratchSize: 0
; MemoryBound: 0
; FloatMode: 240
; IeeeMode: 1
; LDSByteSize: 8192 bytes/workgroup (compile time only)
; SGPRBlocks: 6
; VGPRBlocks: 6
; NumSGPRsForWavesPerEU: 56
; NumVGPRsForWavesPerEU: 56
; AccumOffset: 56
; Occupancy: 8
; WaveLimiterHint : 1
; COMPUTE_PGM_RSRC2:SCRATCH_EN: 0
; COMPUTE_PGM_RSRC2:USER_SGPR: 6
; COMPUTE_PGM_RSRC2:TRAP_HANDLER: 0
; COMPUTE_PGM_RSRC2:TGID_X_EN: 1
; COMPUTE_PGM_RSRC2:TGID_Y_EN: 1
; COMPUTE_PGM_RSRC2:TGID_Z_EN: 1
; COMPUTE_PGM_RSRC2:TIDIG_COMP_CNT: 1
; COMPUTE_PGM_RSRC3_GFX90A:ACCUM_OFFSET: 13
; COMPUTE_PGM_RSRC3_GFX90A:TG_SPLIT: 0
	.section	.text._ZN12_GLOBAL__N_127rocblas_gemm_batched_kernelI19rocblas_complex_numIdELi16ELi16ELi32ELi32ELi8ELi32ELi8ELi8ELi32ELc84ELc67EKPKS2_S5_KPS2_EEvlllT_PT11_llSA_llS8_PT12_llPT13_lli,"axG",@progbits,_ZN12_GLOBAL__N_127rocblas_gemm_batched_kernelI19rocblas_complex_numIdELi16ELi16ELi32ELi32ELi8ELi32ELi8ELi8ELi32ELc84ELc67EKPKS2_S5_KPS2_EEvlllT_PT11_llSA_llS8_PT12_llPT13_lli,comdat
	.globl	_ZN12_GLOBAL__N_127rocblas_gemm_batched_kernelI19rocblas_complex_numIdELi16ELi16ELi32ELi32ELi8ELi32ELi8ELi8ELi32ELc84ELc67EKPKS2_S5_KPS2_EEvlllT_PT11_llSA_llS8_PT12_llPT13_lli ; -- Begin function _ZN12_GLOBAL__N_127rocblas_gemm_batched_kernelI19rocblas_complex_numIdELi16ELi16ELi32ELi32ELi8ELi32ELi8ELi8ELi32ELc84ELc67EKPKS2_S5_KPS2_EEvlllT_PT11_llSA_llS8_PT12_llPT13_lli
	.p2align	8
	.type	_ZN12_GLOBAL__N_127rocblas_gemm_batched_kernelI19rocblas_complex_numIdELi16ELi16ELi32ELi32ELi8ELi32ELi8ELi8ELi32ELc84ELc67EKPKS2_S5_KPS2_EEvlllT_PT11_llSA_llS8_PT12_llPT13_lli,@function
_ZN12_GLOBAL__N_127rocblas_gemm_batched_kernelI19rocblas_complex_numIdELi16ELi16ELi32ELi32ELi8ELi32ELi8ELi8ELi32ELc84ELc67EKPKS2_S5_KPS2_EEvlllT_PT11_llSA_llS8_PT12_llPT13_lli: ; @_ZN12_GLOBAL__N_127rocblas_gemm_batched_kernelI19rocblas_complex_numIdELi16ELi16ELi32ELi32ELi8ELi32ELi8ELi8ELi32ELc84ELc67EKPKS2_S5_KPS2_EEvlllT_PT11_llSA_llS8_PT12_llPT13_lli
; %bb.0:
	s_load_dwordx16 s[36:51], s[4:5], 0x10
	s_load_dwordx16 s[12:27], s[4:5], 0x50
	s_mov_b32 s9, 0
	s_lshl_b64 s[28:29], s[8:9], 3
	s_mov_b32 s10, s7
	v_bfe_u32 v27, v0, 10, 10
	s_waitcnt lgkmcnt(0)
	s_add_u32 s0, s18, s28
	s_addc_u32 s1, s19, s29
	s_add_u32 s2, s24, s28
	s_addc_u32 s3, s25, s29
	s_load_dwordx2 s[0:1], s[0:1], 0x0
	s_ashr_i32 s7, s6, 31
	s_load_dwordx2 s[8:9], s[2:3], 0x0
	s_ashr_i32 s11, s10, 31
	v_cmp_lt_i64_e64 s[18:19], s[36:37], 1
	v_and_b32_e32 v26, 0x3ff, v0
	s_lshl_b64 s[2:3], s[6:7], 5
	s_lshl_b64 s[6:7], s[10:11], 5
	s_mov_b64 s[10:11], 0
	s_and_b64 vcc, exec, s[18:19]
	s_cbranch_vccnz .LBB280_3
; %bb.1:
	v_lshl_add_u32 v4, v27, 4, v26
	s_add_u32 s18, s42, s28
	v_lshrrev_b32_e32 v5, 3, v4
	s_addc_u32 s19, s43, s29
	v_mov_b32_e32 v1, s7
	v_add_co_u32_e32 v0, vcc, s6, v5
	s_add_u32 s24, s48, s28
	v_addc_co_u32_e32 v1, vcc, 0, v1, vcc
	v_and_b32_e32 v6, 7, v26
	s_addc_u32 s25, s49, s29
	v_mad_u64_u32 v[0:1], s[28:29], v6, s50, v[0:1]
	v_mov_b32_e32 v2, v1
	v_mad_u64_u32 v[2:3], s[28:29], v6, s51, v[2:3]
	v_mov_b32_e32 v1, v2
	v_and_b32_e32 v2, 31, v4
	v_lshrrev_b32_e32 v4, 5, v4
	v_lshlrev_b32_e32 v3, 4, v2
	v_lshl_or_b32 v28, v4, 9, v3
	v_lshlrev_b32_e32 v3, 4, v6
	v_lshl_or_b32 v3, v5, 7, v3
	v_add_u32_e32 v29, 0x1000, v3
	v_mov_b32_e32 v3, 0x1000
	v_lshl_add_u32 v31, v27, 7, v3
	v_mov_b32_e32 v3, s3
	v_add_co_u32_e32 v2, vcc, s2, v2
	v_addc_co_u32_e32 v3, vcc, 0, v3, vcc
	v_mul_lo_u32 v5, s45, v2
	v_mul_lo_u32 v6, s44, v3
	v_mad_u64_u32 v[2:3], s[28:29], s44, v2, 0
	v_add3_u32 v3, v3, v6, v5
	s_load_dwordx2 s[18:19], s[18:19], 0x0
	v_lshlrev_b64 v[2:3], 4, v[2:3]
	s_load_dwordx2 s[24:25], s[24:25], 0x0
	s_lshl_b64 s[28:29], s[46:47], 4
	v_mov_b32_e32 v5, s29
	v_add_co_u32_e32 v2, vcc, s28, v2
	v_addc_co_u32_e32 v3, vcc, v3, v5, vcc
	v_lshlrev_b32_e32 v4, 4, v4
	v_add_co_u32_e32 v2, vcc, v2, v4
	v_addc_co_u32_e32 v3, vcc, 0, v3, vcc
	s_lshl_b64 s[12:13], s[12:13], 4
	s_waitcnt lgkmcnt(0)
	v_mov_b32_e32 v5, s19
	v_add_co_u32_e32 v4, vcc, s18, v2
	s_add_u32 s12, s24, s12
	v_addc_co_u32_e32 v5, vcc, v5, v3, vcc
	v_lshlrev_b64 v[0:1], 4, v[0:1]
	s_addc_u32 s13, s25, s13
	v_mov_b32_e32 v2, s13
	v_add_co_u32_e32 v0, vcc, s12, v0
	v_addc_co_u32_e32 v1, vcc, v2, v1, vcc
	v_add_co_u32_e32 v6, vcc, 8, v0
	s_lshl_b64 s[12:13], s[50:51], 7
	v_lshlrev_b32_e32 v30, 4, v26
	v_addc_co_u32_e32 v7, vcc, 0, v1, vcc
	v_pk_mov_b32 v[10:11], 0, 0
	v_mov_b32_e32 v32, s13
	v_pk_mov_b32 v[8:9], s[36:37], s[36:37] op_sel:[0,1]
	v_pk_mov_b32 v[12:13], 0, 0
	v_pk_mov_b32 v[20:21], 0, 0
	;; [unrolled: 1-line block ×7, first 2 shown]
.LBB280_2:                              ; =>This Inner Loop Header: Depth=1
	global_load_dwordx4 v[0:3], v[4:5], off
	v_add_co_u32_e32 v4, vcc, 0x80, v4
	v_addc_co_u32_e32 v5, vcc, 0, v5, vcc
	s_add_u32 s10, s10, 8
	s_addc_u32 s11, s11, 0
	s_waitcnt vmcnt(0)
	ds_write2_b64 v28, v[0:1], v[2:3] offset1:1
	global_load_dwordx4 v[0:3], v[6:7], off offset:-8
	v_add_co_u32_e32 v6, vcc, s12, v6
	v_addc_co_u32_e32 v7, vcc, v7, v32, vcc
	v_cmp_lt_i64_e32 vcc, s[10:11], v[8:9]
	s_and_b64 vcc, exec, vcc
	s_waitcnt vmcnt(0)
	v_xor_b32_e32 v3, 0x80000000, v3
	ds_write_b128 v29, v[0:3]
	s_waitcnt lgkmcnt(0)
	s_barrier
	ds_read_b128 v[34:37], v31
	ds_read_b128 v[38:41], v31 offset:16
	ds_read_b128 v[42:45], v31 offset:32
	;; [unrolled: 1-line block ×3, first 2 shown]
	ds_read_b128 v[46:49], v30
	s_waitcnt lgkmcnt(0)
	v_mul_f64 v[50:51], v[36:37], v[48:49]
	v_mul_f64 v[52:53], v[34:35], v[48:49]
	v_fma_f64 v[50:51], v[34:35], v[46:47], -v[50:51]
	v_fmac_f64_e32 v[52:53], v[36:37], v[46:47]
	v_add_f64 v[50:51], v[22:23], v[50:51]
	v_add_f64 v[52:53], v[24:25], v[52:53]
	ds_read_b128 v[22:25], v30 offset:256
	s_waitcnt lgkmcnt(0)
	v_mul_f64 v[54:55], v[36:37], v[24:25]
	v_fma_f64 v[54:55], v[34:35], v[22:23], -v[54:55]
	v_mul_f64 v[34:35], v[34:35], v[24:25]
	v_fmac_f64_e32 v[34:35], v[36:37], v[22:23]
	v_add_f64 v[36:37], v[14:15], v[54:55]
	v_add_f64 v[34:35], v[16:17], v[34:35]
	ds_read_b128 v[14:17], v31 offset:2048
	s_waitcnt lgkmcnt(0)
	v_mul_f64 v[54:55], v[16:17], v[48:49]
	v_fma_f64 v[54:55], v[14:15], v[46:47], -v[54:55]
	v_mul_f64 v[48:49], v[14:15], v[48:49]
	v_fmac_f64_e32 v[48:49], v[16:17], v[46:47]
	v_add_f64 v[46:47], v[18:19], v[54:55]
	v_mul_f64 v[18:19], v[16:17], v[24:25]
	v_fma_f64 v[18:19], v[14:15], v[22:23], -v[18:19]
	v_mul_f64 v[14:15], v[14:15], v[24:25]
	v_fmac_f64_e32 v[14:15], v[16:17], v[22:23]
	v_add_f64 v[22:23], v[12:13], v[18:19]
	v_add_f64 v[24:25], v[10:11], v[14:15]
	ds_read_b128 v[10:13], v30 offset:512
	v_add_f64 v[48:49], v[20:21], v[48:49]
	s_waitcnt lgkmcnt(0)
	v_mul_f64 v[14:15], v[40:41], v[12:13]
	v_mul_f64 v[16:17], v[38:39], v[12:13]
	v_fma_f64 v[14:15], v[38:39], v[10:11], -v[14:15]
	v_fmac_f64_e32 v[16:17], v[40:41], v[10:11]
	v_add_f64 v[50:51], v[50:51], v[14:15]
	v_add_f64 v[52:53], v[52:53], v[16:17]
	ds_read_b128 v[14:17], v30 offset:768
	s_waitcnt lgkmcnt(0)
	v_mul_f64 v[18:19], v[40:41], v[16:17]
	v_mul_f64 v[20:21], v[38:39], v[16:17]
	v_fma_f64 v[18:19], v[38:39], v[14:15], -v[18:19]
	v_fmac_f64_e32 v[20:21], v[40:41], v[14:15]
	v_add_f64 v[36:37], v[36:37], v[18:19]
	v_add_f64 v[34:35], v[34:35], v[20:21]
	ds_read_b128 v[18:21], v31 offset:2064
	s_waitcnt lgkmcnt(0)
	v_mul_f64 v[38:39], v[20:21], v[12:13]
	v_mul_f64 v[12:13], v[18:19], v[12:13]
	v_fmac_f64_e32 v[12:13], v[20:21], v[10:11]
	v_fma_f64 v[38:39], v[18:19], v[10:11], -v[38:39]
	v_add_f64 v[40:41], v[48:49], v[12:13]
	v_mul_f64 v[10:11], v[20:21], v[16:17]
	v_mul_f64 v[12:13], v[18:19], v[16:17]
	v_fma_f64 v[10:11], v[18:19], v[14:15], -v[10:11]
	v_fmac_f64_e32 v[12:13], v[20:21], v[14:15]
	v_add_f64 v[22:23], v[22:23], v[10:11]
	v_add_f64 v[24:25], v[24:25], v[12:13]
	ds_read_b128 v[10:13], v30 offset:1024
	v_add_f64 v[38:39], v[46:47], v[38:39]
	s_waitcnt lgkmcnt(0)
	v_mul_f64 v[14:15], v[44:45], v[12:13]
	v_mul_f64 v[16:17], v[42:43], v[12:13]
	v_fma_f64 v[14:15], v[42:43], v[10:11], -v[14:15]
	v_fmac_f64_e32 v[16:17], v[44:45], v[10:11]
	v_add_f64 v[46:47], v[50:51], v[14:15]
	v_add_f64 v[48:49], v[52:53], v[16:17]
	ds_read_b128 v[14:17], v30 offset:1280
	s_waitcnt lgkmcnt(0)
	v_mul_f64 v[18:19], v[44:45], v[16:17]
	v_mul_f64 v[20:21], v[42:43], v[16:17]
	v_fma_f64 v[18:19], v[42:43], v[14:15], -v[18:19]
	v_fmac_f64_e32 v[20:21], v[44:45], v[14:15]
	v_add_f64 v[36:37], v[36:37], v[18:19]
	v_add_f64 v[34:35], v[34:35], v[20:21]
	ds_read_b128 v[18:21], v31 offset:2080
	s_waitcnt lgkmcnt(0)
	v_mul_f64 v[42:43], v[20:21], v[12:13]
	v_mul_f64 v[12:13], v[18:19], v[12:13]
	v_fmac_f64_e32 v[12:13], v[20:21], v[10:11]
	v_fma_f64 v[42:43], v[18:19], v[10:11], -v[42:43]
	v_add_f64 v[40:41], v[40:41], v[12:13]
	v_mul_f64 v[10:11], v[20:21], v[16:17]
	v_mul_f64 v[12:13], v[18:19], v[16:17]
	v_fma_f64 v[10:11], v[18:19], v[14:15], -v[10:11]
	v_fmac_f64_e32 v[12:13], v[20:21], v[14:15]
	v_add_f64 v[18:19], v[22:23], v[10:11]
	v_add_f64 v[20:21], v[24:25], v[12:13]
	ds_read_b128 v[10:13], v30 offset:1536
	v_add_f64 v[38:39], v[38:39], v[42:43]
	s_waitcnt lgkmcnt(0)
	v_mul_f64 v[14:15], v[2:3], v[12:13]
	v_mul_f64 v[16:17], v[0:1], v[12:13]
	v_fma_f64 v[14:15], v[0:1], v[10:11], -v[14:15]
	v_fmac_f64_e32 v[16:17], v[2:3], v[10:11]
	v_add_f64 v[22:23], v[46:47], v[14:15]
	v_add_f64 v[24:25], v[48:49], v[16:17]
	ds_read_b128 v[14:17], v30 offset:1792
	s_waitcnt lgkmcnt(0)
	v_mul_f64 v[42:43], v[2:3], v[16:17]
	v_fma_f64 v[42:43], v[0:1], v[14:15], -v[42:43]
	v_mul_f64 v[0:1], v[0:1], v[16:17]
	v_fmac_f64_e32 v[0:1], v[2:3], v[14:15]
	v_add_f64 v[34:35], v[34:35], v[0:1]
	ds_read_b128 v[0:3], v31 offset:2096
	v_add_f64 v[36:37], v[36:37], v[42:43]
	s_waitcnt lgkmcnt(0)
	v_mul_f64 v[42:43], v[2:3], v[12:13]
	v_mul_f64 v[12:13], v[0:1], v[12:13]
	v_fma_f64 v[42:43], v[0:1], v[10:11], -v[42:43]
	v_fmac_f64_e32 v[12:13], v[2:3], v[10:11]
	v_mul_f64 v[10:11], v[2:3], v[16:17]
	v_fma_f64 v[10:11], v[0:1], v[14:15], -v[10:11]
	v_mul_f64 v[0:1], v[0:1], v[16:17]
	v_fmac_f64_e32 v[0:1], v[2:3], v[14:15]
	v_add_f64 v[40:41], v[40:41], v[12:13]
	v_add_f64 v[18:19], v[18:19], v[10:11]
	v_add_f64 v[20:21], v[20:21], v[0:1]
	ds_read_b128 v[0:3], v31 offset:64
	ds_read_b128 v[10:13], v30 offset:2048
	v_add_f64 v[38:39], v[38:39], v[42:43]
	s_waitcnt lgkmcnt(0)
	v_mul_f64 v[14:15], v[2:3], v[12:13]
	v_mul_f64 v[16:17], v[0:1], v[12:13]
	v_fma_f64 v[14:15], v[0:1], v[10:11], -v[14:15]
	v_fmac_f64_e32 v[16:17], v[2:3], v[10:11]
	v_add_f64 v[22:23], v[22:23], v[14:15]
	v_add_f64 v[24:25], v[24:25], v[16:17]
	ds_read_b128 v[14:17], v30 offset:2304
	s_waitcnt lgkmcnt(0)
	v_mul_f64 v[42:43], v[2:3], v[16:17]
	v_fma_f64 v[42:43], v[0:1], v[14:15], -v[42:43]
	v_mul_f64 v[0:1], v[0:1], v[16:17]
	v_fmac_f64_e32 v[0:1], v[2:3], v[14:15]
	v_add_f64 v[34:35], v[34:35], v[0:1]
	ds_read_b128 v[0:3], v31 offset:2112
	v_add_f64 v[36:37], v[36:37], v[42:43]
	s_waitcnt lgkmcnt(0)
	v_mul_f64 v[42:43], v[2:3], v[12:13]
	v_mul_f64 v[12:13], v[0:1], v[12:13]
	v_fma_f64 v[42:43], v[0:1], v[10:11], -v[42:43]
	v_fmac_f64_e32 v[12:13], v[2:3], v[10:11]
	v_mul_f64 v[10:11], v[2:3], v[16:17]
	v_fma_f64 v[10:11], v[0:1], v[14:15], -v[10:11]
	v_mul_f64 v[0:1], v[0:1], v[16:17]
	v_fmac_f64_e32 v[0:1], v[2:3], v[14:15]
	v_add_f64 v[40:41], v[40:41], v[12:13]
	v_add_f64 v[18:19], v[18:19], v[10:11]
	v_add_f64 v[20:21], v[20:21], v[0:1]
	ds_read_b128 v[0:3], v31 offset:80
	;; [unrolled: 31-line block ×4, first 2 shown]
	ds_read_b128 v[10:13], v30 offset:3584
	v_add_f64 v[38:39], v[38:39], v[34:35]
	ds_read_b128 v[34:37], v30 offset:3840
	s_waitcnt lgkmcnt(1)
	v_mul_f64 v[14:15], v[2:3], v[12:13]
	v_fma_f64 v[14:15], v[0:1], v[10:11], -v[14:15]
	v_add_f64 v[22:23], v[22:23], v[14:15]
	s_waitcnt lgkmcnt(0)
	v_mul_f64 v[14:15], v[2:3], v[36:37]
	v_mul_f64 v[16:17], v[0:1], v[12:13]
	v_fma_f64 v[14:15], v[0:1], v[34:35], -v[14:15]
	v_mul_f64 v[0:1], v[0:1], v[36:37]
	v_fmac_f64_e32 v[16:17], v[2:3], v[10:11]
	v_fmac_f64_e32 v[0:1], v[2:3], v[34:35]
	v_add_f64 v[24:25], v[24:25], v[16:17]
	v_add_f64 v[16:17], v[44:45], v[0:1]
	ds_read_b128 v[0:3], v31 offset:2160
	v_add_f64 v[14:15], v[42:43], v[14:15]
	s_waitcnt lgkmcnt(0)
	s_barrier
	v_mul_f64 v[18:19], v[2:3], v[12:13]
	v_mul_f64 v[12:13], v[0:1], v[12:13]
	v_fma_f64 v[18:19], v[0:1], v[10:11], -v[18:19]
	v_fmac_f64_e32 v[12:13], v[2:3], v[10:11]
	v_mul_f64 v[10:11], v[2:3], v[36:37]
	v_fma_f64 v[10:11], v[0:1], v[34:35], -v[10:11]
	v_mul_f64 v[0:1], v[0:1], v[36:37]
	v_fmac_f64_e32 v[0:1], v[2:3], v[34:35]
	v_add_f64 v[18:19], v[38:39], v[18:19]
	v_add_f64 v[20:21], v[40:41], v[12:13]
	;; [unrolled: 1-line block ×4, first 2 shown]
	s_cbranch_vccnz .LBB280_2
	s_branch .LBB280_4
.LBB280_3:
	v_pk_mov_b32 v[22:23], 0, 0
	v_pk_mov_b32 v[24:25], 0, 0
	v_pk_mov_b32 v[14:15], 0, 0
	v_pk_mov_b32 v[16:17], 0, 0
	v_pk_mov_b32 v[18:19], 0, 0
	v_pk_mov_b32 v[20:21], 0, 0
	v_pk_mov_b32 v[12:13], 0, 0
	v_pk_mov_b32 v[10:11], 0, 0
.LBB280_4:
	s_load_dwordx2 s[4:5], s[4:5], 0x90
	v_mov_b32_e32 v0, s7
	v_add_co_u32_e32 v6, vcc, s6, v27
	v_addc_co_u32_e32 v7, vcc, 0, v0, vcc
	s_waitcnt lgkmcnt(0)
	s_lshl_b64 s[4:5], s[4:5], 4
	s_add_u32 s7, s8, s4
	v_cmp_neq_f64_e64 s[10:11], s[14:15], 0
	v_cmp_neq_f64_e64 s[12:13], s[16:17], 0
	v_mov_b32_e32 v1, s3
	v_add_co_u32_e32 v0, vcc, s2, v26
	s_addc_u32 s8, s9, s5
	s_or_b64 s[10:11], s[10:11], s[12:13]
	v_addc_co_u32_e32 v1, vcc, 0, v1, vcc
	s_mov_b64 s[4:5], 0
	s_and_b64 vcc, exec, s[10:11]
	s_cbranch_vccnz .LBB280_6
; %bb.5:
	v_mul_lo_u32 v4, v7, s26
	v_mul_lo_u32 v5, v6, s27
	v_mad_u64_u32 v[2:3], s[2:3], v6, s26, 0
	v_add3_u32 v3, v3, v5, v4
	v_lshlrev_b64 v[2:3], 4, v[2:3]
	v_mov_b32_e32 v4, s8
	v_add_co_u32_e32 v26, vcc, s7, v2
	v_addc_co_u32_e32 v27, vcc, v4, v3, vcc
	v_lshlrev_b64 v[8:9], 4, v[0:1]
	v_mul_f64 v[2:3], s[40:41], v[24:25]
	v_mul_f64 v[4:5], s[38:39], v[24:25]
	v_add_co_u32_e32 v8, vcc, v26, v8
	v_fma_f64 v[2:3], s[38:39], v[22:23], -v[2:3]
	v_fmac_f64_e32 v[4:5], s[40:41], v[22:23]
	v_addc_co_u32_e32 v9, vcc, v27, v9, vcc
	global_store_dwordx4 v[8:9], v[2:5], off
	s_lshl_b64 s[2:3], s[26:27], 8
	v_mul_f64 v[2:3], s[40:41], v[16:17]
	v_mul_f64 v[4:5], s[38:39], v[16:17]
	v_fma_f64 v[2:3], s[38:39], v[14:15], -v[2:3]
	v_fmac_f64_e32 v[4:5], s[40:41], v[14:15]
	global_store_dwordx4 v[8:9], v[2:5], off offset:256
	v_mov_b32_e32 v26, s3
	v_mul_f64 v[2:3], s[40:41], v[20:21]
	v_mul_f64 v[4:5], s[38:39], v[20:21]
	v_add_co_u32_e32 v8, vcc, s2, v8
	v_fma_f64 v[2:3], s[38:39], v[18:19], -v[2:3]
	v_fmac_f64_e32 v[4:5], s[40:41], v[18:19]
	v_addc_co_u32_e32 v9, vcc, v9, v26, vcc
	global_store_dwordx4 v[8:9], v[2:5], off
	s_nop 0
	v_mul_f64 v[2:3], s[40:41], v[10:11]
	v_fma_f64 v[26:27], s[38:39], v[12:13], -v[2:3]
	v_mul_f64 v[4:5], s[38:39], v[10:11]
	v_add_co_u32_e32 v2, vcc, 0x100, v8
	v_fmac_f64_e32 v[4:5], s[40:41], v[12:13]
	v_addc_co_u32_e32 v3, vcc, 0, v9, vcc
	global_store_dwordx2 v[8:9], v[26:27], off offset:256
	s_andn2_b64 vcc, exec, s[4:5]
	s_cbranch_vccz .LBB280_7
	s_branch .LBB280_8
.LBB280_6:
                                        ; implicit-def: $vgpr4_vgpr5
                                        ; implicit-def: $vgpr2_vgpr3
.LBB280_7:
	s_lshl_b64 s[2:3], s[22:23], 4
	s_add_u32 s2, s0, s2
	s_addc_u32 s3, s1, s3
	v_mul_lo_u32 v4, v7, s20
	v_mul_lo_u32 v5, v6, s21
	v_mad_u64_u32 v[2:3], s[0:1], v6, s20, 0
	v_add3_u32 v3, v3, v5, v4
	v_lshlrev_b64 v[2:3], 4, v[2:3]
	v_mov_b32_e32 v4, s3
	v_add_co_u32_e32 v2, vcc, s2, v2
	v_addc_co_u32_e32 v3, vcc, v4, v3, vcc
	v_lshlrev_b64 v[4:5], 4, v[0:1]
	v_add_co_u32_e32 v8, vcc, v2, v4
	v_addc_co_u32_e32 v9, vcc, v3, v5, vcc
	global_load_dwordx4 v[0:3], v[8:9], off
	v_mul_lo_u32 v28, v7, s26
	v_mul_lo_u32 v29, v6, s27
	v_mad_u64_u32 v[6:7], s[0:1], v6, s26, 0
	v_add3_u32 v7, v7, v29, v28
	v_lshlrev_b64 v[6:7], 4, v[6:7]
	v_mov_b32_e32 v30, s8
	v_add_co_u32_e32 v6, vcc, s7, v6
	v_addc_co_u32_e32 v7, vcc, v30, v7, vcc
	v_add_co_u32_e32 v4, vcc, v6, v4
	v_mul_f64 v[26:27], s[40:41], v[24:25]
	v_mul_f64 v[24:25], s[38:39], v[24:25]
	v_addc_co_u32_e32 v5, vcc, v7, v5, vcc
	v_fma_f64 v[26:27], s[38:39], v[22:23], -v[26:27]
	v_fmac_f64_e32 v[24:25], s[40:41], v[22:23]
	s_lshl_b64 s[0:1], s[20:21], 8
	s_waitcnt vmcnt(0)
	v_mul_f64 v[6:7], s[16:17], v[2:3]
	v_mul_f64 v[2:3], s[14:15], v[2:3]
	v_fma_f64 v[6:7], s[14:15], v[0:1], -v[6:7]
	v_fmac_f64_e32 v[2:3], s[16:17], v[0:1]
	v_add_f64 v[0:1], v[26:27], v[6:7]
	v_add_f64 v[2:3], v[24:25], v[2:3]
	global_store_dwordx4 v[4:5], v[0:3], off
	global_load_dwordx4 v[0:3], v[8:9], off offset:256
	v_mul_f64 v[6:7], s[40:41], v[16:17]
	v_mul_f64 v[16:17], s[38:39], v[16:17]
	v_fma_f64 v[6:7], s[38:39], v[14:15], -v[6:7]
	v_fmac_f64_e32 v[16:17], s[40:41], v[14:15]
	v_mov_b32_e32 v14, s1
	v_add_co_u32_e32 v8, vcc, s0, v8
	v_addc_co_u32_e32 v9, vcc, v9, v14, vcc
	s_lshl_b64 s[0:1], s[26:27], 8
	s_waitcnt vmcnt(0)
	v_mul_f64 v[14:15], s[16:17], v[2:3]
	v_mul_f64 v[2:3], s[14:15], v[2:3]
	v_fma_f64 v[14:15], s[14:15], v[0:1], -v[14:15]
	v_fmac_f64_e32 v[2:3], s[16:17], v[0:1]
	v_add_f64 v[0:1], v[6:7], v[14:15]
	v_add_f64 v[2:3], v[16:17], v[2:3]
	global_store_dwordx4 v[4:5], v[0:3], off offset:256
	global_load_dwordx4 v[0:3], v[8:9], off
	v_mov_b32_e32 v17, s1
	v_add_co_u32_e32 v16, vcc, s0, v4
	v_mul_f64 v[6:7], s[40:41], v[20:21]
	v_mul_f64 v[14:15], s[38:39], v[20:21]
	v_addc_co_u32_e32 v17, vcc, v5, v17, vcc
	v_fma_f64 v[6:7], s[38:39], v[18:19], -v[6:7]
	v_fmac_f64_e32 v[14:15], s[40:41], v[18:19]
	s_waitcnt vmcnt(0)
	v_mul_f64 v[4:5], s[16:17], v[2:3]
	v_mul_f64 v[2:3], s[14:15], v[2:3]
	v_fma_f64 v[4:5], s[14:15], v[0:1], -v[4:5]
	v_fmac_f64_e32 v[2:3], s[16:17], v[0:1]
	v_add_f64 v[0:1], v[6:7], v[4:5]
	v_add_f64 v[2:3], v[14:15], v[2:3]
	global_store_dwordx4 v[16:17], v[0:3], off
	global_load_dwordx4 v[4:7], v[8:9], off offset:256
	v_mul_f64 v[0:1], s[40:41], v[10:11]
	v_mul_f64 v[8:9], s[38:39], v[10:11]
	v_fma_f64 v[0:1], s[38:39], v[12:13], -v[0:1]
	v_fmac_f64_e32 v[8:9], s[40:41], v[12:13]
	v_add_co_u32_e32 v2, vcc, 0x100, v16
	v_addc_co_u32_e32 v3, vcc, 0, v17, vcc
	s_waitcnt vmcnt(0)
	v_mul_f64 v[10:11], s[16:17], v[6:7]
	v_mul_f64 v[6:7], s[14:15], v[6:7]
	v_fma_f64 v[10:11], s[14:15], v[4:5], -v[10:11]
	v_fmac_f64_e32 v[6:7], s[16:17], v[4:5]
	v_add_f64 v[0:1], v[0:1], v[10:11]
	v_add_f64 v[4:5], v[8:9], v[6:7]
	global_store_dwordx2 v[16:17], v[0:1], off offset:256
.LBB280_8:
	global_store_dwordx2 v[2:3], v[4:5], off offset:8
	s_endpgm
	.section	.rodata,"a",@progbits
	.p2align	6, 0x0
	.amdhsa_kernel _ZN12_GLOBAL__N_127rocblas_gemm_batched_kernelI19rocblas_complex_numIdELi16ELi16ELi32ELi32ELi8ELi32ELi8ELi8ELi32ELc84ELc67EKPKS2_S5_KPS2_EEvlllT_PT11_llSA_llS8_PT12_llPT13_lli
		.amdhsa_group_segment_fixed_size 8192
		.amdhsa_private_segment_fixed_size 0
		.amdhsa_kernarg_size 156
		.amdhsa_user_sgpr_count 6
		.amdhsa_user_sgpr_private_segment_buffer 1
		.amdhsa_user_sgpr_dispatch_ptr 0
		.amdhsa_user_sgpr_queue_ptr 0
		.amdhsa_user_sgpr_kernarg_segment_ptr 1
		.amdhsa_user_sgpr_dispatch_id 0
		.amdhsa_user_sgpr_flat_scratch_init 0
		.amdhsa_user_sgpr_kernarg_preload_length 0
		.amdhsa_user_sgpr_kernarg_preload_offset 0
		.amdhsa_user_sgpr_private_segment_size 0
		.amdhsa_uses_dynamic_stack 0
		.amdhsa_system_sgpr_private_segment_wavefront_offset 0
		.amdhsa_system_sgpr_workgroup_id_x 1
		.amdhsa_system_sgpr_workgroup_id_y 1
		.amdhsa_system_sgpr_workgroup_id_z 1
		.amdhsa_system_sgpr_workgroup_info 0
		.amdhsa_system_vgpr_workitem_id 1
		.amdhsa_next_free_vgpr 56
		.amdhsa_next_free_sgpr 52
		.amdhsa_accum_offset 56
		.amdhsa_reserve_vcc 1
		.amdhsa_reserve_flat_scratch 0
		.amdhsa_float_round_mode_32 0
		.amdhsa_float_round_mode_16_64 0
		.amdhsa_float_denorm_mode_32 3
		.amdhsa_float_denorm_mode_16_64 3
		.amdhsa_dx10_clamp 1
		.amdhsa_ieee_mode 1
		.amdhsa_fp16_overflow 0
		.amdhsa_tg_split 0
		.amdhsa_exception_fp_ieee_invalid_op 0
		.amdhsa_exception_fp_denorm_src 0
		.amdhsa_exception_fp_ieee_div_zero 0
		.amdhsa_exception_fp_ieee_overflow 0
		.amdhsa_exception_fp_ieee_underflow 0
		.amdhsa_exception_fp_ieee_inexact 0
		.amdhsa_exception_int_div_zero 0
	.end_amdhsa_kernel
	.section	.text._ZN12_GLOBAL__N_127rocblas_gemm_batched_kernelI19rocblas_complex_numIdELi16ELi16ELi32ELi32ELi8ELi32ELi8ELi8ELi32ELc84ELc67EKPKS2_S5_KPS2_EEvlllT_PT11_llSA_llS8_PT12_llPT13_lli,"axG",@progbits,_ZN12_GLOBAL__N_127rocblas_gemm_batched_kernelI19rocblas_complex_numIdELi16ELi16ELi32ELi32ELi8ELi32ELi8ELi8ELi32ELc84ELc67EKPKS2_S5_KPS2_EEvlllT_PT11_llSA_llS8_PT12_llPT13_lli,comdat
.Lfunc_end280:
	.size	_ZN12_GLOBAL__N_127rocblas_gemm_batched_kernelI19rocblas_complex_numIdELi16ELi16ELi32ELi32ELi8ELi32ELi8ELi8ELi32ELc84ELc67EKPKS2_S5_KPS2_EEvlllT_PT11_llSA_llS8_PT12_llPT13_lli, .Lfunc_end280-_ZN12_GLOBAL__N_127rocblas_gemm_batched_kernelI19rocblas_complex_numIdELi16ELi16ELi32ELi32ELi8ELi32ELi8ELi8ELi32ELc84ELc67EKPKS2_S5_KPS2_EEvlllT_PT11_llSA_llS8_PT12_llPT13_lli
                                        ; -- End function
	.section	.AMDGPU.csdata,"",@progbits
; Kernel info:
; codeLenInByte = 3304
; NumSgprs: 56
; NumVgprs: 56
; NumAgprs: 0
; TotalNumVgprs: 56
; ScratchSize: 0
; MemoryBound: 0
; FloatMode: 240
; IeeeMode: 1
; LDSByteSize: 8192 bytes/workgroup (compile time only)
; SGPRBlocks: 6
; VGPRBlocks: 6
; NumSGPRsForWavesPerEU: 56
; NumVGPRsForWavesPerEU: 56
; AccumOffset: 56
; Occupancy: 8
; WaveLimiterHint : 1
; COMPUTE_PGM_RSRC2:SCRATCH_EN: 0
; COMPUTE_PGM_RSRC2:USER_SGPR: 6
; COMPUTE_PGM_RSRC2:TRAP_HANDLER: 0
; COMPUTE_PGM_RSRC2:TGID_X_EN: 1
; COMPUTE_PGM_RSRC2:TGID_Y_EN: 1
; COMPUTE_PGM_RSRC2:TGID_Z_EN: 1
; COMPUTE_PGM_RSRC2:TIDIG_COMP_CNT: 1
; COMPUTE_PGM_RSRC3_GFX90A:ACCUM_OFFSET: 13
; COMPUTE_PGM_RSRC3_GFX90A:TG_SPLIT: 0
	.section	.text._ZN12_GLOBAL__N_135rocblas_gemm_batched_general_kernelI19rocblas_complex_numIdELi16ELi16ELi32ELi32ELi8ELi32ELi8ELi8ELi32ELc78ELc78EKPKS2_S5_KPS2_EEvlllT_PT11_llSA_llS8_PT12_llPT13_lli,"axG",@progbits,_ZN12_GLOBAL__N_135rocblas_gemm_batched_general_kernelI19rocblas_complex_numIdELi16ELi16ELi32ELi32ELi8ELi32ELi8ELi8ELi32ELc78ELc78EKPKS2_S5_KPS2_EEvlllT_PT11_llSA_llS8_PT12_llPT13_lli,comdat
	.globl	_ZN12_GLOBAL__N_135rocblas_gemm_batched_general_kernelI19rocblas_complex_numIdELi16ELi16ELi32ELi32ELi8ELi32ELi8ELi8ELi32ELc78ELc78EKPKS2_S5_KPS2_EEvlllT_PT11_llSA_llS8_PT12_llPT13_lli ; -- Begin function _ZN12_GLOBAL__N_135rocblas_gemm_batched_general_kernelI19rocblas_complex_numIdELi16ELi16ELi32ELi32ELi8ELi32ELi8ELi8ELi32ELc78ELc78EKPKS2_S5_KPS2_EEvlllT_PT11_llSA_llS8_PT12_llPT13_lli
	.p2align	8
	.type	_ZN12_GLOBAL__N_135rocblas_gemm_batched_general_kernelI19rocblas_complex_numIdELi16ELi16ELi32ELi32ELi8ELi32ELi8ELi8ELi32ELc78ELc78EKPKS2_S5_KPS2_EEvlllT_PT11_llSA_llS8_PT12_llPT13_lli,@function
_ZN12_GLOBAL__N_135rocblas_gemm_batched_general_kernelI19rocblas_complex_numIdELi16ELi16ELi32ELi32ELi8ELi32ELi8ELi8ELi32ELc78ELc78EKPKS2_S5_KPS2_EEvlllT_PT11_llSA_llS8_PT12_llPT13_lli: ; @_ZN12_GLOBAL__N_135rocblas_gemm_batched_general_kernelI19rocblas_complex_numIdELi16ELi16ELi32ELi32ELi8ELi32ELi8ELi8ELi32ELc78ELc78EKPKS2_S5_KPS2_EEvlllT_PT11_llSA_llS8_PT12_llPT13_lli
; %bb.0:
	s_load_dwordx16 s[36:51], s[4:5], 0x0
	s_load_dwordx16 s[12:27], s[4:5], 0x40
	s_load_dwordx2 s[34:35], s[4:5], 0x90
	s_load_dwordx4 s[28:31], s[4:5], 0x80
	s_mov_b32 s9, 0
	s_lshl_b64 s[0:1], s[8:9], 3
	s_waitcnt lgkmcnt(0)
	s_add_u32 s4, s22, s0
	s_addc_u32 s5, s23, s1
	s_load_dwordx2 s[8:9], s[4:5], 0x0
	s_add_u32 s4, s28, s0
	s_addc_u32 s5, s29, s1
	s_load_dwordx2 s[4:5], s[4:5], 0x0
	s_mov_b32 s2, s7
	s_ashr_i32 s3, s2, 31
	s_ashr_i32 s7, s6, 31
	s_lshl_b64 s[22:23], s[2:3], 5
	v_cmp_lt_i64_e64 s[2:3], s[40:41], 1
	v_pk_mov_b32 v[26:27], 0, 0
	v_and_b32_e32 v7, 0x3ff, v0
	v_bfe_u32 v9, v0, 10, 10
	s_lshl_b64 s[10:11], s[6:7], 5
	s_mov_b64 s[28:29], 0
	s_and_b64 vcc, exec, s[2:3]
	v_pk_mov_b32 v[28:29], v[26:27], v[26:27] op_sel:[0,1]
	v_pk_mov_b32 v[22:23], v[26:27], v[26:27] op_sel:[0,1]
	;; [unrolled: 1-line block ×7, first 2 shown]
	s_cbranch_vccnz .LBB281_11
; %bb.1:
	v_lshl_add_u32 v1, v9, 4, v7
	v_lshrrev_b32_e32 v10, 3, v1
	v_lshrrev_b32_e32 v6, 5, v1
	v_mov_b32_e32 v3, s23
	v_add_co_u32_e32 v2, vcc, s22, v10
	v_and_b32_e32 v1, 31, v1
	v_and_b32_e32 v8, 7, v7
	s_add_u32 s2, s12, s0
	v_addc_co_u32_e32 v3, vcc, 0, v3, vcc
	v_mov_b32_e32 v5, s11
	v_or_b32_e32 v4, s10, v1
	s_addc_u32 s3, s13, s1
	v_cmp_gt_i64_e32 vcc, s[36:37], v[4:5]
	v_lshlrev_b32_e32 v4, 4, v8
	s_add_u32 s0, s46, s0
	v_lshl_or_b32 v5, v10, 7, v4
	s_addc_u32 s1, s47, s1
	v_add_u32_e32 v31, 0x1000, v5
	v_mov_b32_e32 v5, 0x1000
	s_load_dwordx2 s[12:13], s[2:3], 0x0
	s_load_dwordx2 s[46:47], s[0:1], 0x0
	v_cmp_gt_i64_e64 s[0:1], s[38:39], v[2:3]
	v_lshl_add_u32 v33, v9, 7, v5
	v_mul_lo_u32 v5, s15, v2
	v_mul_lo_u32 v10, s14, v3
	v_mad_u64_u32 v[2:3], s[2:3], s14, v2, 0
	v_add3_u32 v3, v3, v10, v5
	v_lshlrev_b64 v[2:3], 4, v[2:3]
	s_lshl_b64 s[2:3], s[16:17], 4
	v_mov_b32_e32 v5, s3
	v_add_co_u32_e64 v2, s[2:3], s2, v2
	v_addc_co_u32_e64 v3, s[2:3], v3, v5, s[2:3]
	v_add_co_u32_e64 v2, s[2:3], v2, v4
	v_addc_co_u32_e64 v3, s[2:3], 0, v3, s[2:3]
	s_waitcnt lgkmcnt(0)
	v_mov_b32_e32 v4, s13
	v_add_co_u32_e64 v10, s[2:3], s12, v2
	v_addc_co_u32_e64 v11, s[2:3], v4, v3, s[2:3]
	v_mad_u64_u32 v[2:3], s[2:3], s48, v6, 0
	v_mov_b32_e32 v4, v3
	v_mad_u64_u32 v[4:5], s[2:3], s49, v6, v[4:5]
	s_lshl_b64 s[2:3], s[6:7], 9
	s_lshl_b64 s[6:7], s[50:51], 4
	v_mov_b32_e32 v3, v4
	s_add_u32 s2, s6, s2
	v_lshlrev_b64 v[2:3], 4, v[2:3]
	s_addc_u32 s3, s7, s3
	v_mov_b32_e32 v4, s3
	v_add_co_u32_e64 v2, s[2:3], s2, v2
	v_lshlrev_b32_e32 v1, 4, v1
	v_addc_co_u32_e64 v3, s[2:3], v4, v3, s[2:3]
	v_lshl_or_b32 v30, v6, 9, v1
	v_add_co_u32_e64 v1, s[2:3], v2, v1
	v_addc_co_u32_e64 v2, s[2:3], 0, v3, s[2:3]
	v_mov_b32_e32 v3, s47
	v_add_co_u32_e64 v12, s[2:3], s46, v1
	v_addc_co_u32_e64 v13, s[2:3], v3, v2, s[2:3]
	v_pk_mov_b32 v[14:15], 0, 0
	v_mov_b32_e32 v0, 0
	v_lshlrev_b32_e32 v32, 4, v7
	s_lshl_b64 s[2:3], s[48:49], 7
	s_xor_b64 s[6:7], vcc, -1
	s_xor_b64 s[0:1], s[0:1], -1
	v_pk_mov_b32 v[16:17], v[14:15], v[14:15] op_sel:[0,1]
	v_pk_mov_b32 v[20:21], v[14:15], v[14:15] op_sel:[0,1]
	;; [unrolled: 1-line block ×7, first 2 shown]
	s_branch .LBB281_3
.LBB281_2:                              ;   in Loop: Header=BB281_3 Depth=1
	s_or_b64 exec, exec, s[12:13]
	s_waitcnt lgkmcnt(0)
	s_barrier
	ds_read_b128 v[34:37], v32
	ds_read_b128 v[38:41], v33
	ds_read_b128 v[42:45], v33 offset:16
	ds_read_b128 v[46:49], v33 offset:32
	;; [unrolled: 1-line block ×4, first 2 shown]
	s_waitcnt lgkmcnt(4)
	v_mul_f64 v[54:55], v[40:41], v[36:37]
	v_fma_f64 v[54:55], v[38:39], v[34:35], -v[54:55]
	v_mul_f64 v[56:57], v[38:39], v[36:37]
	v_fmac_f64_e32 v[56:57], v[40:41], v[34:35]
	v_add_f64 v[54:55], v[26:27], v[54:55]
	s_waitcnt lgkmcnt(0)
	v_mul_f64 v[26:27], v[40:41], v[52:53]
	v_add_f64 v[56:57], v[28:29], v[56:57]
	v_fma_f64 v[58:59], v[38:39], v[50:51], -v[26:27]
	ds_read_b128 v[26:29], v33 offset:2048
	v_mul_f64 v[38:39], v[38:39], v[52:53]
	v_fmac_f64_e32 v[38:39], v[40:41], v[50:51]
	v_add_f64 v[40:41], v[22:23], v[58:59]
	v_add_f64 v[38:39], v[24:25], v[38:39]
	ds_read_b128 v[22:25], v33 offset:2064
	s_waitcnt lgkmcnt(1)
	v_mul_f64 v[58:59], v[28:29], v[36:37]
	v_fma_f64 v[58:59], v[26:27], v[34:35], -v[58:59]
	v_mul_f64 v[36:37], v[26:27], v[36:37]
	v_fmac_f64_e32 v[36:37], v[28:29], v[34:35]
	v_add_f64 v[34:35], v[18:19], v[58:59]
	v_mul_f64 v[18:19], v[28:29], v[52:53]
	v_add_f64 v[36:37], v[20:21], v[36:37]
	v_fma_f64 v[58:59], v[26:27], v[50:51], -v[18:19]
	v_mul_f64 v[26:27], v[26:27], v[52:53]
	ds_read_b128 v[18:21], v32 offset:512
	v_fmac_f64_e32 v[26:27], v[28:29], v[50:51]
	v_add_f64 v[28:29], v[16:17], v[58:59]
	v_add_f64 v[26:27], v[14:15], v[26:27]
	ds_read_b128 v[14:17], v32 offset:768
	s_waitcnt lgkmcnt(1)
	v_mul_f64 v[50:51], v[44:45], v[20:21]
	v_fma_f64 v[50:51], v[42:43], v[18:19], -v[50:51]
	v_add_f64 v[50:51], v[54:55], v[50:51]
	v_mul_f64 v[52:53], v[42:43], v[20:21]
	s_waitcnt lgkmcnt(0)
	v_mul_f64 v[54:55], v[44:45], v[16:17]
	v_fma_f64 v[54:55], v[42:43], v[14:15], -v[54:55]
	v_mul_f64 v[42:43], v[42:43], v[16:17]
	v_fmac_f64_e32 v[42:43], v[44:45], v[14:15]
	v_add_f64 v[38:39], v[38:39], v[42:43]
	v_mul_f64 v[42:43], v[24:25], v[20:21]
	v_mul_f64 v[20:21], v[22:23], v[20:21]
	v_fmac_f64_e32 v[52:53], v[44:45], v[18:19]
	v_fma_f64 v[42:43], v[22:23], v[18:19], -v[42:43]
	v_fmac_f64_e32 v[20:21], v[24:25], v[18:19]
	v_mul_f64 v[18:19], v[24:25], v[16:17]
	v_add_f64 v[44:45], v[36:37], v[20:21]
	v_fma_f64 v[20:21], v[22:23], v[14:15], -v[18:19]
	v_mul_f64 v[22:23], v[22:23], v[16:17]
	ds_read_b128 v[16:19], v32 offset:1024
	v_fmac_f64_e32 v[22:23], v[24:25], v[14:15]
	v_add_f64 v[40:41], v[40:41], v[54:55]
	v_add_f64 v[28:29], v[28:29], v[20:21]
	;; [unrolled: 1-line block ×3, first 2 shown]
	ds_read_b128 v[20:23], v32 offset:1280
	s_waitcnt lgkmcnt(1)
	v_mul_f64 v[24:25], v[46:47], v[18:19]
	v_add_f64 v[52:53], v[56:57], v[52:53]
	v_fmac_f64_e32 v[24:25], v[48:49], v[16:17]
	v_add_f64 v[52:53], v[52:53], v[24:25]
	ds_read_b128 v[24:27], v33 offset:2080
	v_mul_f64 v[14:15], v[48:49], v[18:19]
	v_fma_f64 v[14:15], v[46:47], v[16:17], -v[14:15]
	v_add_f64 v[42:43], v[34:35], v[42:43]
	v_add_f64 v[50:51], v[50:51], v[14:15]
	s_waitcnt lgkmcnt(1)
	v_mul_f64 v[14:15], v[48:49], v[22:23]
	v_mul_f64 v[34:35], v[46:47], v[22:23]
	v_fma_f64 v[14:15], v[46:47], v[20:21], -v[14:15]
	v_fmac_f64_e32 v[34:35], v[48:49], v[20:21]
	v_add_f64 v[40:41], v[40:41], v[14:15]
	v_add_f64 v[38:39], v[38:39], v[34:35]
	ds_read_b128 v[34:37], v33 offset:2096
	s_waitcnt lgkmcnt(1)
	v_mul_f64 v[14:15], v[26:27], v[18:19]
	v_fma_f64 v[14:15], v[24:25], v[16:17], -v[14:15]
	v_mul_f64 v[18:19], v[24:25], v[18:19]
	v_fmac_f64_e32 v[18:19], v[26:27], v[16:17]
	v_add_f64 v[42:43], v[42:43], v[14:15]
	v_mul_f64 v[14:15], v[26:27], v[22:23]
	v_add_f64 v[44:45], v[44:45], v[18:19]
	v_fma_f64 v[18:19], v[24:25], v[20:21], -v[14:15]
	v_mul_f64 v[22:23], v[24:25], v[22:23]
	ds_read_b128 v[14:17], v32 offset:1536
	v_fmac_f64_e32 v[22:23], v[26:27], v[20:21]
	v_add_f64 v[24:25], v[28:29], v[18:19]
	ds_read_b128 v[18:21], v32 offset:1792
	v_add_f64 v[22:23], v[54:55], v[22:23]
	s_waitcnt lgkmcnt(1)
	v_mul_f64 v[26:27], v[4:5], v[16:17]
	v_fma_f64 v[26:27], v[2:3], v[14:15], -v[26:27]
	v_mul_f64 v[28:29], v[2:3], v[16:17]
	s_waitcnt lgkmcnt(0)
	v_mul_f64 v[46:47], v[4:5], v[20:21]
	v_fma_f64 v[46:47], v[2:3], v[18:19], -v[46:47]
	v_mul_f64 v[2:3], v[2:3], v[20:21]
	v_fmac_f64_e32 v[2:3], v[4:5], v[18:19]
	v_add_f64 v[38:39], v[38:39], v[2:3]
	v_mul_f64 v[2:3], v[36:37], v[16:17]
	v_fmac_f64_e32 v[28:29], v[4:5], v[14:15]
	v_fma_f64 v[2:3], v[34:35], v[14:15], -v[2:3]
	v_mul_f64 v[4:5], v[34:35], v[16:17]
	v_fmac_f64_e32 v[4:5], v[36:37], v[14:15]
	v_add_f64 v[42:43], v[42:43], v[2:3]
	v_mul_f64 v[2:3], v[36:37], v[20:21]
	v_add_f64 v[40:41], v[40:41], v[46:47]
	v_add_f64 v[44:45], v[44:45], v[4:5]
	v_fma_f64 v[46:47], v[34:35], v[18:19], -v[2:3]
	ds_read_b128 v[2:5], v33 offset:64
	ds_read_b128 v[14:17], v32 offset:2048
	v_mul_f64 v[20:21], v[34:35], v[20:21]
	v_fmac_f64_e32 v[20:21], v[36:37], v[18:19]
	v_add_f64 v[34:35], v[24:25], v[46:47]
	v_add_f64 v[36:37], v[22:23], v[20:21]
	ds_read_b128 v[18:21], v32 offset:2304
	ds_read_b128 v[22:25], v33 offset:80
	s_waitcnt lgkmcnt(2)
	v_mul_f64 v[46:47], v[4:5], v[16:17]
	v_add_f64 v[26:27], v[50:51], v[26:27]
	v_fma_f64 v[46:47], v[2:3], v[14:15], -v[46:47]
	v_mul_f64 v[48:49], v[2:3], v[16:17]
	v_add_f64 v[28:29], v[52:53], v[28:29]
	v_fmac_f64_e32 v[48:49], v[4:5], v[14:15]
	v_add_f64 v[46:47], v[26:27], v[46:47]
	s_waitcnt lgkmcnt(1)
	v_mul_f64 v[26:27], v[4:5], v[20:21]
	v_add_f64 v[48:49], v[28:29], v[48:49]
	v_fma_f64 v[50:51], v[2:3], v[18:19], -v[26:27]
	ds_read_b128 v[26:29], v33 offset:2112
	v_mul_f64 v[2:3], v[2:3], v[20:21]
	v_fmac_f64_e32 v[2:3], v[4:5], v[18:19]
	v_add_f64 v[40:41], v[40:41], v[50:51]
	v_add_f64 v[38:39], v[38:39], v[2:3]
	ds_read_b128 v[2:5], v33 offset:2128
	s_waitcnt lgkmcnt(1)
	v_mul_f64 v[50:51], v[28:29], v[16:17]
	v_mul_f64 v[16:17], v[26:27], v[16:17]
	v_fma_f64 v[50:51], v[26:27], v[14:15], -v[50:51]
	v_fmac_f64_e32 v[16:17], v[28:29], v[14:15]
	v_mul_f64 v[14:15], v[28:29], v[20:21]
	v_add_f64 v[42:43], v[42:43], v[50:51]
	v_add_f64 v[44:45], v[44:45], v[16:17]
	v_fma_f64 v[50:51], v[26:27], v[18:19], -v[14:15]
	v_mul_f64 v[20:21], v[26:27], v[20:21]
	ds_read_b128 v[14:17], v32 offset:2560
	v_fmac_f64_e32 v[20:21], v[28:29], v[18:19]
	v_add_f64 v[28:29], v[36:37], v[20:21]
	ds_read_b128 v[18:21], v32 offset:2816
	v_add_f64 v[26:27], v[34:35], v[50:51]
	s_waitcnt lgkmcnt(1)
	v_mul_f64 v[34:35], v[24:25], v[16:17]
	v_fma_f64 v[34:35], v[22:23], v[14:15], -v[34:35]
	v_add_f64 v[34:35], v[46:47], v[34:35]
	s_waitcnt lgkmcnt(0)
	v_mul_f64 v[46:47], v[24:25], v[20:21]
	v_mul_f64 v[36:37], v[22:23], v[16:17]
	v_fma_f64 v[46:47], v[22:23], v[18:19], -v[46:47]
	v_mul_f64 v[22:23], v[22:23], v[20:21]
	v_fmac_f64_e32 v[22:23], v[24:25], v[18:19]
	v_add_f64 v[38:39], v[38:39], v[22:23]
	v_mul_f64 v[22:23], v[4:5], v[16:17]
	v_mul_f64 v[16:17], v[2:3], v[16:17]
	v_fmac_f64_e32 v[36:37], v[24:25], v[14:15]
	v_fma_f64 v[22:23], v[2:3], v[14:15], -v[22:23]
	v_fmac_f64_e32 v[16:17], v[4:5], v[14:15]
	v_mul_f64 v[14:15], v[4:5], v[20:21]
	v_mul_f64 v[20:21], v[2:3], v[20:21]
	v_add_f64 v[42:43], v[42:43], v[22:23]
	v_add_f64 v[44:45], v[44:45], v[16:17]
	v_fma_f64 v[22:23], v[2:3], v[18:19], -v[14:15]
	v_fmac_f64_e32 v[20:21], v[4:5], v[18:19]
	ds_read_b128 v[2:5], v33 offset:96
	ds_read_b128 v[14:17], v32 offset:3072
	v_add_f64 v[36:37], v[48:49], v[36:37]
	v_add_f64 v[40:41], v[40:41], v[46:47]
	;; [unrolled: 1-line block ×4, first 2 shown]
	ds_read_b128 v[18:21], v32 offset:3328
	ds_read_b128 v[22:25], v33 offset:112
	s_waitcnt lgkmcnt(2)
	v_mul_f64 v[26:27], v[4:5], v[16:17]
	v_fma_f64 v[26:27], v[2:3], v[14:15], -v[26:27]
	v_mul_f64 v[28:29], v[2:3], v[16:17]
	v_fmac_f64_e32 v[28:29], v[4:5], v[14:15]
	v_add_f64 v[50:51], v[34:35], v[26:27]
	s_waitcnt lgkmcnt(1)
	v_mul_f64 v[26:27], v[4:5], v[20:21]
	v_add_f64 v[52:53], v[36:37], v[28:29]
	v_fma_f64 v[34:35], v[2:3], v[18:19], -v[26:27]
	ds_read_b128 v[26:29], v33 offset:2144
	v_mul_f64 v[2:3], v[2:3], v[20:21]
	v_fmac_f64_e32 v[2:3], v[4:5], v[18:19]
	v_add_f64 v[40:41], v[40:41], v[34:35]
	v_add_f64 v[38:39], v[38:39], v[2:3]
	ds_read_b128 v[2:5], v33 offset:2160
	s_waitcnt lgkmcnt(1)
	v_mul_f64 v[34:35], v[28:29], v[16:17]
	v_mul_f64 v[16:17], v[26:27], v[16:17]
	v_fma_f64 v[34:35], v[26:27], v[14:15], -v[34:35]
	v_fmac_f64_e32 v[16:17], v[28:29], v[14:15]
	v_mul_f64 v[14:15], v[28:29], v[20:21]
	v_add_f64 v[42:43], v[42:43], v[34:35]
	v_add_f64 v[44:45], v[44:45], v[16:17]
	v_fma_f64 v[34:35], v[26:27], v[18:19], -v[14:15]
	ds_read_b128 v[14:17], v32 offset:3584
	v_add_f64 v[46:47], v[46:47], v[34:35]
	ds_read_b128 v[34:37], v32 offset:3840
	v_mul_f64 v[20:21], v[26:27], v[20:21]
	v_fmac_f64_e32 v[20:21], v[28:29], v[18:19]
	s_waitcnt lgkmcnt(1)
	v_mul_f64 v[18:19], v[24:25], v[16:17]
	v_fma_f64 v[18:19], v[22:23], v[14:15], -v[18:19]
	v_add_f64 v[48:49], v[48:49], v[20:21]
	v_mul_f64 v[20:21], v[22:23], v[16:17]
	v_add_f64 v[26:27], v[50:51], v[18:19]
	s_waitcnt lgkmcnt(0)
	v_mul_f64 v[18:19], v[24:25], v[36:37]
	v_fmac_f64_e32 v[20:21], v[24:25], v[14:15]
	v_fma_f64 v[18:19], v[22:23], v[34:35], -v[18:19]
	v_add_f64 v[28:29], v[52:53], v[20:21]
	v_mul_f64 v[20:21], v[22:23], v[36:37]
	v_add_f64 v[22:23], v[40:41], v[18:19]
	v_mul_f64 v[18:19], v[4:5], v[16:17]
	v_mul_f64 v[16:17], v[2:3], v[16:17]
	v_fma_f64 v[18:19], v[2:3], v[14:15], -v[18:19]
	v_fmac_f64_e32 v[16:17], v[4:5], v[14:15]
	v_mul_f64 v[14:15], v[4:5], v[36:37]
	v_add_co_u32_e32 v10, vcc, 0x80, v10
	v_fma_f64 v[14:15], v[2:3], v[34:35], -v[14:15]
	v_mul_f64 v[2:3], v[2:3], v[36:37]
	v_addc_co_u32_e32 v11, vcc, 0, v11, vcc
	v_fmac_f64_e32 v[20:21], v[24:25], v[34:35]
	v_fmac_f64_e32 v[2:3], v[4:5], v[34:35]
	s_add_u32 s28, s28, 8
	v_mov_b32_e32 v1, s3
	v_add_co_u32_e32 v12, vcc, s2, v12
	v_add_f64 v[24:25], v[38:39], v[20:21]
	v_add_f64 v[20:21], v[44:45], v[16:17]
	;; [unrolled: 1-line block ×4, first 2 shown]
	s_addc_u32 s29, s29, 0
	v_addc_co_u32_e32 v13, vcc, v13, v1, vcc
	v_pk_mov_b32 v[2:3], s[40:41], s[40:41] op_sel:[0,1]
	v_cmp_lt_i64_e32 vcc, s[28:29], v[2:3]
	v_add_f64 v[18:19], v[42:43], v[18:19]
	s_barrier
	s_cbranch_vccz .LBB281_11
.LBB281_3:                              ; =>This Inner Loop Header: Depth=1
	v_mov_b32_e32 v1, s29
	v_add_co_u32_e32 v2, vcc, s28, v6
	v_addc_co_u32_e32 v3, vcc, 0, v1, vcc
	v_cmp_le_i64_e32 vcc, s[40:41], v[2:3]
	s_or_b64 s[12:13], s[6:7], vcc
	s_and_saveexec_b64 s[14:15], s[12:13]
	s_xor_b64 s[12:13], exec, s[14:15]
	s_cbranch_execz .LBB281_5
; %bb.4:                                ;   in Loop: Header=BB281_3 Depth=1
	v_mov_b32_e32 v1, v0
	v_mov_b32_e32 v2, v0
	;; [unrolled: 1-line block ×3, first 2 shown]
	ds_write_b128 v30, v[0:3]
.LBB281_5:                              ;   in Loop: Header=BB281_3 Depth=1
	s_andn2_saveexec_b64 s[12:13], s[12:13]
	s_cbranch_execz .LBB281_7
; %bb.6:                                ;   in Loop: Header=BB281_3 Depth=1
	global_load_dwordx4 v[2:5], v[12:13], off
	s_waitcnt vmcnt(0)
	ds_write2_b64 v30, v[2:3], v[4:5] offset1:1
.LBB281_7:                              ;   in Loop: Header=BB281_3 Depth=1
	s_or_b64 exec, exec, s[12:13]
	v_mov_b32_e32 v1, s29
	v_add_co_u32_e32 v2, vcc, s28, v8
	v_addc_co_u32_e32 v3, vcc, 0, v1, vcc
	v_cmp_le_i64_e32 vcc, s[40:41], v[2:3]
	s_or_b64 s[12:13], vcc, s[0:1]
	s_and_saveexec_b64 s[14:15], s[12:13]
	s_xor_b64 s[12:13], exec, s[14:15]
	s_cbranch_execz .LBB281_9
; %bb.8:                                ;   in Loop: Header=BB281_3 Depth=1
	v_mov_b32_e32 v1, v0
	v_mov_b32_e32 v2, v0
	;; [unrolled: 1-line block ×3, first 2 shown]
	ds_write_b128 v31, v[0:3]
.LBB281_9:                              ;   in Loop: Header=BB281_3 Depth=1
	s_andn2_saveexec_b64 s[12:13], s[12:13]
	s_cbranch_execz .LBB281_2
; %bb.10:                               ;   in Loop: Header=BB281_3 Depth=1
	global_load_dwordx4 v[2:5], v[10:11], off
	s_waitcnt vmcnt(0)
	ds_write2_b64 v31, v[2:3], v[4:5] offset1:1
	s_branch .LBB281_2
.LBB281_11:
	s_lshl_b64 s[0:1], s[34:35], 4
	s_waitcnt lgkmcnt(0)
	s_add_u32 s14, s4, s0
	s_addc_u32 s15, s5, s1
	v_mov_b32_e32 v1, s23
	v_add_co_u32_e32 v0, vcc, s22, v9
	v_cmp_neq_f64_e64 s[0:1], s[18:19], 0
	v_cmp_neq_f64_e64 s[2:3], s[20:21], 0
	v_addc_co_u32_e32 v1, vcc, 0, v1, vcc
	s_or_b64 s[4:5], s[0:1], s[2:3]
	v_cmp_gt_i64_e64 s[0:1], s[38:39], v[0:1]
	s_mov_b64 s[2:3], -1
	s_and_b64 vcc, exec, s[4:5]
	s_cbranch_vccnz .LBB281_23
; %bb.12:
	s_and_saveexec_b64 s[6:7], s[0:1]
	s_cbranch_execz .LBB281_22
; %bb.13:
	v_mov_b32_e32 v2, s11
	v_add_co_u32_e32 v4, vcc, s10, v7
	v_addc_co_u32_e32 v5, vcc, 0, v2, vcc
	v_mul_lo_u32 v6, v1, s30
	v_mul_lo_u32 v8, v0, s31
	v_mad_u64_u32 v[2:3], s[2:3], v0, s30, 0
	v_add3_u32 v3, v3, v8, v6
	v_lshlrev_b64 v[2:3], 4, v[2:3]
	v_mov_b32_e32 v8, s15
	v_add_co_u32_e64 v6, s[2:3], s14, v2
	v_cmp_gt_i64_e32 vcc, s[36:37], v[4:5]
	v_addc_co_u32_e64 v8, s[2:3], v8, v3, s[2:3]
	v_lshlrev_b64 v[2:3], 4, v[4:5]
	s_and_saveexec_b64 s[4:5], vcc
	s_cbranch_execz .LBB281_15
; %bb.14:
	v_mul_f64 v[10:11], s[44:45], v[28:29]
	v_mul_f64 v[12:13], s[42:43], v[28:29]
	v_add_co_u32_e64 v30, s[2:3], v6, v2
	v_fma_f64 v[10:11], s[42:43], v[26:27], -v[10:11]
	v_fmac_f64_e32 v[12:13], s[44:45], v[26:27]
	v_addc_co_u32_e64 v31, s[2:3], v8, v3, s[2:3]
	global_store_dwordx4 v[30:31], v[10:13], off
.LBB281_15:
	s_or_b64 exec, exec, s[4:5]
	v_add_co_u32_e64 v4, s[2:3], 16, v4
	v_addc_co_u32_e64 v5, s[2:3], 0, v5, s[2:3]
	v_cmp_gt_i64_e64 s[2:3], s[36:37], v[4:5]
	s_and_saveexec_b64 s[12:13], s[2:3]
	s_cbranch_execz .LBB281_17
; %bb.16:
	v_mul_f64 v[4:5], s[44:45], v[24:25]
	v_fma_f64 v[10:11], s[42:43], v[22:23], -v[4:5]
	v_mul_f64 v[12:13], s[42:43], v[24:25]
	v_add_co_u32_e64 v4, s[4:5], v6, v2
	v_fmac_f64_e32 v[12:13], s[44:45], v[22:23]
	v_addc_co_u32_e64 v5, s[4:5], v8, v3, s[4:5]
	global_store_dwordx4 v[4:5], v[10:13], off offset:256
.LBB281_17:
	s_or_b64 exec, exec, s[12:13]
	v_add_co_u32_e64 v4, s[4:5], 16, v0
	v_addc_co_u32_e64 v5, s[4:5], 0, v1, s[4:5]
	v_cmp_gt_i64_e64 s[4:5], s[38:39], v[4:5]
	s_and_b64 exec, exec, s[4:5]
	s_cbranch_execz .LBB281_22
; %bb.18:
	s_lshl_b64 s[4:5], s[30:31], 8
	v_mov_b32_e32 v4, s5
	v_add_co_u32_e64 v5, s[4:5], s4, v6
	v_addc_co_u32_e64 v4, s[4:5], v8, v4, s[4:5]
	v_add_co_u32_e64 v2, s[4:5], v5, v2
	v_addc_co_u32_e64 v3, s[4:5], v4, v3, s[4:5]
	s_and_saveexec_b64 s[4:5], vcc
	s_cbranch_execz .LBB281_20
; %bb.19:
	v_mul_f64 v[4:5], s[44:45], v[20:21]
	v_mul_f64 v[10:11], s[42:43], v[20:21]
	v_fma_f64 v[8:9], s[42:43], v[18:19], -v[4:5]
	v_fmac_f64_e32 v[10:11], s[44:45], v[18:19]
	global_store_dwordx4 v[2:3], v[8:11], off
.LBB281_20:
	s_or_b64 exec, exec, s[4:5]
	s_and_b64 exec, exec, s[2:3]
	s_cbranch_execz .LBB281_22
; %bb.21:
	v_mul_f64 v[4:5], s[44:45], v[14:15]
	v_mul_f64 v[10:11], s[42:43], v[14:15]
	v_fma_f64 v[8:9], s[42:43], v[16:17], -v[4:5]
	v_fmac_f64_e32 v[10:11], s[44:45], v[16:17]
	global_store_dwordx4 v[2:3], v[8:11], off offset:256
.LBB281_22:
	s_or_b64 exec, exec, s[6:7]
	s_mov_b64 s[2:3], 0
.LBB281_23:
	s_andn2_b64 vcc, exec, s[2:3]
	s_cbranch_vccnz .LBB281_34
; %bb.24:
	s_and_saveexec_b64 s[2:3], s[0:1]
	s_cbranch_execz .LBB281_34
; %bb.25:
	s_lshl_b64 s[0:1], s[26:27], 4
	s_add_u32 s2, s8, s0
	v_mov_b32_e32 v2, s11
	v_add_co_u32_e32 v4, vcc, s10, v7
	s_addc_u32 s3, s9, s1
	v_addc_co_u32_e32 v5, vcc, 0, v2, vcc
	v_mul_lo_u32 v6, v1, s24
	v_mul_lo_u32 v7, v0, s25
	v_mad_u64_u32 v[2:3], s[0:1], v0, s24, 0
	v_add3_u32 v3, v3, v7, v6
	v_mul_lo_u32 v6, v1, s30
	v_mul_lo_u32 v7, v0, s31
	v_mad_u64_u32 v[8:9], s[0:1], v0, s30, 0
	v_lshlrev_b64 v[2:3], 4, v[2:3]
	v_add3_u32 v9, v9, v7, v6
	v_mov_b32_e32 v7, s3
	v_add_co_u32_e64 v6, s[0:1], s2, v2
	v_addc_co_u32_e64 v7, s[0:1], v7, v3, s[0:1]
	v_lshlrev_b64 v[2:3], 4, v[8:9]
	v_mov_b32_e32 v9, s15
	v_add_co_u32_e64 v8, s[0:1], s14, v2
	v_cmp_gt_i64_e32 vcc, s[36:37], v[4:5]
	v_addc_co_u32_e64 v9, s[0:1], v9, v3, s[0:1]
	v_lshlrev_b64 v[2:3], 4, v[4:5]
	s_and_saveexec_b64 s[2:3], vcc
	s_cbranch_execz .LBB281_27
; %bb.26:
	v_add_co_u32_e64 v10, s[0:1], v6, v2
	v_addc_co_u32_e64 v11, s[0:1], v7, v3, s[0:1]
	global_load_dwordx4 v[10:13], v[10:11], off
	v_mul_f64 v[30:31], s[44:45], v[28:29]
	v_mul_f64 v[28:29], s[42:43], v[28:29]
	v_fma_f64 v[30:31], s[42:43], v[26:27], -v[30:31]
	v_fmac_f64_e32 v[28:29], s[44:45], v[26:27]
	s_waitcnt vmcnt(0)
	v_mul_f64 v[26:27], s[20:21], v[12:13]
	v_mul_f64 v[12:13], s[18:19], v[12:13]
	v_fma_f64 v[26:27], s[18:19], v[10:11], -v[26:27]
	v_fmac_f64_e32 v[12:13], s[20:21], v[10:11]
	v_add_f64 v[10:11], v[30:31], v[26:27]
	v_add_co_u32_e64 v26, s[0:1], v8, v2
	v_add_f64 v[12:13], v[28:29], v[12:13]
	v_addc_co_u32_e64 v27, s[0:1], v9, v3, s[0:1]
	global_store_dwordx4 v[26:27], v[10:13], off
.LBB281_27:
	s_or_b64 exec, exec, s[2:3]
	v_add_co_u32_e64 v4, s[0:1], 16, v4
	v_addc_co_u32_e64 v5, s[0:1], 0, v5, s[0:1]
	v_cmp_gt_i64_e64 s[0:1], s[36:37], v[4:5]
	s_and_saveexec_b64 s[4:5], s[0:1]
	s_cbranch_execz .LBB281_29
; %bb.28:
	v_add_co_u32_e64 v4, s[2:3], v6, v2
	v_addc_co_u32_e64 v5, s[2:3], v7, v3, s[2:3]
	global_load_dwordx4 v[10:13], v[4:5], off offset:256
	v_mul_f64 v[4:5], s[44:45], v[24:25]
	v_mul_f64 v[24:25], s[42:43], v[24:25]
	v_fma_f64 v[4:5], s[42:43], v[22:23], -v[4:5]
	v_fmac_f64_e32 v[24:25], s[44:45], v[22:23]
	s_waitcnt vmcnt(0)
	v_mul_f64 v[22:23], s[20:21], v[12:13]
	v_mul_f64 v[12:13], s[18:19], v[12:13]
	v_fma_f64 v[22:23], s[18:19], v[10:11], -v[22:23]
	v_fmac_f64_e32 v[12:13], s[20:21], v[10:11]
	v_add_f64 v[10:11], v[4:5], v[22:23]
	v_add_co_u32_e64 v4, s[2:3], v8, v2
	v_add_f64 v[12:13], v[24:25], v[12:13]
	v_addc_co_u32_e64 v5, s[2:3], v9, v3, s[2:3]
	global_store_dwordx4 v[4:5], v[10:13], off offset:256
.LBB281_29:
	s_or_b64 exec, exec, s[4:5]
	v_add_co_u32_e64 v0, s[2:3], 16, v0
	v_addc_co_u32_e64 v1, s[2:3], 0, v1, s[2:3]
	v_cmp_gt_i64_e64 s[2:3], s[38:39], v[0:1]
	s_and_b64 exec, exec, s[2:3]
	s_cbranch_execz .LBB281_34
; %bb.30:
	s_lshl_b64 s[2:3], s[24:25], 8
	v_mov_b32_e32 v0, s3
	v_add_co_u32_e64 v1, s[2:3], s2, v6
	v_addc_co_u32_e64 v0, s[2:3], v7, v0, s[2:3]
	s_lshl_b64 s[2:3], s[30:31], 8
	v_mov_b32_e32 v4, s3
	v_add_co_u32_e64 v6, s[2:3], s2, v8
	v_addc_co_u32_e64 v7, s[2:3], v9, v4, s[2:3]
	v_add_co_u32_e64 v4, s[2:3], v1, v2
	v_addc_co_u32_e64 v5, s[2:3], v0, v3, s[2:3]
	;; [unrolled: 2-line block ×3, first 2 shown]
	s_and_saveexec_b64 s[2:3], vcc
	s_cbranch_execz .LBB281_32
; %bb.31:
	global_load_dwordx4 v[6:9], v[4:5], off
	v_mul_f64 v[2:3], s[44:45], v[20:21]
	v_mul_f64 v[10:11], s[42:43], v[20:21]
	v_fma_f64 v[2:3], s[42:43], v[18:19], -v[2:3]
	v_fmac_f64_e32 v[10:11], s[44:45], v[18:19]
	s_waitcnt vmcnt(0)
	v_mul_f64 v[12:13], s[20:21], v[8:9]
	v_mul_f64 v[8:9], s[18:19], v[8:9]
	v_fma_f64 v[12:13], s[18:19], v[6:7], -v[12:13]
	v_fmac_f64_e32 v[8:9], s[20:21], v[6:7]
	v_add_f64 v[6:7], v[2:3], v[12:13]
	v_add_f64 v[8:9], v[10:11], v[8:9]
	global_store_dwordx4 v[0:1], v[6:9], off
.LBB281_32:
	s_or_b64 exec, exec, s[2:3]
	s_and_b64 exec, exec, s[0:1]
	s_cbranch_execz .LBB281_34
; %bb.33:
	global_load_dwordx4 v[2:5], v[4:5], off offset:256
	v_mul_f64 v[6:7], s[44:45], v[14:15]
	v_mul_f64 v[8:9], s[42:43], v[14:15]
	v_fma_f64 v[6:7], s[42:43], v[16:17], -v[6:7]
	v_fmac_f64_e32 v[8:9], s[44:45], v[16:17]
	s_waitcnt vmcnt(0)
	v_mul_f64 v[10:11], s[20:21], v[4:5]
	v_mul_f64 v[4:5], s[18:19], v[4:5]
	v_fma_f64 v[10:11], s[18:19], v[2:3], -v[10:11]
	v_fmac_f64_e32 v[4:5], s[20:21], v[2:3]
	v_add_f64 v[2:3], v[6:7], v[10:11]
	v_add_f64 v[4:5], v[8:9], v[4:5]
	global_store_dwordx4 v[0:1], v[2:5], off offset:256
.LBB281_34:
	s_endpgm
	.section	.rodata,"a",@progbits
	.p2align	6, 0x0
	.amdhsa_kernel _ZN12_GLOBAL__N_135rocblas_gemm_batched_general_kernelI19rocblas_complex_numIdELi16ELi16ELi32ELi32ELi8ELi32ELi8ELi8ELi32ELc78ELc78EKPKS2_S5_KPS2_EEvlllT_PT11_llSA_llS8_PT12_llPT13_lli
		.amdhsa_group_segment_fixed_size 8192
		.amdhsa_private_segment_fixed_size 0
		.amdhsa_kernarg_size 156
		.amdhsa_user_sgpr_count 6
		.amdhsa_user_sgpr_private_segment_buffer 1
		.amdhsa_user_sgpr_dispatch_ptr 0
		.amdhsa_user_sgpr_queue_ptr 0
		.amdhsa_user_sgpr_kernarg_segment_ptr 1
		.amdhsa_user_sgpr_dispatch_id 0
		.amdhsa_user_sgpr_flat_scratch_init 0
		.amdhsa_user_sgpr_kernarg_preload_length 0
		.amdhsa_user_sgpr_kernarg_preload_offset 0
		.amdhsa_user_sgpr_private_segment_size 0
		.amdhsa_uses_dynamic_stack 0
		.amdhsa_system_sgpr_private_segment_wavefront_offset 0
		.amdhsa_system_sgpr_workgroup_id_x 1
		.amdhsa_system_sgpr_workgroup_id_y 1
		.amdhsa_system_sgpr_workgroup_id_z 1
		.amdhsa_system_sgpr_workgroup_info 0
		.amdhsa_system_vgpr_workitem_id 1
		.amdhsa_next_free_vgpr 60
		.amdhsa_next_free_sgpr 52
		.amdhsa_accum_offset 60
		.amdhsa_reserve_vcc 1
		.amdhsa_reserve_flat_scratch 0
		.amdhsa_float_round_mode_32 0
		.amdhsa_float_round_mode_16_64 0
		.amdhsa_float_denorm_mode_32 3
		.amdhsa_float_denorm_mode_16_64 3
		.amdhsa_dx10_clamp 1
		.amdhsa_ieee_mode 1
		.amdhsa_fp16_overflow 0
		.amdhsa_tg_split 0
		.amdhsa_exception_fp_ieee_invalid_op 0
		.amdhsa_exception_fp_denorm_src 0
		.amdhsa_exception_fp_ieee_div_zero 0
		.amdhsa_exception_fp_ieee_overflow 0
		.amdhsa_exception_fp_ieee_underflow 0
		.amdhsa_exception_fp_ieee_inexact 0
		.amdhsa_exception_int_div_zero 0
	.end_amdhsa_kernel
	.section	.text._ZN12_GLOBAL__N_135rocblas_gemm_batched_general_kernelI19rocblas_complex_numIdELi16ELi16ELi32ELi32ELi8ELi32ELi8ELi8ELi32ELc78ELc78EKPKS2_S5_KPS2_EEvlllT_PT11_llSA_llS8_PT12_llPT13_lli,"axG",@progbits,_ZN12_GLOBAL__N_135rocblas_gemm_batched_general_kernelI19rocblas_complex_numIdELi16ELi16ELi32ELi32ELi8ELi32ELi8ELi8ELi32ELc78ELc78EKPKS2_S5_KPS2_EEvlllT_PT11_llSA_llS8_PT12_llPT13_lli,comdat
.Lfunc_end281:
	.size	_ZN12_GLOBAL__N_135rocblas_gemm_batched_general_kernelI19rocblas_complex_numIdELi16ELi16ELi32ELi32ELi8ELi32ELi8ELi8ELi32ELc78ELc78EKPKS2_S5_KPS2_EEvlllT_PT11_llSA_llS8_PT12_llPT13_lli, .Lfunc_end281-_ZN12_GLOBAL__N_135rocblas_gemm_batched_general_kernelI19rocblas_complex_numIdELi16ELi16ELi32ELi32ELi8ELi32ELi8ELi8ELi32ELc78ELc78EKPKS2_S5_KPS2_EEvlllT_PT11_llSA_llS8_PT12_llPT13_lli
                                        ; -- End function
	.section	.AMDGPU.csdata,"",@progbits
; Kernel info:
; codeLenInByte = 3876
; NumSgprs: 56
; NumVgprs: 60
; NumAgprs: 0
; TotalNumVgprs: 60
; ScratchSize: 0
; MemoryBound: 0
; FloatMode: 240
; IeeeMode: 1
; LDSByteSize: 8192 bytes/workgroup (compile time only)
; SGPRBlocks: 6
; VGPRBlocks: 7
; NumSGPRsForWavesPerEU: 56
; NumVGPRsForWavesPerEU: 60
; AccumOffset: 60
; Occupancy: 8
; WaveLimiterHint : 1
; COMPUTE_PGM_RSRC2:SCRATCH_EN: 0
; COMPUTE_PGM_RSRC2:USER_SGPR: 6
; COMPUTE_PGM_RSRC2:TRAP_HANDLER: 0
; COMPUTE_PGM_RSRC2:TGID_X_EN: 1
; COMPUTE_PGM_RSRC2:TGID_Y_EN: 1
; COMPUTE_PGM_RSRC2:TGID_Z_EN: 1
; COMPUTE_PGM_RSRC2:TIDIG_COMP_CNT: 1
; COMPUTE_PGM_RSRC3_GFX90A:ACCUM_OFFSET: 14
; COMPUTE_PGM_RSRC3_GFX90A:TG_SPLIT: 0
	.section	.text._ZN12_GLOBAL__N_135rocblas_gemm_batched_general_kernelI19rocblas_complex_numIdELi16ELi16ELi32ELi32ELi8ELi32ELi8ELi8ELi32ELc84ELc78EKPKS2_S5_KPS2_EEvlllT_PT11_llSA_llS8_PT12_llPT13_lli,"axG",@progbits,_ZN12_GLOBAL__N_135rocblas_gemm_batched_general_kernelI19rocblas_complex_numIdELi16ELi16ELi32ELi32ELi8ELi32ELi8ELi8ELi32ELc84ELc78EKPKS2_S5_KPS2_EEvlllT_PT11_llSA_llS8_PT12_llPT13_lli,comdat
	.globl	_ZN12_GLOBAL__N_135rocblas_gemm_batched_general_kernelI19rocblas_complex_numIdELi16ELi16ELi32ELi32ELi8ELi32ELi8ELi8ELi32ELc84ELc78EKPKS2_S5_KPS2_EEvlllT_PT11_llSA_llS8_PT12_llPT13_lli ; -- Begin function _ZN12_GLOBAL__N_135rocblas_gemm_batched_general_kernelI19rocblas_complex_numIdELi16ELi16ELi32ELi32ELi8ELi32ELi8ELi8ELi32ELc84ELc78EKPKS2_S5_KPS2_EEvlllT_PT11_llSA_llS8_PT12_llPT13_lli
	.p2align	8
	.type	_ZN12_GLOBAL__N_135rocblas_gemm_batched_general_kernelI19rocblas_complex_numIdELi16ELi16ELi32ELi32ELi8ELi32ELi8ELi8ELi32ELc84ELc78EKPKS2_S5_KPS2_EEvlllT_PT11_llSA_llS8_PT12_llPT13_lli,@function
_ZN12_GLOBAL__N_135rocblas_gemm_batched_general_kernelI19rocblas_complex_numIdELi16ELi16ELi32ELi32ELi8ELi32ELi8ELi8ELi32ELc84ELc78EKPKS2_S5_KPS2_EEvlllT_PT11_llSA_llS8_PT12_llPT13_lli: ; @_ZN12_GLOBAL__N_135rocblas_gemm_batched_general_kernelI19rocblas_complex_numIdELi16ELi16ELi32ELi32ELi8ELi32ELi8ELi8ELi32ELc84ELc78EKPKS2_S5_KPS2_EEvlllT_PT11_llSA_llS8_PT12_llPT13_lli
; %bb.0:
	s_load_dwordx16 s[36:51], s[4:5], 0x0
	s_load_dwordx16 s[12:27], s[4:5], 0x40
	s_load_dwordx2 s[10:11], s[4:5], 0x90
	s_load_dwordx4 s[28:31], s[4:5], 0x80
	s_mov_b32 s9, 0
	s_lshl_b64 s[0:1], s[8:9], 3
	s_waitcnt lgkmcnt(0)
	s_add_u32 s4, s22, s0
	s_addc_u32 s5, s23, s1
	s_load_dwordx2 s[8:9], s[4:5], 0x0
	s_add_u32 s4, s28, s0
	s_addc_u32 s5, s29, s1
	s_load_dwordx2 s[4:5], s[4:5], 0x0
	s_mov_b32 s2, s7
	s_ashr_i32 s3, s2, 31
	s_ashr_i32 s7, s6, 31
	s_lshl_b64 s[22:23], s[2:3], 5
	v_cmp_lt_i64_e64 s[2:3], s[40:41], 1
	v_pk_mov_b32 v[26:27], 0, 0
	v_and_b32_e32 v7, 0x3ff, v0
	v_bfe_u32 v9, v0, 10, 10
	s_lshl_b64 s[6:7], s[6:7], 5
	s_mov_b64 s[28:29], 0
	s_and_b64 vcc, exec, s[2:3]
	v_pk_mov_b32 v[28:29], v[26:27], v[26:27] op_sel:[0,1]
	v_pk_mov_b32 v[22:23], v[26:27], v[26:27] op_sel:[0,1]
	;; [unrolled: 1-line block ×7, first 2 shown]
	s_cbranch_vccnz .LBB282_11
; %bb.1:
	v_lshl_add_u32 v1, v9, 4, v7
	v_lshrrev_b32_e32 v10, 3, v1
	v_lshrrev_b32_e32 v6, 5, v1
	v_mov_b32_e32 v3, s23
	v_add_co_u32_e32 v2, vcc, s22, v10
	v_and_b32_e32 v1, 31, v1
	v_addc_co_u32_e32 v3, vcc, 0, v3, vcc
	v_mov_b32_e32 v5, s7
	v_or_b32_e32 v4, s6, v1
	v_and_b32_e32 v8, 7, v7
	s_add_u32 s2, s12, s0
	v_cmp_gt_i64_e32 vcc, s[36:37], v[4:5]
	v_lshlrev_b32_e32 v4, 4, v1
	s_addc_u32 s3, s13, s1
	v_lshl_or_b32 v30, v6, 9, v4
	v_lshlrev_b32_e32 v4, 4, v8
	s_add_u32 s0, s46, s0
	v_lshl_or_b32 v5, v10, 7, v4
	s_addc_u32 s1, s47, s1
	v_add_u32_e32 v31, 0x1000, v5
	v_mov_b32_e32 v5, 0x1000
	s_load_dwordx2 s[12:13], s[2:3], 0x0
	s_load_dwordx2 s[34:35], s[0:1], 0x0
	v_cmp_gt_i64_e64 s[0:1], s[38:39], v[2:3]
	v_lshl_add_u32 v33, v9, 7, v5
	v_mul_lo_u32 v5, s15, v2
	v_mul_lo_u32 v10, s14, v3
	v_mad_u64_u32 v[2:3], s[2:3], s14, v2, 0
	v_add3_u32 v3, v3, v10, v5
	v_lshlrev_b64 v[2:3], 4, v[2:3]
	s_lshl_b64 s[2:3], s[16:17], 4
	v_mov_b32_e32 v5, s3
	v_add_co_u32_e64 v2, s[2:3], s2, v2
	v_addc_co_u32_e64 v3, s[2:3], v3, v5, s[2:3]
	v_add_co_u32_e64 v2, s[2:3], v2, v4
	v_addc_co_u32_e64 v3, s[2:3], 0, v3, s[2:3]
	s_waitcnt lgkmcnt(0)
	v_mov_b32_e32 v4, s13
	v_add_co_u32_e64 v10, s[2:3], s12, v2
	v_addc_co_u32_e64 v11, s[2:3], v4, v3, s[2:3]
	v_mov_b32_e32 v2, s7
	v_add_co_u32_e64 v1, s[2:3], s6, v1
	v_addc_co_u32_e64 v2, s[2:3], 0, v2, s[2:3]
	v_mul_lo_u32 v4, s49, v1
	v_mul_lo_u32 v5, s48, v2
	v_mad_u64_u32 v[2:3], s[2:3], s48, v1, 0
	v_add3_u32 v3, v3, v5, v4
	v_lshlrev_b64 v[2:3], 4, v[2:3]
	s_lshl_b64 s[2:3], s[50:51], 4
	v_mov_b32_e32 v1, s3
	v_add_co_u32_e64 v2, s[2:3], s2, v2
	v_addc_co_u32_e64 v1, s[2:3], v3, v1, s[2:3]
	v_lshlrev_b32_e32 v3, 4, v6
	v_add_co_u32_e64 v2, s[2:3], v2, v3
	v_addc_co_u32_e64 v1, s[2:3], 0, v1, s[2:3]
	v_mov_b32_e32 v3, s35
	v_add_co_u32_e64 v12, s[2:3], s34, v2
	v_addc_co_u32_e64 v13, s[2:3], v3, v1, s[2:3]
	v_pk_mov_b32 v[14:15], 0, 0
	v_mov_b32_e32 v0, 0
	v_lshlrev_b32_e32 v32, 4, v7
	s_xor_b64 s[2:3], vcc, -1
	s_xor_b64 s[0:1], s[0:1], -1
	v_pk_mov_b32 v[16:17], v[14:15], v[14:15] op_sel:[0,1]
	v_pk_mov_b32 v[20:21], v[14:15], v[14:15] op_sel:[0,1]
	v_pk_mov_b32 v[18:19], v[14:15], v[14:15] op_sel:[0,1]
	v_pk_mov_b32 v[24:25], v[14:15], v[14:15] op_sel:[0,1]
	v_pk_mov_b32 v[22:23], v[14:15], v[14:15] op_sel:[0,1]
	v_pk_mov_b32 v[28:29], v[14:15], v[14:15] op_sel:[0,1]
	v_pk_mov_b32 v[26:27], v[14:15], v[14:15] op_sel:[0,1]
	s_branch .LBB282_3
.LBB282_2:                              ;   in Loop: Header=BB282_3 Depth=1
	s_or_b64 exec, exec, s[12:13]
	s_waitcnt lgkmcnt(0)
	s_barrier
	ds_read_b128 v[34:37], v32
	ds_read_b128 v[38:41], v33
	ds_read_b128 v[42:45], v33 offset:16
	ds_read_b128 v[46:49], v33 offset:32
	;; [unrolled: 1-line block ×4, first 2 shown]
	s_waitcnt lgkmcnt(4)
	v_mul_f64 v[54:55], v[40:41], v[36:37]
	v_fma_f64 v[54:55], v[38:39], v[34:35], -v[54:55]
	v_mul_f64 v[56:57], v[38:39], v[36:37]
	v_fmac_f64_e32 v[56:57], v[40:41], v[34:35]
	v_add_f64 v[54:55], v[26:27], v[54:55]
	s_waitcnt lgkmcnt(0)
	v_mul_f64 v[26:27], v[40:41], v[52:53]
	v_add_f64 v[56:57], v[28:29], v[56:57]
	v_fma_f64 v[58:59], v[38:39], v[50:51], -v[26:27]
	ds_read_b128 v[26:29], v33 offset:2048
	v_mul_f64 v[38:39], v[38:39], v[52:53]
	v_fmac_f64_e32 v[38:39], v[40:41], v[50:51]
	v_add_f64 v[40:41], v[22:23], v[58:59]
	v_add_f64 v[38:39], v[24:25], v[38:39]
	ds_read_b128 v[22:25], v33 offset:2064
	s_waitcnt lgkmcnt(1)
	v_mul_f64 v[58:59], v[28:29], v[36:37]
	v_fma_f64 v[58:59], v[26:27], v[34:35], -v[58:59]
	v_mul_f64 v[36:37], v[26:27], v[36:37]
	v_fmac_f64_e32 v[36:37], v[28:29], v[34:35]
	v_add_f64 v[34:35], v[18:19], v[58:59]
	v_mul_f64 v[18:19], v[28:29], v[52:53]
	v_add_f64 v[36:37], v[20:21], v[36:37]
	v_fma_f64 v[58:59], v[26:27], v[50:51], -v[18:19]
	v_mul_f64 v[26:27], v[26:27], v[52:53]
	ds_read_b128 v[18:21], v32 offset:512
	v_fmac_f64_e32 v[26:27], v[28:29], v[50:51]
	v_add_f64 v[28:29], v[16:17], v[58:59]
	v_add_f64 v[26:27], v[14:15], v[26:27]
	ds_read_b128 v[14:17], v32 offset:768
	s_waitcnt lgkmcnt(1)
	v_mul_f64 v[50:51], v[44:45], v[20:21]
	v_fma_f64 v[50:51], v[42:43], v[18:19], -v[50:51]
	v_add_f64 v[50:51], v[54:55], v[50:51]
	v_mul_f64 v[52:53], v[42:43], v[20:21]
	s_waitcnt lgkmcnt(0)
	v_mul_f64 v[54:55], v[44:45], v[16:17]
	v_fma_f64 v[54:55], v[42:43], v[14:15], -v[54:55]
	v_mul_f64 v[42:43], v[42:43], v[16:17]
	v_fmac_f64_e32 v[42:43], v[44:45], v[14:15]
	v_add_f64 v[38:39], v[38:39], v[42:43]
	v_mul_f64 v[42:43], v[24:25], v[20:21]
	v_mul_f64 v[20:21], v[22:23], v[20:21]
	v_fmac_f64_e32 v[52:53], v[44:45], v[18:19]
	v_fma_f64 v[42:43], v[22:23], v[18:19], -v[42:43]
	v_fmac_f64_e32 v[20:21], v[24:25], v[18:19]
	v_mul_f64 v[18:19], v[24:25], v[16:17]
	v_add_f64 v[44:45], v[36:37], v[20:21]
	v_fma_f64 v[20:21], v[22:23], v[14:15], -v[18:19]
	v_mul_f64 v[22:23], v[22:23], v[16:17]
	ds_read_b128 v[16:19], v32 offset:1024
	v_fmac_f64_e32 v[22:23], v[24:25], v[14:15]
	v_add_f64 v[40:41], v[40:41], v[54:55]
	v_add_f64 v[28:29], v[28:29], v[20:21]
	;; [unrolled: 1-line block ×3, first 2 shown]
	ds_read_b128 v[20:23], v32 offset:1280
	s_waitcnt lgkmcnt(1)
	v_mul_f64 v[24:25], v[46:47], v[18:19]
	v_add_f64 v[52:53], v[56:57], v[52:53]
	v_fmac_f64_e32 v[24:25], v[48:49], v[16:17]
	v_add_f64 v[52:53], v[52:53], v[24:25]
	ds_read_b128 v[24:27], v33 offset:2080
	v_mul_f64 v[14:15], v[48:49], v[18:19]
	v_fma_f64 v[14:15], v[46:47], v[16:17], -v[14:15]
	v_add_f64 v[42:43], v[34:35], v[42:43]
	v_add_f64 v[50:51], v[50:51], v[14:15]
	s_waitcnt lgkmcnt(1)
	v_mul_f64 v[14:15], v[48:49], v[22:23]
	v_mul_f64 v[34:35], v[46:47], v[22:23]
	v_fma_f64 v[14:15], v[46:47], v[20:21], -v[14:15]
	v_fmac_f64_e32 v[34:35], v[48:49], v[20:21]
	v_add_f64 v[40:41], v[40:41], v[14:15]
	v_add_f64 v[38:39], v[38:39], v[34:35]
	ds_read_b128 v[34:37], v33 offset:2096
	s_waitcnt lgkmcnt(1)
	v_mul_f64 v[14:15], v[26:27], v[18:19]
	v_fma_f64 v[14:15], v[24:25], v[16:17], -v[14:15]
	v_mul_f64 v[18:19], v[24:25], v[18:19]
	v_fmac_f64_e32 v[18:19], v[26:27], v[16:17]
	v_add_f64 v[42:43], v[42:43], v[14:15]
	v_mul_f64 v[14:15], v[26:27], v[22:23]
	v_add_f64 v[44:45], v[44:45], v[18:19]
	v_fma_f64 v[18:19], v[24:25], v[20:21], -v[14:15]
	v_mul_f64 v[22:23], v[24:25], v[22:23]
	ds_read_b128 v[14:17], v32 offset:1536
	v_fmac_f64_e32 v[22:23], v[26:27], v[20:21]
	v_add_f64 v[24:25], v[28:29], v[18:19]
	ds_read_b128 v[18:21], v32 offset:1792
	v_add_f64 v[22:23], v[54:55], v[22:23]
	s_waitcnt lgkmcnt(1)
	v_mul_f64 v[26:27], v[4:5], v[16:17]
	v_fma_f64 v[26:27], v[2:3], v[14:15], -v[26:27]
	v_mul_f64 v[28:29], v[2:3], v[16:17]
	s_waitcnt lgkmcnt(0)
	v_mul_f64 v[46:47], v[4:5], v[20:21]
	v_fma_f64 v[46:47], v[2:3], v[18:19], -v[46:47]
	v_mul_f64 v[2:3], v[2:3], v[20:21]
	v_fmac_f64_e32 v[2:3], v[4:5], v[18:19]
	v_add_f64 v[38:39], v[38:39], v[2:3]
	v_mul_f64 v[2:3], v[36:37], v[16:17]
	v_fmac_f64_e32 v[28:29], v[4:5], v[14:15]
	v_fma_f64 v[2:3], v[34:35], v[14:15], -v[2:3]
	v_mul_f64 v[4:5], v[34:35], v[16:17]
	v_fmac_f64_e32 v[4:5], v[36:37], v[14:15]
	v_add_f64 v[42:43], v[42:43], v[2:3]
	v_mul_f64 v[2:3], v[36:37], v[20:21]
	v_add_f64 v[40:41], v[40:41], v[46:47]
	v_add_f64 v[44:45], v[44:45], v[4:5]
	v_fma_f64 v[46:47], v[34:35], v[18:19], -v[2:3]
	ds_read_b128 v[2:5], v33 offset:64
	ds_read_b128 v[14:17], v32 offset:2048
	v_mul_f64 v[20:21], v[34:35], v[20:21]
	v_fmac_f64_e32 v[20:21], v[36:37], v[18:19]
	v_add_f64 v[34:35], v[24:25], v[46:47]
	v_add_f64 v[36:37], v[22:23], v[20:21]
	ds_read_b128 v[18:21], v32 offset:2304
	ds_read_b128 v[22:25], v33 offset:80
	s_waitcnt lgkmcnt(2)
	v_mul_f64 v[46:47], v[4:5], v[16:17]
	v_add_f64 v[26:27], v[50:51], v[26:27]
	v_fma_f64 v[46:47], v[2:3], v[14:15], -v[46:47]
	v_mul_f64 v[48:49], v[2:3], v[16:17]
	v_add_f64 v[28:29], v[52:53], v[28:29]
	v_fmac_f64_e32 v[48:49], v[4:5], v[14:15]
	v_add_f64 v[46:47], v[26:27], v[46:47]
	s_waitcnt lgkmcnt(1)
	v_mul_f64 v[26:27], v[4:5], v[20:21]
	v_add_f64 v[48:49], v[28:29], v[48:49]
	v_fma_f64 v[50:51], v[2:3], v[18:19], -v[26:27]
	ds_read_b128 v[26:29], v33 offset:2112
	v_mul_f64 v[2:3], v[2:3], v[20:21]
	v_fmac_f64_e32 v[2:3], v[4:5], v[18:19]
	v_add_f64 v[40:41], v[40:41], v[50:51]
	v_add_f64 v[38:39], v[38:39], v[2:3]
	ds_read_b128 v[2:5], v33 offset:2128
	s_waitcnt lgkmcnt(1)
	v_mul_f64 v[50:51], v[28:29], v[16:17]
	v_mul_f64 v[16:17], v[26:27], v[16:17]
	v_fma_f64 v[50:51], v[26:27], v[14:15], -v[50:51]
	v_fmac_f64_e32 v[16:17], v[28:29], v[14:15]
	v_mul_f64 v[14:15], v[28:29], v[20:21]
	v_add_f64 v[42:43], v[42:43], v[50:51]
	v_add_f64 v[44:45], v[44:45], v[16:17]
	v_fma_f64 v[50:51], v[26:27], v[18:19], -v[14:15]
	v_mul_f64 v[20:21], v[26:27], v[20:21]
	ds_read_b128 v[14:17], v32 offset:2560
	v_fmac_f64_e32 v[20:21], v[28:29], v[18:19]
	v_add_f64 v[28:29], v[36:37], v[20:21]
	ds_read_b128 v[18:21], v32 offset:2816
	v_add_f64 v[26:27], v[34:35], v[50:51]
	s_waitcnt lgkmcnt(1)
	v_mul_f64 v[34:35], v[24:25], v[16:17]
	v_fma_f64 v[34:35], v[22:23], v[14:15], -v[34:35]
	v_add_f64 v[34:35], v[46:47], v[34:35]
	s_waitcnt lgkmcnt(0)
	v_mul_f64 v[46:47], v[24:25], v[20:21]
	v_mul_f64 v[36:37], v[22:23], v[16:17]
	v_fma_f64 v[46:47], v[22:23], v[18:19], -v[46:47]
	v_mul_f64 v[22:23], v[22:23], v[20:21]
	v_fmac_f64_e32 v[22:23], v[24:25], v[18:19]
	v_add_f64 v[38:39], v[38:39], v[22:23]
	v_mul_f64 v[22:23], v[4:5], v[16:17]
	v_mul_f64 v[16:17], v[2:3], v[16:17]
	v_fmac_f64_e32 v[36:37], v[24:25], v[14:15]
	v_fma_f64 v[22:23], v[2:3], v[14:15], -v[22:23]
	v_fmac_f64_e32 v[16:17], v[4:5], v[14:15]
	v_mul_f64 v[14:15], v[4:5], v[20:21]
	v_mul_f64 v[20:21], v[2:3], v[20:21]
	v_add_f64 v[42:43], v[42:43], v[22:23]
	v_add_f64 v[44:45], v[44:45], v[16:17]
	v_fma_f64 v[22:23], v[2:3], v[18:19], -v[14:15]
	v_fmac_f64_e32 v[20:21], v[4:5], v[18:19]
	ds_read_b128 v[2:5], v33 offset:96
	ds_read_b128 v[14:17], v32 offset:3072
	v_add_f64 v[36:37], v[48:49], v[36:37]
	v_add_f64 v[40:41], v[40:41], v[46:47]
	;; [unrolled: 1-line block ×4, first 2 shown]
	ds_read_b128 v[18:21], v32 offset:3328
	ds_read_b128 v[22:25], v33 offset:112
	s_waitcnt lgkmcnt(2)
	v_mul_f64 v[26:27], v[4:5], v[16:17]
	v_fma_f64 v[26:27], v[2:3], v[14:15], -v[26:27]
	v_mul_f64 v[28:29], v[2:3], v[16:17]
	v_fmac_f64_e32 v[28:29], v[4:5], v[14:15]
	v_add_f64 v[50:51], v[34:35], v[26:27]
	s_waitcnt lgkmcnt(1)
	v_mul_f64 v[26:27], v[4:5], v[20:21]
	v_add_f64 v[52:53], v[36:37], v[28:29]
	v_fma_f64 v[34:35], v[2:3], v[18:19], -v[26:27]
	ds_read_b128 v[26:29], v33 offset:2144
	v_mul_f64 v[2:3], v[2:3], v[20:21]
	v_fmac_f64_e32 v[2:3], v[4:5], v[18:19]
	v_add_f64 v[40:41], v[40:41], v[34:35]
	v_add_f64 v[38:39], v[38:39], v[2:3]
	ds_read_b128 v[2:5], v33 offset:2160
	s_waitcnt lgkmcnt(1)
	v_mul_f64 v[34:35], v[28:29], v[16:17]
	v_mul_f64 v[16:17], v[26:27], v[16:17]
	v_fma_f64 v[34:35], v[26:27], v[14:15], -v[34:35]
	v_fmac_f64_e32 v[16:17], v[28:29], v[14:15]
	v_mul_f64 v[14:15], v[28:29], v[20:21]
	v_add_f64 v[42:43], v[42:43], v[34:35]
	v_add_f64 v[44:45], v[44:45], v[16:17]
	v_fma_f64 v[34:35], v[26:27], v[18:19], -v[14:15]
	ds_read_b128 v[14:17], v32 offset:3584
	v_add_f64 v[46:47], v[46:47], v[34:35]
	ds_read_b128 v[34:37], v32 offset:3840
	v_mul_f64 v[20:21], v[26:27], v[20:21]
	v_fmac_f64_e32 v[20:21], v[28:29], v[18:19]
	s_waitcnt lgkmcnt(1)
	v_mul_f64 v[18:19], v[24:25], v[16:17]
	v_fma_f64 v[18:19], v[22:23], v[14:15], -v[18:19]
	v_add_f64 v[48:49], v[48:49], v[20:21]
	v_mul_f64 v[20:21], v[22:23], v[16:17]
	v_add_f64 v[26:27], v[50:51], v[18:19]
	s_waitcnt lgkmcnt(0)
	v_mul_f64 v[18:19], v[24:25], v[36:37]
	v_fmac_f64_e32 v[20:21], v[24:25], v[14:15]
	v_fma_f64 v[18:19], v[22:23], v[34:35], -v[18:19]
	v_add_f64 v[28:29], v[52:53], v[20:21]
	v_mul_f64 v[20:21], v[22:23], v[36:37]
	v_add_f64 v[22:23], v[40:41], v[18:19]
	v_mul_f64 v[18:19], v[4:5], v[16:17]
	v_mul_f64 v[16:17], v[2:3], v[16:17]
	v_fma_f64 v[18:19], v[2:3], v[14:15], -v[18:19]
	v_fmac_f64_e32 v[16:17], v[4:5], v[14:15]
	v_mul_f64 v[14:15], v[4:5], v[36:37]
	v_add_co_u32_e32 v10, vcc, 0x80, v10
	v_fma_f64 v[14:15], v[2:3], v[34:35], -v[14:15]
	v_mul_f64 v[2:3], v[2:3], v[36:37]
	v_addc_co_u32_e32 v11, vcc, 0, v11, vcc
	v_fmac_f64_e32 v[20:21], v[24:25], v[34:35]
	v_fmac_f64_e32 v[2:3], v[4:5], v[34:35]
	s_add_u32 s28, s28, 8
	v_add_co_u32_e32 v12, vcc, 0x80, v12
	v_add_f64 v[24:25], v[38:39], v[20:21]
	v_add_f64 v[20:21], v[44:45], v[16:17]
	;; [unrolled: 1-line block ×4, first 2 shown]
	s_addc_u32 s29, s29, 0
	v_addc_co_u32_e32 v13, vcc, 0, v13, vcc
	v_pk_mov_b32 v[2:3], s[40:41], s[40:41] op_sel:[0,1]
	v_cmp_lt_i64_e32 vcc, s[28:29], v[2:3]
	v_add_f64 v[18:19], v[42:43], v[18:19]
	s_barrier
	s_cbranch_vccz .LBB282_11
.LBB282_3:                              ; =>This Inner Loop Header: Depth=1
	v_mov_b32_e32 v1, s29
	v_add_co_u32_e32 v2, vcc, s28, v6
	v_addc_co_u32_e32 v3, vcc, 0, v1, vcc
	v_cmp_le_i64_e32 vcc, s[40:41], v[2:3]
	s_or_b64 s[12:13], s[2:3], vcc
	s_and_saveexec_b64 s[14:15], s[12:13]
	s_xor_b64 s[12:13], exec, s[14:15]
	s_cbranch_execz .LBB282_5
; %bb.4:                                ;   in Loop: Header=BB282_3 Depth=1
	v_mov_b32_e32 v1, v0
	v_mov_b32_e32 v2, v0
	;; [unrolled: 1-line block ×3, first 2 shown]
	ds_write_b128 v30, v[0:3]
.LBB282_5:                              ;   in Loop: Header=BB282_3 Depth=1
	s_andn2_saveexec_b64 s[12:13], s[12:13]
	s_cbranch_execz .LBB282_7
; %bb.6:                                ;   in Loop: Header=BB282_3 Depth=1
	global_load_dwordx4 v[2:5], v[12:13], off
	s_waitcnt vmcnt(0)
	ds_write2_b64 v30, v[2:3], v[4:5] offset1:1
.LBB282_7:                              ;   in Loop: Header=BB282_3 Depth=1
	s_or_b64 exec, exec, s[12:13]
	v_mov_b32_e32 v1, s29
	v_add_co_u32_e32 v2, vcc, s28, v8
	v_addc_co_u32_e32 v3, vcc, 0, v1, vcc
	v_cmp_le_i64_e32 vcc, s[40:41], v[2:3]
	s_or_b64 s[12:13], vcc, s[0:1]
	s_and_saveexec_b64 s[14:15], s[12:13]
	s_xor_b64 s[12:13], exec, s[14:15]
	s_cbranch_execz .LBB282_9
; %bb.8:                                ;   in Loop: Header=BB282_3 Depth=1
	v_mov_b32_e32 v1, v0
	v_mov_b32_e32 v2, v0
	;; [unrolled: 1-line block ×3, first 2 shown]
	ds_write_b128 v31, v[0:3]
.LBB282_9:                              ;   in Loop: Header=BB282_3 Depth=1
	s_andn2_saveexec_b64 s[12:13], s[12:13]
	s_cbranch_execz .LBB282_2
; %bb.10:                               ;   in Loop: Header=BB282_3 Depth=1
	global_load_dwordx4 v[2:5], v[10:11], off
	s_waitcnt vmcnt(0)
	ds_write2_b64 v31, v[2:3], v[4:5] offset1:1
	s_branch .LBB282_2
.LBB282_11:
	s_lshl_b64 s[0:1], s[10:11], 4
	s_waitcnt lgkmcnt(0)
	s_add_u32 s14, s4, s0
	s_addc_u32 s15, s5, s1
	v_mov_b32_e32 v1, s23
	v_add_co_u32_e32 v0, vcc, s22, v9
	v_cmp_neq_f64_e64 s[0:1], s[18:19], 0
	v_cmp_neq_f64_e64 s[2:3], s[20:21], 0
	v_addc_co_u32_e32 v1, vcc, 0, v1, vcc
	s_or_b64 s[4:5], s[0:1], s[2:3]
	v_cmp_gt_i64_e64 s[0:1], s[38:39], v[0:1]
	s_mov_b64 s[2:3], -1
	s_and_b64 vcc, exec, s[4:5]
	s_cbranch_vccnz .LBB282_23
; %bb.12:
	s_and_saveexec_b64 s[10:11], s[0:1]
	s_cbranch_execz .LBB282_22
; %bb.13:
	v_mov_b32_e32 v2, s7
	v_add_co_u32_e32 v4, vcc, s6, v7
	v_addc_co_u32_e32 v5, vcc, 0, v2, vcc
	v_mul_lo_u32 v6, v1, s30
	v_mul_lo_u32 v8, v0, s31
	v_mad_u64_u32 v[2:3], s[2:3], v0, s30, 0
	v_add3_u32 v3, v3, v8, v6
	v_lshlrev_b64 v[2:3], 4, v[2:3]
	v_mov_b32_e32 v8, s15
	v_add_co_u32_e64 v6, s[2:3], s14, v2
	v_cmp_gt_i64_e32 vcc, s[36:37], v[4:5]
	v_addc_co_u32_e64 v8, s[2:3], v8, v3, s[2:3]
	v_lshlrev_b64 v[2:3], 4, v[4:5]
	s_and_saveexec_b64 s[4:5], vcc
	s_cbranch_execz .LBB282_15
; %bb.14:
	v_mul_f64 v[10:11], s[44:45], v[28:29]
	v_mul_f64 v[12:13], s[42:43], v[28:29]
	v_add_co_u32_e64 v30, s[2:3], v6, v2
	v_fma_f64 v[10:11], s[42:43], v[26:27], -v[10:11]
	v_fmac_f64_e32 v[12:13], s[44:45], v[26:27]
	v_addc_co_u32_e64 v31, s[2:3], v8, v3, s[2:3]
	global_store_dwordx4 v[30:31], v[10:13], off
.LBB282_15:
	s_or_b64 exec, exec, s[4:5]
	v_add_co_u32_e64 v4, s[2:3], 16, v4
	v_addc_co_u32_e64 v5, s[2:3], 0, v5, s[2:3]
	v_cmp_gt_i64_e64 s[2:3], s[36:37], v[4:5]
	s_and_saveexec_b64 s[12:13], s[2:3]
	s_cbranch_execz .LBB282_17
; %bb.16:
	v_mul_f64 v[4:5], s[44:45], v[24:25]
	v_fma_f64 v[10:11], s[42:43], v[22:23], -v[4:5]
	v_mul_f64 v[12:13], s[42:43], v[24:25]
	v_add_co_u32_e64 v4, s[4:5], v6, v2
	v_fmac_f64_e32 v[12:13], s[44:45], v[22:23]
	v_addc_co_u32_e64 v5, s[4:5], v8, v3, s[4:5]
	global_store_dwordx4 v[4:5], v[10:13], off offset:256
.LBB282_17:
	s_or_b64 exec, exec, s[12:13]
	v_add_co_u32_e64 v4, s[4:5], 16, v0
	v_addc_co_u32_e64 v5, s[4:5], 0, v1, s[4:5]
	v_cmp_gt_i64_e64 s[4:5], s[38:39], v[4:5]
	s_and_b64 exec, exec, s[4:5]
	s_cbranch_execz .LBB282_22
; %bb.18:
	s_lshl_b64 s[4:5], s[30:31], 8
	v_mov_b32_e32 v4, s5
	v_add_co_u32_e64 v5, s[4:5], s4, v6
	v_addc_co_u32_e64 v4, s[4:5], v8, v4, s[4:5]
	v_add_co_u32_e64 v2, s[4:5], v5, v2
	v_addc_co_u32_e64 v3, s[4:5], v4, v3, s[4:5]
	s_and_saveexec_b64 s[4:5], vcc
	s_cbranch_execz .LBB282_20
; %bb.19:
	v_mul_f64 v[4:5], s[44:45], v[20:21]
	v_mul_f64 v[10:11], s[42:43], v[20:21]
	v_fma_f64 v[8:9], s[42:43], v[18:19], -v[4:5]
	v_fmac_f64_e32 v[10:11], s[44:45], v[18:19]
	global_store_dwordx4 v[2:3], v[8:11], off
.LBB282_20:
	s_or_b64 exec, exec, s[4:5]
	s_and_b64 exec, exec, s[2:3]
	s_cbranch_execz .LBB282_22
; %bb.21:
	v_mul_f64 v[4:5], s[44:45], v[14:15]
	v_mul_f64 v[10:11], s[42:43], v[14:15]
	v_fma_f64 v[8:9], s[42:43], v[16:17], -v[4:5]
	v_fmac_f64_e32 v[10:11], s[44:45], v[16:17]
	global_store_dwordx4 v[2:3], v[8:11], off offset:256
.LBB282_22:
	s_or_b64 exec, exec, s[10:11]
	s_mov_b64 s[2:3], 0
.LBB282_23:
	s_andn2_b64 vcc, exec, s[2:3]
	s_cbranch_vccnz .LBB282_34
; %bb.24:
	s_and_saveexec_b64 s[2:3], s[0:1]
	s_cbranch_execz .LBB282_34
; %bb.25:
	s_lshl_b64 s[0:1], s[26:27], 4
	s_add_u32 s2, s8, s0
	v_mov_b32_e32 v2, s7
	v_add_co_u32_e32 v4, vcc, s6, v7
	s_addc_u32 s3, s9, s1
	v_addc_co_u32_e32 v5, vcc, 0, v2, vcc
	v_mul_lo_u32 v6, v1, s24
	v_mul_lo_u32 v7, v0, s25
	v_mad_u64_u32 v[2:3], s[0:1], v0, s24, 0
	v_add3_u32 v3, v3, v7, v6
	v_mul_lo_u32 v6, v1, s30
	v_mul_lo_u32 v7, v0, s31
	v_mad_u64_u32 v[8:9], s[0:1], v0, s30, 0
	v_lshlrev_b64 v[2:3], 4, v[2:3]
	v_add3_u32 v9, v9, v7, v6
	v_mov_b32_e32 v7, s3
	v_add_co_u32_e64 v6, s[0:1], s2, v2
	v_addc_co_u32_e64 v7, s[0:1], v7, v3, s[0:1]
	v_lshlrev_b64 v[2:3], 4, v[8:9]
	v_mov_b32_e32 v9, s15
	v_add_co_u32_e64 v8, s[0:1], s14, v2
	v_cmp_gt_i64_e32 vcc, s[36:37], v[4:5]
	v_addc_co_u32_e64 v9, s[0:1], v9, v3, s[0:1]
	v_lshlrev_b64 v[2:3], 4, v[4:5]
	s_and_saveexec_b64 s[2:3], vcc
	s_cbranch_execz .LBB282_27
; %bb.26:
	v_add_co_u32_e64 v10, s[0:1], v6, v2
	v_addc_co_u32_e64 v11, s[0:1], v7, v3, s[0:1]
	global_load_dwordx4 v[10:13], v[10:11], off
	v_mul_f64 v[30:31], s[44:45], v[28:29]
	v_mul_f64 v[28:29], s[42:43], v[28:29]
	v_fma_f64 v[30:31], s[42:43], v[26:27], -v[30:31]
	v_fmac_f64_e32 v[28:29], s[44:45], v[26:27]
	s_waitcnt vmcnt(0)
	v_mul_f64 v[26:27], s[20:21], v[12:13]
	v_mul_f64 v[12:13], s[18:19], v[12:13]
	v_fma_f64 v[26:27], s[18:19], v[10:11], -v[26:27]
	v_fmac_f64_e32 v[12:13], s[20:21], v[10:11]
	v_add_f64 v[10:11], v[30:31], v[26:27]
	v_add_co_u32_e64 v26, s[0:1], v8, v2
	v_add_f64 v[12:13], v[28:29], v[12:13]
	v_addc_co_u32_e64 v27, s[0:1], v9, v3, s[0:1]
	global_store_dwordx4 v[26:27], v[10:13], off
.LBB282_27:
	s_or_b64 exec, exec, s[2:3]
	v_add_co_u32_e64 v4, s[0:1], 16, v4
	v_addc_co_u32_e64 v5, s[0:1], 0, v5, s[0:1]
	v_cmp_gt_i64_e64 s[0:1], s[36:37], v[4:5]
	s_and_saveexec_b64 s[4:5], s[0:1]
	s_cbranch_execz .LBB282_29
; %bb.28:
	v_add_co_u32_e64 v4, s[2:3], v6, v2
	v_addc_co_u32_e64 v5, s[2:3], v7, v3, s[2:3]
	global_load_dwordx4 v[10:13], v[4:5], off offset:256
	v_mul_f64 v[4:5], s[44:45], v[24:25]
	v_mul_f64 v[24:25], s[42:43], v[24:25]
	v_fma_f64 v[4:5], s[42:43], v[22:23], -v[4:5]
	v_fmac_f64_e32 v[24:25], s[44:45], v[22:23]
	s_waitcnt vmcnt(0)
	v_mul_f64 v[22:23], s[20:21], v[12:13]
	v_mul_f64 v[12:13], s[18:19], v[12:13]
	v_fma_f64 v[22:23], s[18:19], v[10:11], -v[22:23]
	v_fmac_f64_e32 v[12:13], s[20:21], v[10:11]
	v_add_f64 v[10:11], v[4:5], v[22:23]
	v_add_co_u32_e64 v4, s[2:3], v8, v2
	v_add_f64 v[12:13], v[24:25], v[12:13]
	v_addc_co_u32_e64 v5, s[2:3], v9, v3, s[2:3]
	global_store_dwordx4 v[4:5], v[10:13], off offset:256
.LBB282_29:
	s_or_b64 exec, exec, s[4:5]
	v_add_co_u32_e64 v0, s[2:3], 16, v0
	v_addc_co_u32_e64 v1, s[2:3], 0, v1, s[2:3]
	v_cmp_gt_i64_e64 s[2:3], s[38:39], v[0:1]
	s_and_b64 exec, exec, s[2:3]
	s_cbranch_execz .LBB282_34
; %bb.30:
	s_lshl_b64 s[2:3], s[24:25], 8
	v_mov_b32_e32 v0, s3
	v_add_co_u32_e64 v1, s[2:3], s2, v6
	v_addc_co_u32_e64 v0, s[2:3], v7, v0, s[2:3]
	s_lshl_b64 s[2:3], s[30:31], 8
	v_mov_b32_e32 v4, s3
	v_add_co_u32_e64 v6, s[2:3], s2, v8
	v_addc_co_u32_e64 v7, s[2:3], v9, v4, s[2:3]
	v_add_co_u32_e64 v4, s[2:3], v1, v2
	v_addc_co_u32_e64 v5, s[2:3], v0, v3, s[2:3]
	;; [unrolled: 2-line block ×3, first 2 shown]
	s_and_saveexec_b64 s[2:3], vcc
	s_cbranch_execz .LBB282_32
; %bb.31:
	global_load_dwordx4 v[6:9], v[4:5], off
	v_mul_f64 v[2:3], s[44:45], v[20:21]
	v_mul_f64 v[10:11], s[42:43], v[20:21]
	v_fma_f64 v[2:3], s[42:43], v[18:19], -v[2:3]
	v_fmac_f64_e32 v[10:11], s[44:45], v[18:19]
	s_waitcnt vmcnt(0)
	v_mul_f64 v[12:13], s[20:21], v[8:9]
	v_mul_f64 v[8:9], s[18:19], v[8:9]
	v_fma_f64 v[12:13], s[18:19], v[6:7], -v[12:13]
	v_fmac_f64_e32 v[8:9], s[20:21], v[6:7]
	v_add_f64 v[6:7], v[2:3], v[12:13]
	v_add_f64 v[8:9], v[10:11], v[8:9]
	global_store_dwordx4 v[0:1], v[6:9], off
.LBB282_32:
	s_or_b64 exec, exec, s[2:3]
	s_and_b64 exec, exec, s[0:1]
	s_cbranch_execz .LBB282_34
; %bb.33:
	global_load_dwordx4 v[2:5], v[4:5], off offset:256
	v_mul_f64 v[6:7], s[44:45], v[14:15]
	v_mul_f64 v[8:9], s[42:43], v[14:15]
	v_fma_f64 v[6:7], s[42:43], v[16:17], -v[6:7]
	v_fmac_f64_e32 v[8:9], s[44:45], v[16:17]
	s_waitcnt vmcnt(0)
	v_mul_f64 v[10:11], s[20:21], v[4:5]
	v_mul_f64 v[4:5], s[18:19], v[4:5]
	v_fma_f64 v[10:11], s[18:19], v[2:3], -v[10:11]
	v_fmac_f64_e32 v[4:5], s[20:21], v[2:3]
	v_add_f64 v[2:3], v[6:7], v[10:11]
	v_add_f64 v[4:5], v[8:9], v[4:5]
	global_store_dwordx4 v[0:1], v[2:5], off offset:256
.LBB282_34:
	s_endpgm
	.section	.rodata,"a",@progbits
	.p2align	6, 0x0
	.amdhsa_kernel _ZN12_GLOBAL__N_135rocblas_gemm_batched_general_kernelI19rocblas_complex_numIdELi16ELi16ELi32ELi32ELi8ELi32ELi8ELi8ELi32ELc84ELc78EKPKS2_S5_KPS2_EEvlllT_PT11_llSA_llS8_PT12_llPT13_lli
		.amdhsa_group_segment_fixed_size 8192
		.amdhsa_private_segment_fixed_size 0
		.amdhsa_kernarg_size 156
		.amdhsa_user_sgpr_count 6
		.amdhsa_user_sgpr_private_segment_buffer 1
		.amdhsa_user_sgpr_dispatch_ptr 0
		.amdhsa_user_sgpr_queue_ptr 0
		.amdhsa_user_sgpr_kernarg_segment_ptr 1
		.amdhsa_user_sgpr_dispatch_id 0
		.amdhsa_user_sgpr_flat_scratch_init 0
		.amdhsa_user_sgpr_kernarg_preload_length 0
		.amdhsa_user_sgpr_kernarg_preload_offset 0
		.amdhsa_user_sgpr_private_segment_size 0
		.amdhsa_uses_dynamic_stack 0
		.amdhsa_system_sgpr_private_segment_wavefront_offset 0
		.amdhsa_system_sgpr_workgroup_id_x 1
		.amdhsa_system_sgpr_workgroup_id_y 1
		.amdhsa_system_sgpr_workgroup_id_z 1
		.amdhsa_system_sgpr_workgroup_info 0
		.amdhsa_system_vgpr_workitem_id 1
		.amdhsa_next_free_vgpr 60
		.amdhsa_next_free_sgpr 52
		.amdhsa_accum_offset 60
		.amdhsa_reserve_vcc 1
		.amdhsa_reserve_flat_scratch 0
		.amdhsa_float_round_mode_32 0
		.amdhsa_float_round_mode_16_64 0
		.amdhsa_float_denorm_mode_32 3
		.amdhsa_float_denorm_mode_16_64 3
		.amdhsa_dx10_clamp 1
		.amdhsa_ieee_mode 1
		.amdhsa_fp16_overflow 0
		.amdhsa_tg_split 0
		.amdhsa_exception_fp_ieee_invalid_op 0
		.amdhsa_exception_fp_denorm_src 0
		.amdhsa_exception_fp_ieee_div_zero 0
		.amdhsa_exception_fp_ieee_overflow 0
		.amdhsa_exception_fp_ieee_underflow 0
		.amdhsa_exception_fp_ieee_inexact 0
		.amdhsa_exception_int_div_zero 0
	.end_amdhsa_kernel
	.section	.text._ZN12_GLOBAL__N_135rocblas_gemm_batched_general_kernelI19rocblas_complex_numIdELi16ELi16ELi32ELi32ELi8ELi32ELi8ELi8ELi32ELc84ELc78EKPKS2_S5_KPS2_EEvlllT_PT11_llSA_llS8_PT12_llPT13_lli,"axG",@progbits,_ZN12_GLOBAL__N_135rocblas_gemm_batched_general_kernelI19rocblas_complex_numIdELi16ELi16ELi32ELi32ELi8ELi32ELi8ELi8ELi32ELc84ELc78EKPKS2_S5_KPS2_EEvlllT_PT11_llSA_llS8_PT12_llPT13_lli,comdat
.Lfunc_end282:
	.size	_ZN12_GLOBAL__N_135rocblas_gemm_batched_general_kernelI19rocblas_complex_numIdELi16ELi16ELi32ELi32ELi8ELi32ELi8ELi8ELi32ELc84ELc78EKPKS2_S5_KPS2_EEvlllT_PT11_llSA_llS8_PT12_llPT13_lli, .Lfunc_end282-_ZN12_GLOBAL__N_135rocblas_gemm_batched_general_kernelI19rocblas_complex_numIdELi16ELi16ELi32ELi32ELi8ELi32ELi8ELi8ELi32ELc84ELc78EKPKS2_S5_KPS2_EEvlllT_PT11_llSA_llS8_PT12_llPT13_lli
                                        ; -- End function
	.section	.AMDGPU.csdata,"",@progbits
; Kernel info:
; codeLenInByte = 3892
; NumSgprs: 56
; NumVgprs: 60
; NumAgprs: 0
; TotalNumVgprs: 60
; ScratchSize: 0
; MemoryBound: 0
; FloatMode: 240
; IeeeMode: 1
; LDSByteSize: 8192 bytes/workgroup (compile time only)
; SGPRBlocks: 6
; VGPRBlocks: 7
; NumSGPRsForWavesPerEU: 56
; NumVGPRsForWavesPerEU: 60
; AccumOffset: 60
; Occupancy: 8
; WaveLimiterHint : 1
; COMPUTE_PGM_RSRC2:SCRATCH_EN: 0
; COMPUTE_PGM_RSRC2:USER_SGPR: 6
; COMPUTE_PGM_RSRC2:TRAP_HANDLER: 0
; COMPUTE_PGM_RSRC2:TGID_X_EN: 1
; COMPUTE_PGM_RSRC2:TGID_Y_EN: 1
; COMPUTE_PGM_RSRC2:TGID_Z_EN: 1
; COMPUTE_PGM_RSRC2:TIDIG_COMP_CNT: 1
; COMPUTE_PGM_RSRC3_GFX90A:ACCUM_OFFSET: 14
; COMPUTE_PGM_RSRC3_GFX90A:TG_SPLIT: 0
	.section	.text._ZN12_GLOBAL__N_135rocblas_gemm_batched_general_kernelI19rocblas_complex_numIdELi16ELi16ELi32ELi32ELi8ELi32ELi8ELi8ELi32ELc78ELc84EKPKS2_S5_KPS2_EEvlllT_PT11_llSA_llS8_PT12_llPT13_lli,"axG",@progbits,_ZN12_GLOBAL__N_135rocblas_gemm_batched_general_kernelI19rocblas_complex_numIdELi16ELi16ELi32ELi32ELi8ELi32ELi8ELi8ELi32ELc78ELc84EKPKS2_S5_KPS2_EEvlllT_PT11_llSA_llS8_PT12_llPT13_lli,comdat
	.globl	_ZN12_GLOBAL__N_135rocblas_gemm_batched_general_kernelI19rocblas_complex_numIdELi16ELi16ELi32ELi32ELi8ELi32ELi8ELi8ELi32ELc78ELc84EKPKS2_S5_KPS2_EEvlllT_PT11_llSA_llS8_PT12_llPT13_lli ; -- Begin function _ZN12_GLOBAL__N_135rocblas_gemm_batched_general_kernelI19rocblas_complex_numIdELi16ELi16ELi32ELi32ELi8ELi32ELi8ELi8ELi32ELc78ELc84EKPKS2_S5_KPS2_EEvlllT_PT11_llSA_llS8_PT12_llPT13_lli
	.p2align	8
	.type	_ZN12_GLOBAL__N_135rocblas_gemm_batched_general_kernelI19rocblas_complex_numIdELi16ELi16ELi32ELi32ELi8ELi32ELi8ELi8ELi32ELc78ELc84EKPKS2_S5_KPS2_EEvlllT_PT11_llSA_llS8_PT12_llPT13_lli,@function
_ZN12_GLOBAL__N_135rocblas_gemm_batched_general_kernelI19rocblas_complex_numIdELi16ELi16ELi32ELi32ELi8ELi32ELi8ELi8ELi32ELc78ELc84EKPKS2_S5_KPS2_EEvlllT_PT11_llSA_llS8_PT12_llPT13_lli: ; @_ZN12_GLOBAL__N_135rocblas_gemm_batched_general_kernelI19rocblas_complex_numIdELi16ELi16ELi32ELi32ELi8ELi32ELi8ELi8ELi32ELc78ELc84EKPKS2_S5_KPS2_EEvlllT_PT11_llSA_llS8_PT12_llPT13_lli
; %bb.0:
	s_load_dwordx16 s[36:51], s[4:5], 0x0
	s_load_dwordx16 s[12:27], s[4:5], 0x40
	s_load_dwordx2 s[34:35], s[4:5], 0x90
	s_load_dwordx4 s[28:31], s[4:5], 0x80
	s_mov_b32 s9, 0
	s_lshl_b64 s[0:1], s[8:9], 3
	s_waitcnt lgkmcnt(0)
	s_add_u32 s4, s22, s0
	s_addc_u32 s5, s23, s1
	s_load_dwordx2 s[8:9], s[4:5], 0x0
	s_add_u32 s4, s28, s0
	s_addc_u32 s5, s29, s1
	s_load_dwordx2 s[4:5], s[4:5], 0x0
	s_mov_b32 s2, s7
	s_ashr_i32 s7, s6, 31
	s_ashr_i32 s3, s2, 31
	v_cmp_lt_i64_e64 s[52:53], s[40:41], 1
	v_pk_mov_b32 v[26:27], 0, 0
	v_and_b32_e32 v7, 0x3ff, v0
	v_bfe_u32 v9, v0, 10, 10
	s_lshl_b64 s[10:11], s[6:7], 5
	s_lshl_b64 s[22:23], s[2:3], 5
	s_mov_b64 s[28:29], 0
	s_and_b64 vcc, exec, s[52:53]
	v_pk_mov_b32 v[28:29], v[26:27], v[26:27] op_sel:[0,1]
	v_pk_mov_b32 v[22:23], v[26:27], v[26:27] op_sel:[0,1]
	;; [unrolled: 1-line block ×7, first 2 shown]
	s_cbranch_vccnz .LBB283_11
; %bb.1:
	s_add_u32 s12, s12, s0
	v_lshl_add_u32 v1, v9, 4, v7
	s_addc_u32 s13, s13, s1
	v_lshrrev_b32_e32 v2, 3, v1
	v_mov_b32_e32 v5, s23
	v_add_co_u32_e32 v4, vcc, s22, v2
	s_add_u32 s0, s46, s0
	v_and_b32_e32 v8, 7, v7
	v_addc_co_u32_e32 v5, vcc, 0, v5, vcc
	s_addc_u32 s1, s47, s1
	s_load_dwordx2 s[46:47], s[0:1], 0x0
	v_cmp_gt_i64_e64 s[0:1], s[38:39], v[4:5]
	v_lshlrev_b32_e32 v4, 4, v8
	v_lshl_or_b32 v4, v2, 7, v4
	v_lshrrev_b32_e32 v6, 5, v1
	v_and_b32_e32 v1, 31, v1
	v_add_u32_e32 v31, 0x1000, v4
	v_mov_b32_e32 v4, 0x1000
	v_mov_b32_e32 v11, s11
	v_or_b32_e32 v10, s10, v1
	v_lshl_add_u32 v33, v9, 7, v4
	v_mad_u64_u32 v[4:5], s[52:53], s14, v8, 0
	v_cmp_gt_i64_e32 vcc, s[36:37], v[10:11]
	v_mov_b32_e32 v10, v5
	v_mad_u64_u32 v[10:11], s[52:53], s15, v8, v[10:11]
	s_lshl_b64 s[2:3], s[2:3], 9
	s_lshl_b64 s[16:17], s[16:17], 4
	v_mov_b32_e32 v5, v10
	s_add_u32 s2, s16, s2
	s_load_dwordx2 s[12:13], s[12:13], 0x0
	v_mov_b32_e32 v0, 0
	v_lshlrev_b64 v[4:5], 4, v[4:5]
	s_addc_u32 s3, s17, s3
	v_mov_b32_e32 v3, v0
	v_mov_b32_e32 v10, s3
	v_add_co_u32_e64 v4, s[2:3], s2, v4
	v_addc_co_u32_e64 v5, s[2:3], v10, v5, s[2:3]
	v_lshlrev_b64 v[2:3], 4, v[2:3]
	v_add_co_u32_e64 v2, s[2:3], v4, v2
	v_addc_co_u32_e64 v3, s[2:3], v5, v3, s[2:3]
	s_waitcnt lgkmcnt(0)
	v_mov_b32_e32 v4, s13
	v_add_co_u32_e64 v10, s[2:3], s12, v2
	v_addc_co_u32_e64 v11, s[2:3], v4, v3, s[2:3]
	v_mad_u64_u32 v[2:3], s[2:3], s48, v6, 0
	v_mov_b32_e32 v4, v3
	v_mad_u64_u32 v[4:5], s[2:3], s49, v6, v[4:5]
	s_lshl_b64 s[12:13], s[14:15], 7
	s_lshl_b64 s[2:3], s[6:7], 9
	;; [unrolled: 1-line block ×3, first 2 shown]
	v_mov_b32_e32 v3, v4
	s_add_u32 s2, s6, s2
	v_lshlrev_b64 v[2:3], 4, v[2:3]
	s_addc_u32 s3, s7, s3
	v_mov_b32_e32 v4, s3
	v_add_co_u32_e64 v2, s[2:3], s2, v2
	v_lshlrev_b32_e32 v1, 4, v1
	v_addc_co_u32_e64 v3, s[2:3], v4, v3, s[2:3]
	v_lshl_or_b32 v30, v6, 9, v1
	v_add_co_u32_e64 v1, s[2:3], v2, v1
	v_addc_co_u32_e64 v2, s[2:3], 0, v3, s[2:3]
	v_mov_b32_e32 v3, s47
	v_add_co_u32_e64 v12, s[2:3], s46, v1
	v_addc_co_u32_e64 v13, s[2:3], v3, v2, s[2:3]
	v_pk_mov_b32 v[14:15], 0, 0
	v_lshlrev_b32_e32 v32, 4, v7
	s_lshl_b64 s[2:3], s[48:49], 7
	s_xor_b64 s[6:7], vcc, -1
	s_xor_b64 s[0:1], s[0:1], -1
	v_pk_mov_b32 v[16:17], v[14:15], v[14:15] op_sel:[0,1]
	v_pk_mov_b32 v[20:21], v[14:15], v[14:15] op_sel:[0,1]
	;; [unrolled: 1-line block ×7, first 2 shown]
	s_branch .LBB283_3
.LBB283_2:                              ;   in Loop: Header=BB283_3 Depth=1
	s_or_b64 exec, exec, s[14:15]
	s_waitcnt lgkmcnt(0)
	s_barrier
	ds_read_b128 v[34:37], v32
	ds_read_b128 v[38:41], v33
	ds_read_b128 v[42:45], v33 offset:16
	ds_read_b128 v[46:49], v33 offset:32
	;; [unrolled: 1-line block ×4, first 2 shown]
	s_waitcnt lgkmcnt(4)
	v_mul_f64 v[54:55], v[40:41], v[36:37]
	v_fma_f64 v[54:55], v[38:39], v[34:35], -v[54:55]
	v_mul_f64 v[56:57], v[38:39], v[36:37]
	v_fmac_f64_e32 v[56:57], v[40:41], v[34:35]
	v_add_f64 v[54:55], v[26:27], v[54:55]
	s_waitcnt lgkmcnt(0)
	v_mul_f64 v[26:27], v[40:41], v[52:53]
	v_add_f64 v[56:57], v[28:29], v[56:57]
	v_fma_f64 v[58:59], v[38:39], v[50:51], -v[26:27]
	ds_read_b128 v[26:29], v33 offset:2048
	v_mul_f64 v[38:39], v[38:39], v[52:53]
	v_fmac_f64_e32 v[38:39], v[40:41], v[50:51]
	v_add_f64 v[40:41], v[22:23], v[58:59]
	v_add_f64 v[38:39], v[24:25], v[38:39]
	ds_read_b128 v[22:25], v33 offset:2064
	s_waitcnt lgkmcnt(1)
	v_mul_f64 v[58:59], v[28:29], v[36:37]
	v_fma_f64 v[58:59], v[26:27], v[34:35], -v[58:59]
	v_mul_f64 v[36:37], v[26:27], v[36:37]
	v_fmac_f64_e32 v[36:37], v[28:29], v[34:35]
	v_add_f64 v[34:35], v[18:19], v[58:59]
	v_mul_f64 v[18:19], v[28:29], v[52:53]
	v_add_f64 v[36:37], v[20:21], v[36:37]
	v_fma_f64 v[58:59], v[26:27], v[50:51], -v[18:19]
	v_mul_f64 v[26:27], v[26:27], v[52:53]
	ds_read_b128 v[18:21], v32 offset:512
	v_fmac_f64_e32 v[26:27], v[28:29], v[50:51]
	v_add_f64 v[28:29], v[16:17], v[58:59]
	v_add_f64 v[26:27], v[14:15], v[26:27]
	ds_read_b128 v[14:17], v32 offset:768
	s_waitcnt lgkmcnt(1)
	v_mul_f64 v[50:51], v[44:45], v[20:21]
	v_fma_f64 v[50:51], v[42:43], v[18:19], -v[50:51]
	v_add_f64 v[50:51], v[54:55], v[50:51]
	v_mul_f64 v[52:53], v[42:43], v[20:21]
	s_waitcnt lgkmcnt(0)
	v_mul_f64 v[54:55], v[44:45], v[16:17]
	v_fma_f64 v[54:55], v[42:43], v[14:15], -v[54:55]
	v_mul_f64 v[42:43], v[42:43], v[16:17]
	v_fmac_f64_e32 v[42:43], v[44:45], v[14:15]
	v_add_f64 v[38:39], v[38:39], v[42:43]
	v_mul_f64 v[42:43], v[24:25], v[20:21]
	v_mul_f64 v[20:21], v[22:23], v[20:21]
	v_fmac_f64_e32 v[52:53], v[44:45], v[18:19]
	v_fma_f64 v[42:43], v[22:23], v[18:19], -v[42:43]
	v_fmac_f64_e32 v[20:21], v[24:25], v[18:19]
	v_mul_f64 v[18:19], v[24:25], v[16:17]
	v_add_f64 v[44:45], v[36:37], v[20:21]
	v_fma_f64 v[20:21], v[22:23], v[14:15], -v[18:19]
	v_mul_f64 v[22:23], v[22:23], v[16:17]
	ds_read_b128 v[16:19], v32 offset:1024
	v_fmac_f64_e32 v[22:23], v[24:25], v[14:15]
	v_add_f64 v[40:41], v[40:41], v[54:55]
	v_add_f64 v[28:29], v[28:29], v[20:21]
	v_add_f64 v[54:55], v[26:27], v[22:23]
	ds_read_b128 v[20:23], v32 offset:1280
	s_waitcnt lgkmcnt(1)
	v_mul_f64 v[24:25], v[46:47], v[18:19]
	v_add_f64 v[52:53], v[56:57], v[52:53]
	v_fmac_f64_e32 v[24:25], v[48:49], v[16:17]
	v_add_f64 v[52:53], v[52:53], v[24:25]
	ds_read_b128 v[24:27], v33 offset:2080
	v_mul_f64 v[14:15], v[48:49], v[18:19]
	v_fma_f64 v[14:15], v[46:47], v[16:17], -v[14:15]
	v_add_f64 v[42:43], v[34:35], v[42:43]
	v_add_f64 v[50:51], v[50:51], v[14:15]
	s_waitcnt lgkmcnt(1)
	v_mul_f64 v[14:15], v[48:49], v[22:23]
	v_mul_f64 v[34:35], v[46:47], v[22:23]
	v_fma_f64 v[14:15], v[46:47], v[20:21], -v[14:15]
	v_fmac_f64_e32 v[34:35], v[48:49], v[20:21]
	v_add_f64 v[40:41], v[40:41], v[14:15]
	v_add_f64 v[38:39], v[38:39], v[34:35]
	ds_read_b128 v[34:37], v33 offset:2096
	s_waitcnt lgkmcnt(1)
	v_mul_f64 v[14:15], v[26:27], v[18:19]
	v_fma_f64 v[14:15], v[24:25], v[16:17], -v[14:15]
	v_mul_f64 v[18:19], v[24:25], v[18:19]
	v_fmac_f64_e32 v[18:19], v[26:27], v[16:17]
	v_add_f64 v[42:43], v[42:43], v[14:15]
	v_mul_f64 v[14:15], v[26:27], v[22:23]
	v_add_f64 v[44:45], v[44:45], v[18:19]
	v_fma_f64 v[18:19], v[24:25], v[20:21], -v[14:15]
	v_mul_f64 v[22:23], v[24:25], v[22:23]
	ds_read_b128 v[14:17], v32 offset:1536
	v_fmac_f64_e32 v[22:23], v[26:27], v[20:21]
	v_add_f64 v[24:25], v[28:29], v[18:19]
	ds_read_b128 v[18:21], v32 offset:1792
	v_add_f64 v[22:23], v[54:55], v[22:23]
	s_waitcnt lgkmcnt(1)
	v_mul_f64 v[26:27], v[4:5], v[16:17]
	v_fma_f64 v[26:27], v[2:3], v[14:15], -v[26:27]
	v_mul_f64 v[28:29], v[2:3], v[16:17]
	s_waitcnt lgkmcnt(0)
	v_mul_f64 v[46:47], v[4:5], v[20:21]
	v_fma_f64 v[46:47], v[2:3], v[18:19], -v[46:47]
	v_mul_f64 v[2:3], v[2:3], v[20:21]
	v_fmac_f64_e32 v[2:3], v[4:5], v[18:19]
	v_add_f64 v[38:39], v[38:39], v[2:3]
	v_mul_f64 v[2:3], v[36:37], v[16:17]
	v_fmac_f64_e32 v[28:29], v[4:5], v[14:15]
	v_fma_f64 v[2:3], v[34:35], v[14:15], -v[2:3]
	v_mul_f64 v[4:5], v[34:35], v[16:17]
	v_fmac_f64_e32 v[4:5], v[36:37], v[14:15]
	v_add_f64 v[42:43], v[42:43], v[2:3]
	v_mul_f64 v[2:3], v[36:37], v[20:21]
	v_add_f64 v[40:41], v[40:41], v[46:47]
	v_add_f64 v[44:45], v[44:45], v[4:5]
	v_fma_f64 v[46:47], v[34:35], v[18:19], -v[2:3]
	ds_read_b128 v[2:5], v33 offset:64
	ds_read_b128 v[14:17], v32 offset:2048
	v_mul_f64 v[20:21], v[34:35], v[20:21]
	v_fmac_f64_e32 v[20:21], v[36:37], v[18:19]
	v_add_f64 v[34:35], v[24:25], v[46:47]
	v_add_f64 v[36:37], v[22:23], v[20:21]
	ds_read_b128 v[18:21], v32 offset:2304
	ds_read_b128 v[22:25], v33 offset:80
	s_waitcnt lgkmcnt(2)
	v_mul_f64 v[46:47], v[4:5], v[16:17]
	v_add_f64 v[26:27], v[50:51], v[26:27]
	v_fma_f64 v[46:47], v[2:3], v[14:15], -v[46:47]
	v_mul_f64 v[48:49], v[2:3], v[16:17]
	v_add_f64 v[28:29], v[52:53], v[28:29]
	v_fmac_f64_e32 v[48:49], v[4:5], v[14:15]
	v_add_f64 v[46:47], v[26:27], v[46:47]
	s_waitcnt lgkmcnt(1)
	v_mul_f64 v[26:27], v[4:5], v[20:21]
	v_add_f64 v[48:49], v[28:29], v[48:49]
	v_fma_f64 v[50:51], v[2:3], v[18:19], -v[26:27]
	ds_read_b128 v[26:29], v33 offset:2112
	v_mul_f64 v[2:3], v[2:3], v[20:21]
	v_fmac_f64_e32 v[2:3], v[4:5], v[18:19]
	v_add_f64 v[40:41], v[40:41], v[50:51]
	v_add_f64 v[38:39], v[38:39], v[2:3]
	ds_read_b128 v[2:5], v33 offset:2128
	s_waitcnt lgkmcnt(1)
	v_mul_f64 v[50:51], v[28:29], v[16:17]
	v_mul_f64 v[16:17], v[26:27], v[16:17]
	v_fma_f64 v[50:51], v[26:27], v[14:15], -v[50:51]
	v_fmac_f64_e32 v[16:17], v[28:29], v[14:15]
	v_mul_f64 v[14:15], v[28:29], v[20:21]
	v_add_f64 v[42:43], v[42:43], v[50:51]
	v_add_f64 v[44:45], v[44:45], v[16:17]
	v_fma_f64 v[50:51], v[26:27], v[18:19], -v[14:15]
	v_mul_f64 v[20:21], v[26:27], v[20:21]
	ds_read_b128 v[14:17], v32 offset:2560
	v_fmac_f64_e32 v[20:21], v[28:29], v[18:19]
	v_add_f64 v[28:29], v[36:37], v[20:21]
	ds_read_b128 v[18:21], v32 offset:2816
	v_add_f64 v[26:27], v[34:35], v[50:51]
	s_waitcnt lgkmcnt(1)
	v_mul_f64 v[34:35], v[24:25], v[16:17]
	v_fma_f64 v[34:35], v[22:23], v[14:15], -v[34:35]
	v_add_f64 v[34:35], v[46:47], v[34:35]
	s_waitcnt lgkmcnt(0)
	v_mul_f64 v[46:47], v[24:25], v[20:21]
	v_mul_f64 v[36:37], v[22:23], v[16:17]
	v_fma_f64 v[46:47], v[22:23], v[18:19], -v[46:47]
	v_mul_f64 v[22:23], v[22:23], v[20:21]
	v_fmac_f64_e32 v[22:23], v[24:25], v[18:19]
	v_add_f64 v[38:39], v[38:39], v[22:23]
	v_mul_f64 v[22:23], v[4:5], v[16:17]
	v_mul_f64 v[16:17], v[2:3], v[16:17]
	v_fmac_f64_e32 v[36:37], v[24:25], v[14:15]
	v_fma_f64 v[22:23], v[2:3], v[14:15], -v[22:23]
	v_fmac_f64_e32 v[16:17], v[4:5], v[14:15]
	v_mul_f64 v[14:15], v[4:5], v[20:21]
	v_mul_f64 v[20:21], v[2:3], v[20:21]
	v_add_f64 v[42:43], v[42:43], v[22:23]
	v_add_f64 v[44:45], v[44:45], v[16:17]
	v_fma_f64 v[22:23], v[2:3], v[18:19], -v[14:15]
	v_fmac_f64_e32 v[20:21], v[4:5], v[18:19]
	ds_read_b128 v[2:5], v33 offset:96
	ds_read_b128 v[14:17], v32 offset:3072
	v_add_f64 v[36:37], v[48:49], v[36:37]
	v_add_f64 v[40:41], v[40:41], v[46:47]
	;; [unrolled: 1-line block ×4, first 2 shown]
	ds_read_b128 v[18:21], v32 offset:3328
	ds_read_b128 v[22:25], v33 offset:112
	s_waitcnt lgkmcnt(2)
	v_mul_f64 v[26:27], v[4:5], v[16:17]
	v_fma_f64 v[26:27], v[2:3], v[14:15], -v[26:27]
	v_mul_f64 v[28:29], v[2:3], v[16:17]
	v_fmac_f64_e32 v[28:29], v[4:5], v[14:15]
	v_add_f64 v[50:51], v[34:35], v[26:27]
	s_waitcnt lgkmcnt(1)
	v_mul_f64 v[26:27], v[4:5], v[20:21]
	v_add_f64 v[52:53], v[36:37], v[28:29]
	v_fma_f64 v[34:35], v[2:3], v[18:19], -v[26:27]
	ds_read_b128 v[26:29], v33 offset:2144
	v_mul_f64 v[2:3], v[2:3], v[20:21]
	v_fmac_f64_e32 v[2:3], v[4:5], v[18:19]
	v_add_f64 v[40:41], v[40:41], v[34:35]
	v_add_f64 v[38:39], v[38:39], v[2:3]
	ds_read_b128 v[2:5], v33 offset:2160
	s_waitcnt lgkmcnt(1)
	v_mul_f64 v[34:35], v[28:29], v[16:17]
	v_mul_f64 v[16:17], v[26:27], v[16:17]
	v_fma_f64 v[34:35], v[26:27], v[14:15], -v[34:35]
	v_fmac_f64_e32 v[16:17], v[28:29], v[14:15]
	v_mul_f64 v[14:15], v[28:29], v[20:21]
	v_add_f64 v[42:43], v[42:43], v[34:35]
	v_add_f64 v[44:45], v[44:45], v[16:17]
	v_fma_f64 v[34:35], v[26:27], v[18:19], -v[14:15]
	ds_read_b128 v[14:17], v32 offset:3584
	v_add_f64 v[46:47], v[46:47], v[34:35]
	ds_read_b128 v[34:37], v32 offset:3840
	v_mul_f64 v[20:21], v[26:27], v[20:21]
	v_fmac_f64_e32 v[20:21], v[28:29], v[18:19]
	s_waitcnt lgkmcnt(1)
	v_mul_f64 v[18:19], v[24:25], v[16:17]
	v_fma_f64 v[18:19], v[22:23], v[14:15], -v[18:19]
	v_add_f64 v[48:49], v[48:49], v[20:21]
	v_mul_f64 v[20:21], v[22:23], v[16:17]
	v_add_f64 v[26:27], v[50:51], v[18:19]
	s_waitcnt lgkmcnt(0)
	v_mul_f64 v[18:19], v[24:25], v[36:37]
	v_fmac_f64_e32 v[20:21], v[24:25], v[14:15]
	v_fma_f64 v[18:19], v[22:23], v[34:35], -v[18:19]
	v_add_f64 v[28:29], v[52:53], v[20:21]
	v_mul_f64 v[20:21], v[22:23], v[36:37]
	v_add_f64 v[22:23], v[40:41], v[18:19]
	v_mul_f64 v[18:19], v[4:5], v[16:17]
	v_mul_f64 v[16:17], v[2:3], v[16:17]
	v_fma_f64 v[18:19], v[2:3], v[14:15], -v[18:19]
	v_fmac_f64_e32 v[16:17], v[4:5], v[14:15]
	v_mul_f64 v[14:15], v[4:5], v[36:37]
	v_mov_b32_e32 v1, s13
	v_add_co_u32_e32 v10, vcc, s12, v10
	v_fma_f64 v[14:15], v[2:3], v[34:35], -v[14:15]
	v_mul_f64 v[2:3], v[2:3], v[36:37]
	v_addc_co_u32_e32 v11, vcc, v11, v1, vcc
	v_fmac_f64_e32 v[20:21], v[24:25], v[34:35]
	v_fmac_f64_e32 v[2:3], v[4:5], v[34:35]
	s_add_u32 s28, s28, 8
	v_mov_b32_e32 v1, s3
	v_add_co_u32_e32 v12, vcc, s2, v12
	v_add_f64 v[24:25], v[38:39], v[20:21]
	v_add_f64 v[20:21], v[44:45], v[16:17]
	;; [unrolled: 1-line block ×4, first 2 shown]
	s_addc_u32 s29, s29, 0
	v_addc_co_u32_e32 v13, vcc, v13, v1, vcc
	v_pk_mov_b32 v[2:3], s[40:41], s[40:41] op_sel:[0,1]
	v_cmp_lt_i64_e32 vcc, s[28:29], v[2:3]
	v_add_f64 v[18:19], v[42:43], v[18:19]
	s_barrier
	s_cbranch_vccz .LBB283_11
.LBB283_3:                              ; =>This Inner Loop Header: Depth=1
	v_mov_b32_e32 v1, s29
	v_add_co_u32_e32 v2, vcc, s28, v6
	v_addc_co_u32_e32 v3, vcc, 0, v1, vcc
	v_cmp_le_i64_e32 vcc, s[40:41], v[2:3]
	s_or_b64 s[14:15], s[6:7], vcc
	s_and_saveexec_b64 s[16:17], s[14:15]
	s_xor_b64 s[14:15], exec, s[16:17]
	s_cbranch_execz .LBB283_5
; %bb.4:                                ;   in Loop: Header=BB283_3 Depth=1
	v_mov_b32_e32 v1, v0
	v_mov_b32_e32 v2, v0
	;; [unrolled: 1-line block ×3, first 2 shown]
	ds_write_b128 v30, v[0:3]
.LBB283_5:                              ;   in Loop: Header=BB283_3 Depth=1
	s_andn2_saveexec_b64 s[14:15], s[14:15]
	s_cbranch_execz .LBB283_7
; %bb.6:                                ;   in Loop: Header=BB283_3 Depth=1
	global_load_dwordx4 v[2:5], v[12:13], off
	s_waitcnt vmcnt(0)
	ds_write2_b64 v30, v[2:3], v[4:5] offset1:1
.LBB283_7:                              ;   in Loop: Header=BB283_3 Depth=1
	s_or_b64 exec, exec, s[14:15]
	v_mov_b32_e32 v1, s29
	v_add_co_u32_e32 v2, vcc, s28, v8
	v_addc_co_u32_e32 v3, vcc, 0, v1, vcc
	v_cmp_le_i64_e32 vcc, s[40:41], v[2:3]
	s_or_b64 s[14:15], vcc, s[0:1]
	s_and_saveexec_b64 s[16:17], s[14:15]
	s_xor_b64 s[14:15], exec, s[16:17]
	s_cbranch_execz .LBB283_9
; %bb.8:                                ;   in Loop: Header=BB283_3 Depth=1
	v_mov_b32_e32 v1, v0
	v_mov_b32_e32 v2, v0
	v_mov_b32_e32 v3, v0
	ds_write_b128 v31, v[0:3]
.LBB283_9:                              ;   in Loop: Header=BB283_3 Depth=1
	s_andn2_saveexec_b64 s[14:15], s[14:15]
	s_cbranch_execz .LBB283_2
; %bb.10:                               ;   in Loop: Header=BB283_3 Depth=1
	global_load_dwordx4 v[2:5], v[10:11], off
	s_waitcnt vmcnt(0)
	ds_write2_b64 v31, v[2:3], v[4:5] offset1:1
	s_branch .LBB283_2
.LBB283_11:
	s_lshl_b64 s[0:1], s[34:35], 4
	s_waitcnt lgkmcnt(0)
	s_add_u32 s14, s4, s0
	s_addc_u32 s15, s5, s1
	v_mov_b32_e32 v1, s23
	v_add_co_u32_e32 v0, vcc, s22, v9
	v_cmp_neq_f64_e64 s[0:1], s[18:19], 0
	v_cmp_neq_f64_e64 s[2:3], s[20:21], 0
	v_addc_co_u32_e32 v1, vcc, 0, v1, vcc
	s_or_b64 s[4:5], s[0:1], s[2:3]
	v_cmp_gt_i64_e64 s[0:1], s[38:39], v[0:1]
	s_mov_b64 s[2:3], -1
	s_and_b64 vcc, exec, s[4:5]
	s_cbranch_vccnz .LBB283_23
; %bb.12:
	s_and_saveexec_b64 s[6:7], s[0:1]
	s_cbranch_execz .LBB283_22
; %bb.13:
	v_mov_b32_e32 v2, s11
	v_add_co_u32_e32 v4, vcc, s10, v7
	v_addc_co_u32_e32 v5, vcc, 0, v2, vcc
	v_mul_lo_u32 v6, v1, s30
	v_mul_lo_u32 v8, v0, s31
	v_mad_u64_u32 v[2:3], s[2:3], v0, s30, 0
	v_add3_u32 v3, v3, v8, v6
	v_lshlrev_b64 v[2:3], 4, v[2:3]
	v_mov_b32_e32 v8, s15
	v_add_co_u32_e64 v6, s[2:3], s14, v2
	v_cmp_gt_i64_e32 vcc, s[36:37], v[4:5]
	v_addc_co_u32_e64 v8, s[2:3], v8, v3, s[2:3]
	v_lshlrev_b64 v[2:3], 4, v[4:5]
	s_and_saveexec_b64 s[4:5], vcc
	s_cbranch_execz .LBB283_15
; %bb.14:
	v_mul_f64 v[10:11], s[44:45], v[28:29]
	v_mul_f64 v[12:13], s[42:43], v[28:29]
	v_add_co_u32_e64 v30, s[2:3], v6, v2
	v_fma_f64 v[10:11], s[42:43], v[26:27], -v[10:11]
	v_fmac_f64_e32 v[12:13], s[44:45], v[26:27]
	v_addc_co_u32_e64 v31, s[2:3], v8, v3, s[2:3]
	global_store_dwordx4 v[30:31], v[10:13], off
.LBB283_15:
	s_or_b64 exec, exec, s[4:5]
	v_add_co_u32_e64 v4, s[2:3], 16, v4
	v_addc_co_u32_e64 v5, s[2:3], 0, v5, s[2:3]
	v_cmp_gt_i64_e64 s[2:3], s[36:37], v[4:5]
	s_and_saveexec_b64 s[12:13], s[2:3]
	s_cbranch_execz .LBB283_17
; %bb.16:
	v_mul_f64 v[4:5], s[44:45], v[24:25]
	v_fma_f64 v[10:11], s[42:43], v[22:23], -v[4:5]
	v_mul_f64 v[12:13], s[42:43], v[24:25]
	v_add_co_u32_e64 v4, s[4:5], v6, v2
	v_fmac_f64_e32 v[12:13], s[44:45], v[22:23]
	v_addc_co_u32_e64 v5, s[4:5], v8, v3, s[4:5]
	global_store_dwordx4 v[4:5], v[10:13], off offset:256
.LBB283_17:
	s_or_b64 exec, exec, s[12:13]
	v_add_co_u32_e64 v4, s[4:5], 16, v0
	v_addc_co_u32_e64 v5, s[4:5], 0, v1, s[4:5]
	v_cmp_gt_i64_e64 s[4:5], s[38:39], v[4:5]
	s_and_b64 exec, exec, s[4:5]
	s_cbranch_execz .LBB283_22
; %bb.18:
	s_lshl_b64 s[4:5], s[30:31], 8
	v_mov_b32_e32 v4, s5
	v_add_co_u32_e64 v5, s[4:5], s4, v6
	v_addc_co_u32_e64 v4, s[4:5], v8, v4, s[4:5]
	v_add_co_u32_e64 v2, s[4:5], v5, v2
	v_addc_co_u32_e64 v3, s[4:5], v4, v3, s[4:5]
	s_and_saveexec_b64 s[4:5], vcc
	s_cbranch_execz .LBB283_20
; %bb.19:
	v_mul_f64 v[4:5], s[44:45], v[20:21]
	v_mul_f64 v[10:11], s[42:43], v[20:21]
	v_fma_f64 v[8:9], s[42:43], v[18:19], -v[4:5]
	v_fmac_f64_e32 v[10:11], s[44:45], v[18:19]
	global_store_dwordx4 v[2:3], v[8:11], off
.LBB283_20:
	s_or_b64 exec, exec, s[4:5]
	s_and_b64 exec, exec, s[2:3]
	s_cbranch_execz .LBB283_22
; %bb.21:
	v_mul_f64 v[4:5], s[44:45], v[14:15]
	v_mul_f64 v[10:11], s[42:43], v[14:15]
	v_fma_f64 v[8:9], s[42:43], v[16:17], -v[4:5]
	v_fmac_f64_e32 v[10:11], s[44:45], v[16:17]
	global_store_dwordx4 v[2:3], v[8:11], off offset:256
.LBB283_22:
	s_or_b64 exec, exec, s[6:7]
	s_mov_b64 s[2:3], 0
.LBB283_23:
	s_andn2_b64 vcc, exec, s[2:3]
	s_cbranch_vccnz .LBB283_34
; %bb.24:
	s_and_saveexec_b64 s[2:3], s[0:1]
	s_cbranch_execz .LBB283_34
; %bb.25:
	s_lshl_b64 s[0:1], s[26:27], 4
	s_add_u32 s2, s8, s0
	v_mov_b32_e32 v2, s11
	v_add_co_u32_e32 v4, vcc, s10, v7
	s_addc_u32 s3, s9, s1
	v_addc_co_u32_e32 v5, vcc, 0, v2, vcc
	v_mul_lo_u32 v6, v1, s24
	v_mul_lo_u32 v7, v0, s25
	v_mad_u64_u32 v[2:3], s[0:1], v0, s24, 0
	v_add3_u32 v3, v3, v7, v6
	v_mul_lo_u32 v6, v1, s30
	v_mul_lo_u32 v7, v0, s31
	v_mad_u64_u32 v[8:9], s[0:1], v0, s30, 0
	v_lshlrev_b64 v[2:3], 4, v[2:3]
	v_add3_u32 v9, v9, v7, v6
	v_mov_b32_e32 v7, s3
	v_add_co_u32_e64 v6, s[0:1], s2, v2
	v_addc_co_u32_e64 v7, s[0:1], v7, v3, s[0:1]
	v_lshlrev_b64 v[2:3], 4, v[8:9]
	v_mov_b32_e32 v9, s15
	v_add_co_u32_e64 v8, s[0:1], s14, v2
	v_cmp_gt_i64_e32 vcc, s[36:37], v[4:5]
	v_addc_co_u32_e64 v9, s[0:1], v9, v3, s[0:1]
	v_lshlrev_b64 v[2:3], 4, v[4:5]
	s_and_saveexec_b64 s[2:3], vcc
	s_cbranch_execz .LBB283_27
; %bb.26:
	v_add_co_u32_e64 v10, s[0:1], v6, v2
	v_addc_co_u32_e64 v11, s[0:1], v7, v3, s[0:1]
	global_load_dwordx4 v[10:13], v[10:11], off
	v_mul_f64 v[30:31], s[44:45], v[28:29]
	v_mul_f64 v[28:29], s[42:43], v[28:29]
	v_fma_f64 v[30:31], s[42:43], v[26:27], -v[30:31]
	v_fmac_f64_e32 v[28:29], s[44:45], v[26:27]
	s_waitcnt vmcnt(0)
	v_mul_f64 v[26:27], s[20:21], v[12:13]
	v_mul_f64 v[12:13], s[18:19], v[12:13]
	v_fma_f64 v[26:27], s[18:19], v[10:11], -v[26:27]
	v_fmac_f64_e32 v[12:13], s[20:21], v[10:11]
	v_add_f64 v[10:11], v[30:31], v[26:27]
	v_add_co_u32_e64 v26, s[0:1], v8, v2
	v_add_f64 v[12:13], v[28:29], v[12:13]
	v_addc_co_u32_e64 v27, s[0:1], v9, v3, s[0:1]
	global_store_dwordx4 v[26:27], v[10:13], off
.LBB283_27:
	s_or_b64 exec, exec, s[2:3]
	v_add_co_u32_e64 v4, s[0:1], 16, v4
	v_addc_co_u32_e64 v5, s[0:1], 0, v5, s[0:1]
	v_cmp_gt_i64_e64 s[0:1], s[36:37], v[4:5]
	s_and_saveexec_b64 s[4:5], s[0:1]
	s_cbranch_execz .LBB283_29
; %bb.28:
	v_add_co_u32_e64 v4, s[2:3], v6, v2
	v_addc_co_u32_e64 v5, s[2:3], v7, v3, s[2:3]
	global_load_dwordx4 v[10:13], v[4:5], off offset:256
	v_mul_f64 v[4:5], s[44:45], v[24:25]
	v_mul_f64 v[24:25], s[42:43], v[24:25]
	v_fma_f64 v[4:5], s[42:43], v[22:23], -v[4:5]
	v_fmac_f64_e32 v[24:25], s[44:45], v[22:23]
	s_waitcnt vmcnt(0)
	v_mul_f64 v[22:23], s[20:21], v[12:13]
	v_mul_f64 v[12:13], s[18:19], v[12:13]
	v_fma_f64 v[22:23], s[18:19], v[10:11], -v[22:23]
	v_fmac_f64_e32 v[12:13], s[20:21], v[10:11]
	v_add_f64 v[10:11], v[4:5], v[22:23]
	v_add_co_u32_e64 v4, s[2:3], v8, v2
	v_add_f64 v[12:13], v[24:25], v[12:13]
	v_addc_co_u32_e64 v5, s[2:3], v9, v3, s[2:3]
	global_store_dwordx4 v[4:5], v[10:13], off offset:256
.LBB283_29:
	s_or_b64 exec, exec, s[4:5]
	v_add_co_u32_e64 v0, s[2:3], 16, v0
	v_addc_co_u32_e64 v1, s[2:3], 0, v1, s[2:3]
	v_cmp_gt_i64_e64 s[2:3], s[38:39], v[0:1]
	s_and_b64 exec, exec, s[2:3]
	s_cbranch_execz .LBB283_34
; %bb.30:
	s_lshl_b64 s[2:3], s[24:25], 8
	v_mov_b32_e32 v0, s3
	v_add_co_u32_e64 v1, s[2:3], s2, v6
	v_addc_co_u32_e64 v0, s[2:3], v7, v0, s[2:3]
	s_lshl_b64 s[2:3], s[30:31], 8
	v_mov_b32_e32 v4, s3
	v_add_co_u32_e64 v6, s[2:3], s2, v8
	v_addc_co_u32_e64 v7, s[2:3], v9, v4, s[2:3]
	v_add_co_u32_e64 v4, s[2:3], v1, v2
	v_addc_co_u32_e64 v5, s[2:3], v0, v3, s[2:3]
	v_add_co_u32_e64 v0, s[2:3], v6, v2
	v_addc_co_u32_e64 v1, s[2:3], v7, v3, s[2:3]
	s_and_saveexec_b64 s[2:3], vcc
	s_cbranch_execz .LBB283_32
; %bb.31:
	global_load_dwordx4 v[6:9], v[4:5], off
	v_mul_f64 v[2:3], s[44:45], v[20:21]
	v_mul_f64 v[10:11], s[42:43], v[20:21]
	v_fma_f64 v[2:3], s[42:43], v[18:19], -v[2:3]
	v_fmac_f64_e32 v[10:11], s[44:45], v[18:19]
	s_waitcnt vmcnt(0)
	v_mul_f64 v[12:13], s[20:21], v[8:9]
	v_mul_f64 v[8:9], s[18:19], v[8:9]
	v_fma_f64 v[12:13], s[18:19], v[6:7], -v[12:13]
	v_fmac_f64_e32 v[8:9], s[20:21], v[6:7]
	v_add_f64 v[6:7], v[2:3], v[12:13]
	v_add_f64 v[8:9], v[10:11], v[8:9]
	global_store_dwordx4 v[0:1], v[6:9], off
.LBB283_32:
	s_or_b64 exec, exec, s[2:3]
	s_and_b64 exec, exec, s[0:1]
	s_cbranch_execz .LBB283_34
; %bb.33:
	global_load_dwordx4 v[2:5], v[4:5], off offset:256
	v_mul_f64 v[6:7], s[44:45], v[14:15]
	v_mul_f64 v[8:9], s[42:43], v[14:15]
	v_fma_f64 v[6:7], s[42:43], v[16:17], -v[6:7]
	v_fmac_f64_e32 v[8:9], s[44:45], v[16:17]
	s_waitcnt vmcnt(0)
	v_mul_f64 v[10:11], s[20:21], v[4:5]
	v_mul_f64 v[4:5], s[18:19], v[4:5]
	v_fma_f64 v[10:11], s[18:19], v[2:3], -v[10:11]
	v_fmac_f64_e32 v[4:5], s[20:21], v[2:3]
	v_add_f64 v[2:3], v[6:7], v[10:11]
	v_add_f64 v[4:5], v[8:9], v[4:5]
	global_store_dwordx4 v[0:1], v[2:5], off offset:256
.LBB283_34:
	s_endpgm
	.section	.rodata,"a",@progbits
	.p2align	6, 0x0
	.amdhsa_kernel _ZN12_GLOBAL__N_135rocblas_gemm_batched_general_kernelI19rocblas_complex_numIdELi16ELi16ELi32ELi32ELi8ELi32ELi8ELi8ELi32ELc78ELc84EKPKS2_S5_KPS2_EEvlllT_PT11_llSA_llS8_PT12_llPT13_lli
		.amdhsa_group_segment_fixed_size 8192
		.amdhsa_private_segment_fixed_size 0
		.amdhsa_kernarg_size 156
		.amdhsa_user_sgpr_count 6
		.amdhsa_user_sgpr_private_segment_buffer 1
		.amdhsa_user_sgpr_dispatch_ptr 0
		.amdhsa_user_sgpr_queue_ptr 0
		.amdhsa_user_sgpr_kernarg_segment_ptr 1
		.amdhsa_user_sgpr_dispatch_id 0
		.amdhsa_user_sgpr_flat_scratch_init 0
		.amdhsa_user_sgpr_kernarg_preload_length 0
		.amdhsa_user_sgpr_kernarg_preload_offset 0
		.amdhsa_user_sgpr_private_segment_size 0
		.amdhsa_uses_dynamic_stack 0
		.amdhsa_system_sgpr_private_segment_wavefront_offset 0
		.amdhsa_system_sgpr_workgroup_id_x 1
		.amdhsa_system_sgpr_workgroup_id_y 1
		.amdhsa_system_sgpr_workgroup_id_z 1
		.amdhsa_system_sgpr_workgroup_info 0
		.amdhsa_system_vgpr_workitem_id 1
		.amdhsa_next_free_vgpr 60
		.amdhsa_next_free_sgpr 54
		.amdhsa_accum_offset 60
		.amdhsa_reserve_vcc 1
		.amdhsa_reserve_flat_scratch 0
		.amdhsa_float_round_mode_32 0
		.amdhsa_float_round_mode_16_64 0
		.amdhsa_float_denorm_mode_32 3
		.amdhsa_float_denorm_mode_16_64 3
		.amdhsa_dx10_clamp 1
		.amdhsa_ieee_mode 1
		.amdhsa_fp16_overflow 0
		.amdhsa_tg_split 0
		.amdhsa_exception_fp_ieee_invalid_op 0
		.amdhsa_exception_fp_denorm_src 0
		.amdhsa_exception_fp_ieee_div_zero 0
		.amdhsa_exception_fp_ieee_overflow 0
		.amdhsa_exception_fp_ieee_underflow 0
		.amdhsa_exception_fp_ieee_inexact 0
		.amdhsa_exception_int_div_zero 0
	.end_amdhsa_kernel
	.section	.text._ZN12_GLOBAL__N_135rocblas_gemm_batched_general_kernelI19rocblas_complex_numIdELi16ELi16ELi32ELi32ELi8ELi32ELi8ELi8ELi32ELc78ELc84EKPKS2_S5_KPS2_EEvlllT_PT11_llSA_llS8_PT12_llPT13_lli,"axG",@progbits,_ZN12_GLOBAL__N_135rocblas_gemm_batched_general_kernelI19rocblas_complex_numIdELi16ELi16ELi32ELi32ELi8ELi32ELi8ELi8ELi32ELc78ELc84EKPKS2_S5_KPS2_EEvlllT_PT11_llSA_llS8_PT12_llPT13_lli,comdat
.Lfunc_end283:
	.size	_ZN12_GLOBAL__N_135rocblas_gemm_batched_general_kernelI19rocblas_complex_numIdELi16ELi16ELi32ELi32ELi8ELi32ELi8ELi8ELi32ELc78ELc84EKPKS2_S5_KPS2_EEvlllT_PT11_llSA_llS8_PT12_llPT13_lli, .Lfunc_end283-_ZN12_GLOBAL__N_135rocblas_gemm_batched_general_kernelI19rocblas_complex_numIdELi16ELi16ELi32ELi32ELi8ELi32ELi8ELi8ELi32ELc78ELc84EKPKS2_S5_KPS2_EEvlllT_PT11_llSA_llS8_PT12_llPT13_lli
                                        ; -- End function
	.section	.AMDGPU.csdata,"",@progbits
; Kernel info:
; codeLenInByte = 3896
; NumSgprs: 58
; NumVgprs: 60
; NumAgprs: 0
; TotalNumVgprs: 60
; ScratchSize: 0
; MemoryBound: 0
; FloatMode: 240
; IeeeMode: 1
; LDSByteSize: 8192 bytes/workgroup (compile time only)
; SGPRBlocks: 7
; VGPRBlocks: 7
; NumSGPRsForWavesPerEU: 58
; NumVGPRsForWavesPerEU: 60
; AccumOffset: 60
; Occupancy: 8
; WaveLimiterHint : 1
; COMPUTE_PGM_RSRC2:SCRATCH_EN: 0
; COMPUTE_PGM_RSRC2:USER_SGPR: 6
; COMPUTE_PGM_RSRC2:TRAP_HANDLER: 0
; COMPUTE_PGM_RSRC2:TGID_X_EN: 1
; COMPUTE_PGM_RSRC2:TGID_Y_EN: 1
; COMPUTE_PGM_RSRC2:TGID_Z_EN: 1
; COMPUTE_PGM_RSRC2:TIDIG_COMP_CNT: 1
; COMPUTE_PGM_RSRC3_GFX90A:ACCUM_OFFSET: 14
; COMPUTE_PGM_RSRC3_GFX90A:TG_SPLIT: 0
	.section	.text._ZN12_GLOBAL__N_135rocblas_gemm_batched_general_kernelI19rocblas_complex_numIdELi16ELi16ELi32ELi32ELi8ELi32ELi8ELi8ELi32ELc84ELc84EKPKS2_S5_KPS2_EEvlllT_PT11_llSA_llS8_PT12_llPT13_lli,"axG",@progbits,_ZN12_GLOBAL__N_135rocblas_gemm_batched_general_kernelI19rocblas_complex_numIdELi16ELi16ELi32ELi32ELi8ELi32ELi8ELi8ELi32ELc84ELc84EKPKS2_S5_KPS2_EEvlllT_PT11_llSA_llS8_PT12_llPT13_lli,comdat
	.globl	_ZN12_GLOBAL__N_135rocblas_gemm_batched_general_kernelI19rocblas_complex_numIdELi16ELi16ELi32ELi32ELi8ELi32ELi8ELi8ELi32ELc84ELc84EKPKS2_S5_KPS2_EEvlllT_PT11_llSA_llS8_PT12_llPT13_lli ; -- Begin function _ZN12_GLOBAL__N_135rocblas_gemm_batched_general_kernelI19rocblas_complex_numIdELi16ELi16ELi32ELi32ELi8ELi32ELi8ELi8ELi32ELc84ELc84EKPKS2_S5_KPS2_EEvlllT_PT11_llSA_llS8_PT12_llPT13_lli
	.p2align	8
	.type	_ZN12_GLOBAL__N_135rocblas_gemm_batched_general_kernelI19rocblas_complex_numIdELi16ELi16ELi32ELi32ELi8ELi32ELi8ELi8ELi32ELc84ELc84EKPKS2_S5_KPS2_EEvlllT_PT11_llSA_llS8_PT12_llPT13_lli,@function
_ZN12_GLOBAL__N_135rocblas_gemm_batched_general_kernelI19rocblas_complex_numIdELi16ELi16ELi32ELi32ELi8ELi32ELi8ELi8ELi32ELc84ELc84EKPKS2_S5_KPS2_EEvlllT_PT11_llSA_llS8_PT12_llPT13_lli: ; @_ZN12_GLOBAL__N_135rocblas_gemm_batched_general_kernelI19rocblas_complex_numIdELi16ELi16ELi32ELi32ELi8ELi32ELi8ELi8ELi32ELc84ELc84EKPKS2_S5_KPS2_EEvlllT_PT11_llSA_llS8_PT12_llPT13_lli
; %bb.0:
	s_load_dwordx16 s[36:51], s[4:5], 0x0
	s_load_dwordx16 s[12:27], s[4:5], 0x40
	s_load_dwordx2 s[10:11], s[4:5], 0x90
	s_load_dwordx4 s[28:31], s[4:5], 0x80
	s_mov_b32 s9, 0
	s_lshl_b64 s[0:1], s[8:9], 3
	s_waitcnt lgkmcnt(0)
	s_add_u32 s4, s22, s0
	s_addc_u32 s5, s23, s1
	s_load_dwordx2 s[8:9], s[4:5], 0x0
	s_add_u32 s4, s28, s0
	s_addc_u32 s5, s29, s1
	s_load_dwordx2 s[4:5], s[4:5], 0x0
	s_mov_b32 s2, s7
	s_ashr_i32 s7, s6, 31
	s_ashr_i32 s3, s2, 31
	v_cmp_lt_i64_e64 s[34:35], s[40:41], 1
	v_pk_mov_b32 v[26:27], 0, 0
	v_and_b32_e32 v7, 0x3ff, v0
	v_bfe_u32 v9, v0, 10, 10
	s_lshl_b64 s[6:7], s[6:7], 5
	s_lshl_b64 s[22:23], s[2:3], 5
	s_mov_b64 s[28:29], 0
	s_and_b64 vcc, exec, s[34:35]
	v_pk_mov_b32 v[28:29], v[26:27], v[26:27] op_sel:[0,1]
	v_pk_mov_b32 v[22:23], v[26:27], v[26:27] op_sel:[0,1]
	;; [unrolled: 1-line block ×7, first 2 shown]
	s_cbranch_vccnz .LBB284_11
; %bb.1:
	s_add_u32 s12, s12, s0
	v_lshl_add_u32 v1, v9, 4, v7
	s_addc_u32 s13, s13, s1
	v_lshrrev_b32_e32 v2, 3, v1
	v_mov_b32_e32 v5, s23
	v_add_co_u32_e32 v4, vcc, s22, v2
	s_add_u32 s0, s46, s0
	v_and_b32_e32 v8, 7, v7
	v_addc_co_u32_e32 v5, vcc, 0, v5, vcc
	s_addc_u32 s1, s47, s1
	s_load_dwordx2 s[34:35], s[0:1], 0x0
	v_cmp_gt_i64_e64 s[0:1], s[38:39], v[4:5]
	v_lshlrev_b32_e32 v4, 4, v8
	v_lshrrev_b32_e32 v6, 5, v1
	v_and_b32_e32 v1, 31, v1
	v_lshl_or_b32 v4, v2, 7, v4
	v_mov_b32_e32 v11, s7
	v_or_b32_e32 v10, s6, v1
	v_add_u32_e32 v31, 0x1000, v4
	v_mov_b32_e32 v4, 0x1000
	v_cmp_gt_i64_e32 vcc, s[36:37], v[10:11]
	v_lshlrev_b32_e32 v10, 4, v1
	v_lshl_add_u32 v33, v9, 7, v4
	v_mad_u64_u32 v[4:5], s[46:47], s14, v8, 0
	v_lshl_or_b32 v30, v6, 9, v10
	v_mov_b32_e32 v10, v5
	v_mad_u64_u32 v[10:11], s[46:47], s15, v8, v[10:11]
	s_lshl_b64 s[2:3], s[2:3], 9
	s_lshl_b64 s[16:17], s[16:17], 4
	v_mov_b32_e32 v5, v10
	s_add_u32 s2, s16, s2
	s_load_dwordx2 s[12:13], s[12:13], 0x0
	v_mov_b32_e32 v0, 0
	v_lshlrev_b64 v[4:5], 4, v[4:5]
	s_addc_u32 s3, s17, s3
	v_mov_b32_e32 v3, v0
	v_mov_b32_e32 v10, s3
	v_add_co_u32_e64 v4, s[2:3], s2, v4
	v_addc_co_u32_e64 v5, s[2:3], v10, v5, s[2:3]
	v_lshlrev_b64 v[2:3], 4, v[2:3]
	v_add_co_u32_e64 v2, s[2:3], v4, v2
	v_addc_co_u32_e64 v3, s[2:3], v5, v3, s[2:3]
	s_waitcnt lgkmcnt(0)
	v_mov_b32_e32 v4, s13
	v_add_co_u32_e64 v10, s[2:3], s12, v2
	v_addc_co_u32_e64 v11, s[2:3], v4, v3, s[2:3]
	v_mov_b32_e32 v2, s7
	v_add_co_u32_e64 v1, s[2:3], s6, v1
	v_addc_co_u32_e64 v2, s[2:3], 0, v2, s[2:3]
	v_mul_lo_u32 v4, s49, v1
	v_mul_lo_u32 v5, s48, v2
	v_mad_u64_u32 v[2:3], s[2:3], s48, v1, 0
	v_add3_u32 v3, v3, v5, v4
	v_lshlrev_b64 v[2:3], 4, v[2:3]
	s_lshl_b64 s[2:3], s[50:51], 4
	v_mov_b32_e32 v1, s3
	v_add_co_u32_e64 v2, s[2:3], s2, v2
	v_addc_co_u32_e64 v1, s[2:3], v3, v1, s[2:3]
	v_lshlrev_b32_e32 v3, 4, v6
	v_add_co_u32_e64 v2, s[2:3], v2, v3
	v_addc_co_u32_e64 v1, s[2:3], 0, v1, s[2:3]
	v_mov_b32_e32 v3, s35
	v_add_co_u32_e64 v12, s[2:3], s34, v2
	v_addc_co_u32_e64 v13, s[2:3], v3, v1, s[2:3]
	v_pk_mov_b32 v[14:15], 0, 0
	v_lshlrev_b32_e32 v32, 4, v7
	s_lshl_b64 s[12:13], s[14:15], 7
	s_xor_b64 s[2:3], vcc, -1
	s_xor_b64 s[0:1], s[0:1], -1
	v_pk_mov_b32 v[16:17], v[14:15], v[14:15] op_sel:[0,1]
	v_pk_mov_b32 v[20:21], v[14:15], v[14:15] op_sel:[0,1]
	;; [unrolled: 1-line block ×7, first 2 shown]
	s_branch .LBB284_3
.LBB284_2:                              ;   in Loop: Header=BB284_3 Depth=1
	s_or_b64 exec, exec, s[14:15]
	s_waitcnt lgkmcnt(0)
	s_barrier
	ds_read_b128 v[34:37], v32
	ds_read_b128 v[38:41], v33
	ds_read_b128 v[42:45], v33 offset:16
	ds_read_b128 v[46:49], v33 offset:32
	ds_read_b128 v[2:5], v33 offset:48
	ds_read_b128 v[50:53], v32 offset:256
	s_waitcnt lgkmcnt(4)
	v_mul_f64 v[54:55], v[40:41], v[36:37]
	v_fma_f64 v[54:55], v[38:39], v[34:35], -v[54:55]
	v_mul_f64 v[56:57], v[38:39], v[36:37]
	v_fmac_f64_e32 v[56:57], v[40:41], v[34:35]
	v_add_f64 v[54:55], v[26:27], v[54:55]
	s_waitcnt lgkmcnt(0)
	v_mul_f64 v[26:27], v[40:41], v[52:53]
	v_add_f64 v[56:57], v[28:29], v[56:57]
	v_fma_f64 v[58:59], v[38:39], v[50:51], -v[26:27]
	ds_read_b128 v[26:29], v33 offset:2048
	v_mul_f64 v[38:39], v[38:39], v[52:53]
	v_fmac_f64_e32 v[38:39], v[40:41], v[50:51]
	v_add_f64 v[40:41], v[22:23], v[58:59]
	v_add_f64 v[38:39], v[24:25], v[38:39]
	ds_read_b128 v[22:25], v33 offset:2064
	s_waitcnt lgkmcnt(1)
	v_mul_f64 v[58:59], v[28:29], v[36:37]
	v_fma_f64 v[58:59], v[26:27], v[34:35], -v[58:59]
	v_mul_f64 v[36:37], v[26:27], v[36:37]
	v_fmac_f64_e32 v[36:37], v[28:29], v[34:35]
	v_add_f64 v[34:35], v[18:19], v[58:59]
	v_mul_f64 v[18:19], v[28:29], v[52:53]
	v_add_f64 v[36:37], v[20:21], v[36:37]
	v_fma_f64 v[58:59], v[26:27], v[50:51], -v[18:19]
	v_mul_f64 v[26:27], v[26:27], v[52:53]
	ds_read_b128 v[18:21], v32 offset:512
	v_fmac_f64_e32 v[26:27], v[28:29], v[50:51]
	v_add_f64 v[28:29], v[16:17], v[58:59]
	v_add_f64 v[26:27], v[14:15], v[26:27]
	ds_read_b128 v[14:17], v32 offset:768
	s_waitcnt lgkmcnt(1)
	v_mul_f64 v[50:51], v[44:45], v[20:21]
	v_fma_f64 v[50:51], v[42:43], v[18:19], -v[50:51]
	v_add_f64 v[50:51], v[54:55], v[50:51]
	v_mul_f64 v[52:53], v[42:43], v[20:21]
	s_waitcnt lgkmcnt(0)
	v_mul_f64 v[54:55], v[44:45], v[16:17]
	v_fma_f64 v[54:55], v[42:43], v[14:15], -v[54:55]
	v_mul_f64 v[42:43], v[42:43], v[16:17]
	v_fmac_f64_e32 v[42:43], v[44:45], v[14:15]
	v_add_f64 v[38:39], v[38:39], v[42:43]
	v_mul_f64 v[42:43], v[24:25], v[20:21]
	v_mul_f64 v[20:21], v[22:23], v[20:21]
	v_fmac_f64_e32 v[52:53], v[44:45], v[18:19]
	v_fma_f64 v[42:43], v[22:23], v[18:19], -v[42:43]
	v_fmac_f64_e32 v[20:21], v[24:25], v[18:19]
	v_mul_f64 v[18:19], v[24:25], v[16:17]
	v_add_f64 v[44:45], v[36:37], v[20:21]
	v_fma_f64 v[20:21], v[22:23], v[14:15], -v[18:19]
	v_mul_f64 v[22:23], v[22:23], v[16:17]
	ds_read_b128 v[16:19], v32 offset:1024
	v_fmac_f64_e32 v[22:23], v[24:25], v[14:15]
	v_add_f64 v[40:41], v[40:41], v[54:55]
	v_add_f64 v[28:29], v[28:29], v[20:21]
	;; [unrolled: 1-line block ×3, first 2 shown]
	ds_read_b128 v[20:23], v32 offset:1280
	s_waitcnt lgkmcnt(1)
	v_mul_f64 v[24:25], v[46:47], v[18:19]
	v_add_f64 v[52:53], v[56:57], v[52:53]
	v_fmac_f64_e32 v[24:25], v[48:49], v[16:17]
	v_add_f64 v[52:53], v[52:53], v[24:25]
	ds_read_b128 v[24:27], v33 offset:2080
	v_mul_f64 v[14:15], v[48:49], v[18:19]
	v_fma_f64 v[14:15], v[46:47], v[16:17], -v[14:15]
	v_add_f64 v[42:43], v[34:35], v[42:43]
	v_add_f64 v[50:51], v[50:51], v[14:15]
	s_waitcnt lgkmcnt(1)
	v_mul_f64 v[14:15], v[48:49], v[22:23]
	v_mul_f64 v[34:35], v[46:47], v[22:23]
	v_fma_f64 v[14:15], v[46:47], v[20:21], -v[14:15]
	v_fmac_f64_e32 v[34:35], v[48:49], v[20:21]
	v_add_f64 v[40:41], v[40:41], v[14:15]
	v_add_f64 v[38:39], v[38:39], v[34:35]
	ds_read_b128 v[34:37], v33 offset:2096
	s_waitcnt lgkmcnt(1)
	v_mul_f64 v[14:15], v[26:27], v[18:19]
	v_fma_f64 v[14:15], v[24:25], v[16:17], -v[14:15]
	v_mul_f64 v[18:19], v[24:25], v[18:19]
	v_fmac_f64_e32 v[18:19], v[26:27], v[16:17]
	v_add_f64 v[42:43], v[42:43], v[14:15]
	v_mul_f64 v[14:15], v[26:27], v[22:23]
	v_add_f64 v[44:45], v[44:45], v[18:19]
	v_fma_f64 v[18:19], v[24:25], v[20:21], -v[14:15]
	v_mul_f64 v[22:23], v[24:25], v[22:23]
	ds_read_b128 v[14:17], v32 offset:1536
	v_fmac_f64_e32 v[22:23], v[26:27], v[20:21]
	v_add_f64 v[24:25], v[28:29], v[18:19]
	ds_read_b128 v[18:21], v32 offset:1792
	v_add_f64 v[22:23], v[54:55], v[22:23]
	s_waitcnt lgkmcnt(1)
	v_mul_f64 v[26:27], v[4:5], v[16:17]
	v_fma_f64 v[26:27], v[2:3], v[14:15], -v[26:27]
	v_mul_f64 v[28:29], v[2:3], v[16:17]
	s_waitcnt lgkmcnt(0)
	v_mul_f64 v[46:47], v[4:5], v[20:21]
	v_fma_f64 v[46:47], v[2:3], v[18:19], -v[46:47]
	v_mul_f64 v[2:3], v[2:3], v[20:21]
	v_fmac_f64_e32 v[2:3], v[4:5], v[18:19]
	v_add_f64 v[38:39], v[38:39], v[2:3]
	v_mul_f64 v[2:3], v[36:37], v[16:17]
	v_fmac_f64_e32 v[28:29], v[4:5], v[14:15]
	v_fma_f64 v[2:3], v[34:35], v[14:15], -v[2:3]
	v_mul_f64 v[4:5], v[34:35], v[16:17]
	v_fmac_f64_e32 v[4:5], v[36:37], v[14:15]
	v_add_f64 v[42:43], v[42:43], v[2:3]
	v_mul_f64 v[2:3], v[36:37], v[20:21]
	v_add_f64 v[40:41], v[40:41], v[46:47]
	v_add_f64 v[44:45], v[44:45], v[4:5]
	v_fma_f64 v[46:47], v[34:35], v[18:19], -v[2:3]
	ds_read_b128 v[2:5], v33 offset:64
	ds_read_b128 v[14:17], v32 offset:2048
	v_mul_f64 v[20:21], v[34:35], v[20:21]
	v_fmac_f64_e32 v[20:21], v[36:37], v[18:19]
	v_add_f64 v[34:35], v[24:25], v[46:47]
	v_add_f64 v[36:37], v[22:23], v[20:21]
	ds_read_b128 v[18:21], v32 offset:2304
	ds_read_b128 v[22:25], v33 offset:80
	s_waitcnt lgkmcnt(2)
	v_mul_f64 v[46:47], v[4:5], v[16:17]
	v_add_f64 v[26:27], v[50:51], v[26:27]
	v_fma_f64 v[46:47], v[2:3], v[14:15], -v[46:47]
	v_mul_f64 v[48:49], v[2:3], v[16:17]
	v_add_f64 v[28:29], v[52:53], v[28:29]
	v_fmac_f64_e32 v[48:49], v[4:5], v[14:15]
	v_add_f64 v[46:47], v[26:27], v[46:47]
	s_waitcnt lgkmcnt(1)
	v_mul_f64 v[26:27], v[4:5], v[20:21]
	v_add_f64 v[48:49], v[28:29], v[48:49]
	v_fma_f64 v[50:51], v[2:3], v[18:19], -v[26:27]
	ds_read_b128 v[26:29], v33 offset:2112
	v_mul_f64 v[2:3], v[2:3], v[20:21]
	v_fmac_f64_e32 v[2:3], v[4:5], v[18:19]
	v_add_f64 v[40:41], v[40:41], v[50:51]
	v_add_f64 v[38:39], v[38:39], v[2:3]
	ds_read_b128 v[2:5], v33 offset:2128
	s_waitcnt lgkmcnt(1)
	v_mul_f64 v[50:51], v[28:29], v[16:17]
	v_mul_f64 v[16:17], v[26:27], v[16:17]
	v_fma_f64 v[50:51], v[26:27], v[14:15], -v[50:51]
	v_fmac_f64_e32 v[16:17], v[28:29], v[14:15]
	v_mul_f64 v[14:15], v[28:29], v[20:21]
	v_add_f64 v[42:43], v[42:43], v[50:51]
	v_add_f64 v[44:45], v[44:45], v[16:17]
	v_fma_f64 v[50:51], v[26:27], v[18:19], -v[14:15]
	v_mul_f64 v[20:21], v[26:27], v[20:21]
	ds_read_b128 v[14:17], v32 offset:2560
	v_fmac_f64_e32 v[20:21], v[28:29], v[18:19]
	v_add_f64 v[28:29], v[36:37], v[20:21]
	ds_read_b128 v[18:21], v32 offset:2816
	v_add_f64 v[26:27], v[34:35], v[50:51]
	s_waitcnt lgkmcnt(1)
	v_mul_f64 v[34:35], v[24:25], v[16:17]
	v_fma_f64 v[34:35], v[22:23], v[14:15], -v[34:35]
	v_add_f64 v[34:35], v[46:47], v[34:35]
	s_waitcnt lgkmcnt(0)
	v_mul_f64 v[46:47], v[24:25], v[20:21]
	v_mul_f64 v[36:37], v[22:23], v[16:17]
	v_fma_f64 v[46:47], v[22:23], v[18:19], -v[46:47]
	v_mul_f64 v[22:23], v[22:23], v[20:21]
	v_fmac_f64_e32 v[22:23], v[24:25], v[18:19]
	v_add_f64 v[38:39], v[38:39], v[22:23]
	v_mul_f64 v[22:23], v[4:5], v[16:17]
	v_mul_f64 v[16:17], v[2:3], v[16:17]
	v_fmac_f64_e32 v[36:37], v[24:25], v[14:15]
	v_fma_f64 v[22:23], v[2:3], v[14:15], -v[22:23]
	v_fmac_f64_e32 v[16:17], v[4:5], v[14:15]
	v_mul_f64 v[14:15], v[4:5], v[20:21]
	v_mul_f64 v[20:21], v[2:3], v[20:21]
	v_add_f64 v[42:43], v[42:43], v[22:23]
	v_add_f64 v[44:45], v[44:45], v[16:17]
	v_fma_f64 v[22:23], v[2:3], v[18:19], -v[14:15]
	v_fmac_f64_e32 v[20:21], v[4:5], v[18:19]
	ds_read_b128 v[2:5], v33 offset:96
	ds_read_b128 v[14:17], v32 offset:3072
	v_add_f64 v[36:37], v[48:49], v[36:37]
	v_add_f64 v[40:41], v[40:41], v[46:47]
	;; [unrolled: 1-line block ×4, first 2 shown]
	ds_read_b128 v[18:21], v32 offset:3328
	ds_read_b128 v[22:25], v33 offset:112
	s_waitcnt lgkmcnt(2)
	v_mul_f64 v[26:27], v[4:5], v[16:17]
	v_fma_f64 v[26:27], v[2:3], v[14:15], -v[26:27]
	v_mul_f64 v[28:29], v[2:3], v[16:17]
	v_fmac_f64_e32 v[28:29], v[4:5], v[14:15]
	v_add_f64 v[50:51], v[34:35], v[26:27]
	s_waitcnt lgkmcnt(1)
	v_mul_f64 v[26:27], v[4:5], v[20:21]
	v_add_f64 v[52:53], v[36:37], v[28:29]
	v_fma_f64 v[34:35], v[2:3], v[18:19], -v[26:27]
	ds_read_b128 v[26:29], v33 offset:2144
	v_mul_f64 v[2:3], v[2:3], v[20:21]
	v_fmac_f64_e32 v[2:3], v[4:5], v[18:19]
	v_add_f64 v[40:41], v[40:41], v[34:35]
	v_add_f64 v[38:39], v[38:39], v[2:3]
	ds_read_b128 v[2:5], v33 offset:2160
	s_waitcnt lgkmcnt(1)
	v_mul_f64 v[34:35], v[28:29], v[16:17]
	v_mul_f64 v[16:17], v[26:27], v[16:17]
	v_fma_f64 v[34:35], v[26:27], v[14:15], -v[34:35]
	v_fmac_f64_e32 v[16:17], v[28:29], v[14:15]
	v_mul_f64 v[14:15], v[28:29], v[20:21]
	v_add_f64 v[42:43], v[42:43], v[34:35]
	v_add_f64 v[44:45], v[44:45], v[16:17]
	v_fma_f64 v[34:35], v[26:27], v[18:19], -v[14:15]
	ds_read_b128 v[14:17], v32 offset:3584
	v_add_f64 v[46:47], v[46:47], v[34:35]
	ds_read_b128 v[34:37], v32 offset:3840
	v_mul_f64 v[20:21], v[26:27], v[20:21]
	v_fmac_f64_e32 v[20:21], v[28:29], v[18:19]
	s_waitcnt lgkmcnt(1)
	v_mul_f64 v[18:19], v[24:25], v[16:17]
	v_fma_f64 v[18:19], v[22:23], v[14:15], -v[18:19]
	v_add_f64 v[48:49], v[48:49], v[20:21]
	v_mul_f64 v[20:21], v[22:23], v[16:17]
	v_add_f64 v[26:27], v[50:51], v[18:19]
	s_waitcnt lgkmcnt(0)
	v_mul_f64 v[18:19], v[24:25], v[36:37]
	v_fmac_f64_e32 v[20:21], v[24:25], v[14:15]
	v_fma_f64 v[18:19], v[22:23], v[34:35], -v[18:19]
	v_add_f64 v[28:29], v[52:53], v[20:21]
	v_mul_f64 v[20:21], v[22:23], v[36:37]
	v_add_f64 v[22:23], v[40:41], v[18:19]
	v_mul_f64 v[18:19], v[4:5], v[16:17]
	v_mul_f64 v[16:17], v[2:3], v[16:17]
	v_fma_f64 v[18:19], v[2:3], v[14:15], -v[18:19]
	v_fmac_f64_e32 v[16:17], v[4:5], v[14:15]
	v_mul_f64 v[14:15], v[4:5], v[36:37]
	v_mov_b32_e32 v1, s13
	v_add_co_u32_e32 v10, vcc, s12, v10
	v_fma_f64 v[14:15], v[2:3], v[34:35], -v[14:15]
	v_mul_f64 v[2:3], v[2:3], v[36:37]
	v_addc_co_u32_e32 v11, vcc, v11, v1, vcc
	v_fmac_f64_e32 v[20:21], v[24:25], v[34:35]
	v_fmac_f64_e32 v[2:3], v[4:5], v[34:35]
	s_add_u32 s28, s28, 8
	v_add_co_u32_e32 v12, vcc, 0x80, v12
	v_add_f64 v[24:25], v[38:39], v[20:21]
	v_add_f64 v[20:21], v[44:45], v[16:17]
	;; [unrolled: 1-line block ×4, first 2 shown]
	s_addc_u32 s29, s29, 0
	v_addc_co_u32_e32 v13, vcc, 0, v13, vcc
	v_pk_mov_b32 v[2:3], s[40:41], s[40:41] op_sel:[0,1]
	v_cmp_lt_i64_e32 vcc, s[28:29], v[2:3]
	v_add_f64 v[18:19], v[42:43], v[18:19]
	s_barrier
	s_cbranch_vccz .LBB284_11
.LBB284_3:                              ; =>This Inner Loop Header: Depth=1
	v_mov_b32_e32 v1, s29
	v_add_co_u32_e32 v2, vcc, s28, v6
	v_addc_co_u32_e32 v3, vcc, 0, v1, vcc
	v_cmp_le_i64_e32 vcc, s[40:41], v[2:3]
	s_or_b64 s[14:15], s[2:3], vcc
	s_and_saveexec_b64 s[16:17], s[14:15]
	s_xor_b64 s[14:15], exec, s[16:17]
	s_cbranch_execz .LBB284_5
; %bb.4:                                ;   in Loop: Header=BB284_3 Depth=1
	v_mov_b32_e32 v1, v0
	v_mov_b32_e32 v2, v0
	;; [unrolled: 1-line block ×3, first 2 shown]
	ds_write_b128 v30, v[0:3]
.LBB284_5:                              ;   in Loop: Header=BB284_3 Depth=1
	s_andn2_saveexec_b64 s[14:15], s[14:15]
	s_cbranch_execz .LBB284_7
; %bb.6:                                ;   in Loop: Header=BB284_3 Depth=1
	global_load_dwordx4 v[2:5], v[12:13], off
	s_waitcnt vmcnt(0)
	ds_write2_b64 v30, v[2:3], v[4:5] offset1:1
.LBB284_7:                              ;   in Loop: Header=BB284_3 Depth=1
	s_or_b64 exec, exec, s[14:15]
	v_mov_b32_e32 v1, s29
	v_add_co_u32_e32 v2, vcc, s28, v8
	v_addc_co_u32_e32 v3, vcc, 0, v1, vcc
	v_cmp_le_i64_e32 vcc, s[40:41], v[2:3]
	s_or_b64 s[14:15], vcc, s[0:1]
	s_and_saveexec_b64 s[16:17], s[14:15]
	s_xor_b64 s[14:15], exec, s[16:17]
	s_cbranch_execz .LBB284_9
; %bb.8:                                ;   in Loop: Header=BB284_3 Depth=1
	v_mov_b32_e32 v1, v0
	v_mov_b32_e32 v2, v0
	;; [unrolled: 1-line block ×3, first 2 shown]
	ds_write_b128 v31, v[0:3]
.LBB284_9:                              ;   in Loop: Header=BB284_3 Depth=1
	s_andn2_saveexec_b64 s[14:15], s[14:15]
	s_cbranch_execz .LBB284_2
; %bb.10:                               ;   in Loop: Header=BB284_3 Depth=1
	global_load_dwordx4 v[2:5], v[10:11], off
	s_waitcnt vmcnt(0)
	ds_write2_b64 v31, v[2:3], v[4:5] offset1:1
	s_branch .LBB284_2
.LBB284_11:
	s_lshl_b64 s[0:1], s[10:11], 4
	s_waitcnt lgkmcnt(0)
	s_add_u32 s14, s4, s0
	s_addc_u32 s15, s5, s1
	v_mov_b32_e32 v1, s23
	v_add_co_u32_e32 v0, vcc, s22, v9
	v_cmp_neq_f64_e64 s[0:1], s[18:19], 0
	v_cmp_neq_f64_e64 s[2:3], s[20:21], 0
	v_addc_co_u32_e32 v1, vcc, 0, v1, vcc
	s_or_b64 s[4:5], s[0:1], s[2:3]
	v_cmp_gt_i64_e64 s[0:1], s[38:39], v[0:1]
	s_mov_b64 s[2:3], -1
	s_and_b64 vcc, exec, s[4:5]
	s_cbranch_vccnz .LBB284_23
; %bb.12:
	s_and_saveexec_b64 s[10:11], s[0:1]
	s_cbranch_execz .LBB284_22
; %bb.13:
	v_mov_b32_e32 v2, s7
	v_add_co_u32_e32 v4, vcc, s6, v7
	v_addc_co_u32_e32 v5, vcc, 0, v2, vcc
	v_mul_lo_u32 v6, v1, s30
	v_mul_lo_u32 v8, v0, s31
	v_mad_u64_u32 v[2:3], s[2:3], v0, s30, 0
	v_add3_u32 v3, v3, v8, v6
	v_lshlrev_b64 v[2:3], 4, v[2:3]
	v_mov_b32_e32 v8, s15
	v_add_co_u32_e64 v6, s[2:3], s14, v2
	v_cmp_gt_i64_e32 vcc, s[36:37], v[4:5]
	v_addc_co_u32_e64 v8, s[2:3], v8, v3, s[2:3]
	v_lshlrev_b64 v[2:3], 4, v[4:5]
	s_and_saveexec_b64 s[4:5], vcc
	s_cbranch_execz .LBB284_15
; %bb.14:
	v_mul_f64 v[10:11], s[44:45], v[28:29]
	v_mul_f64 v[12:13], s[42:43], v[28:29]
	v_add_co_u32_e64 v30, s[2:3], v6, v2
	v_fma_f64 v[10:11], s[42:43], v[26:27], -v[10:11]
	v_fmac_f64_e32 v[12:13], s[44:45], v[26:27]
	v_addc_co_u32_e64 v31, s[2:3], v8, v3, s[2:3]
	global_store_dwordx4 v[30:31], v[10:13], off
.LBB284_15:
	s_or_b64 exec, exec, s[4:5]
	v_add_co_u32_e64 v4, s[2:3], 16, v4
	v_addc_co_u32_e64 v5, s[2:3], 0, v5, s[2:3]
	v_cmp_gt_i64_e64 s[2:3], s[36:37], v[4:5]
	s_and_saveexec_b64 s[12:13], s[2:3]
	s_cbranch_execz .LBB284_17
; %bb.16:
	v_mul_f64 v[4:5], s[44:45], v[24:25]
	v_fma_f64 v[10:11], s[42:43], v[22:23], -v[4:5]
	v_mul_f64 v[12:13], s[42:43], v[24:25]
	v_add_co_u32_e64 v4, s[4:5], v6, v2
	v_fmac_f64_e32 v[12:13], s[44:45], v[22:23]
	v_addc_co_u32_e64 v5, s[4:5], v8, v3, s[4:5]
	global_store_dwordx4 v[4:5], v[10:13], off offset:256
.LBB284_17:
	s_or_b64 exec, exec, s[12:13]
	v_add_co_u32_e64 v4, s[4:5], 16, v0
	v_addc_co_u32_e64 v5, s[4:5], 0, v1, s[4:5]
	v_cmp_gt_i64_e64 s[4:5], s[38:39], v[4:5]
	s_and_b64 exec, exec, s[4:5]
	s_cbranch_execz .LBB284_22
; %bb.18:
	s_lshl_b64 s[4:5], s[30:31], 8
	v_mov_b32_e32 v4, s5
	v_add_co_u32_e64 v5, s[4:5], s4, v6
	v_addc_co_u32_e64 v4, s[4:5], v8, v4, s[4:5]
	v_add_co_u32_e64 v2, s[4:5], v5, v2
	v_addc_co_u32_e64 v3, s[4:5], v4, v3, s[4:5]
	s_and_saveexec_b64 s[4:5], vcc
	s_cbranch_execz .LBB284_20
; %bb.19:
	v_mul_f64 v[4:5], s[44:45], v[20:21]
	v_mul_f64 v[10:11], s[42:43], v[20:21]
	v_fma_f64 v[8:9], s[42:43], v[18:19], -v[4:5]
	v_fmac_f64_e32 v[10:11], s[44:45], v[18:19]
	global_store_dwordx4 v[2:3], v[8:11], off
.LBB284_20:
	s_or_b64 exec, exec, s[4:5]
	s_and_b64 exec, exec, s[2:3]
	s_cbranch_execz .LBB284_22
; %bb.21:
	v_mul_f64 v[4:5], s[44:45], v[14:15]
	v_mul_f64 v[10:11], s[42:43], v[14:15]
	v_fma_f64 v[8:9], s[42:43], v[16:17], -v[4:5]
	v_fmac_f64_e32 v[10:11], s[44:45], v[16:17]
	global_store_dwordx4 v[2:3], v[8:11], off offset:256
.LBB284_22:
	s_or_b64 exec, exec, s[10:11]
	s_mov_b64 s[2:3], 0
.LBB284_23:
	s_andn2_b64 vcc, exec, s[2:3]
	s_cbranch_vccnz .LBB284_34
; %bb.24:
	s_and_saveexec_b64 s[2:3], s[0:1]
	s_cbranch_execz .LBB284_34
; %bb.25:
	s_lshl_b64 s[0:1], s[26:27], 4
	s_add_u32 s2, s8, s0
	v_mov_b32_e32 v2, s7
	v_add_co_u32_e32 v4, vcc, s6, v7
	s_addc_u32 s3, s9, s1
	v_addc_co_u32_e32 v5, vcc, 0, v2, vcc
	v_mul_lo_u32 v6, v1, s24
	v_mul_lo_u32 v7, v0, s25
	v_mad_u64_u32 v[2:3], s[0:1], v0, s24, 0
	v_add3_u32 v3, v3, v7, v6
	v_mul_lo_u32 v6, v1, s30
	v_mul_lo_u32 v7, v0, s31
	v_mad_u64_u32 v[8:9], s[0:1], v0, s30, 0
	v_lshlrev_b64 v[2:3], 4, v[2:3]
	v_add3_u32 v9, v9, v7, v6
	v_mov_b32_e32 v7, s3
	v_add_co_u32_e64 v6, s[0:1], s2, v2
	v_addc_co_u32_e64 v7, s[0:1], v7, v3, s[0:1]
	v_lshlrev_b64 v[2:3], 4, v[8:9]
	v_mov_b32_e32 v9, s15
	v_add_co_u32_e64 v8, s[0:1], s14, v2
	v_cmp_gt_i64_e32 vcc, s[36:37], v[4:5]
	v_addc_co_u32_e64 v9, s[0:1], v9, v3, s[0:1]
	v_lshlrev_b64 v[2:3], 4, v[4:5]
	s_and_saveexec_b64 s[2:3], vcc
	s_cbranch_execz .LBB284_27
; %bb.26:
	v_add_co_u32_e64 v10, s[0:1], v6, v2
	v_addc_co_u32_e64 v11, s[0:1], v7, v3, s[0:1]
	global_load_dwordx4 v[10:13], v[10:11], off
	v_mul_f64 v[30:31], s[44:45], v[28:29]
	v_mul_f64 v[28:29], s[42:43], v[28:29]
	v_fma_f64 v[30:31], s[42:43], v[26:27], -v[30:31]
	v_fmac_f64_e32 v[28:29], s[44:45], v[26:27]
	s_waitcnt vmcnt(0)
	v_mul_f64 v[26:27], s[20:21], v[12:13]
	v_mul_f64 v[12:13], s[18:19], v[12:13]
	v_fma_f64 v[26:27], s[18:19], v[10:11], -v[26:27]
	v_fmac_f64_e32 v[12:13], s[20:21], v[10:11]
	v_add_f64 v[10:11], v[30:31], v[26:27]
	v_add_co_u32_e64 v26, s[0:1], v8, v2
	v_add_f64 v[12:13], v[28:29], v[12:13]
	v_addc_co_u32_e64 v27, s[0:1], v9, v3, s[0:1]
	global_store_dwordx4 v[26:27], v[10:13], off
.LBB284_27:
	s_or_b64 exec, exec, s[2:3]
	v_add_co_u32_e64 v4, s[0:1], 16, v4
	v_addc_co_u32_e64 v5, s[0:1], 0, v5, s[0:1]
	v_cmp_gt_i64_e64 s[0:1], s[36:37], v[4:5]
	s_and_saveexec_b64 s[4:5], s[0:1]
	s_cbranch_execz .LBB284_29
; %bb.28:
	v_add_co_u32_e64 v4, s[2:3], v6, v2
	v_addc_co_u32_e64 v5, s[2:3], v7, v3, s[2:3]
	global_load_dwordx4 v[10:13], v[4:5], off offset:256
	v_mul_f64 v[4:5], s[44:45], v[24:25]
	v_mul_f64 v[24:25], s[42:43], v[24:25]
	v_fma_f64 v[4:5], s[42:43], v[22:23], -v[4:5]
	v_fmac_f64_e32 v[24:25], s[44:45], v[22:23]
	s_waitcnt vmcnt(0)
	v_mul_f64 v[22:23], s[20:21], v[12:13]
	v_mul_f64 v[12:13], s[18:19], v[12:13]
	v_fma_f64 v[22:23], s[18:19], v[10:11], -v[22:23]
	v_fmac_f64_e32 v[12:13], s[20:21], v[10:11]
	v_add_f64 v[10:11], v[4:5], v[22:23]
	v_add_co_u32_e64 v4, s[2:3], v8, v2
	v_add_f64 v[12:13], v[24:25], v[12:13]
	v_addc_co_u32_e64 v5, s[2:3], v9, v3, s[2:3]
	global_store_dwordx4 v[4:5], v[10:13], off offset:256
.LBB284_29:
	s_or_b64 exec, exec, s[4:5]
	v_add_co_u32_e64 v0, s[2:3], 16, v0
	v_addc_co_u32_e64 v1, s[2:3], 0, v1, s[2:3]
	v_cmp_gt_i64_e64 s[2:3], s[38:39], v[0:1]
	s_and_b64 exec, exec, s[2:3]
	s_cbranch_execz .LBB284_34
; %bb.30:
	s_lshl_b64 s[2:3], s[24:25], 8
	v_mov_b32_e32 v0, s3
	v_add_co_u32_e64 v1, s[2:3], s2, v6
	v_addc_co_u32_e64 v0, s[2:3], v7, v0, s[2:3]
	s_lshl_b64 s[2:3], s[30:31], 8
	v_mov_b32_e32 v4, s3
	v_add_co_u32_e64 v6, s[2:3], s2, v8
	v_addc_co_u32_e64 v7, s[2:3], v9, v4, s[2:3]
	v_add_co_u32_e64 v4, s[2:3], v1, v2
	v_addc_co_u32_e64 v5, s[2:3], v0, v3, s[2:3]
	;; [unrolled: 2-line block ×3, first 2 shown]
	s_and_saveexec_b64 s[2:3], vcc
	s_cbranch_execz .LBB284_32
; %bb.31:
	global_load_dwordx4 v[6:9], v[4:5], off
	v_mul_f64 v[2:3], s[44:45], v[20:21]
	v_mul_f64 v[10:11], s[42:43], v[20:21]
	v_fma_f64 v[2:3], s[42:43], v[18:19], -v[2:3]
	v_fmac_f64_e32 v[10:11], s[44:45], v[18:19]
	s_waitcnt vmcnt(0)
	v_mul_f64 v[12:13], s[20:21], v[8:9]
	v_mul_f64 v[8:9], s[18:19], v[8:9]
	v_fma_f64 v[12:13], s[18:19], v[6:7], -v[12:13]
	v_fmac_f64_e32 v[8:9], s[20:21], v[6:7]
	v_add_f64 v[6:7], v[2:3], v[12:13]
	v_add_f64 v[8:9], v[10:11], v[8:9]
	global_store_dwordx4 v[0:1], v[6:9], off
.LBB284_32:
	s_or_b64 exec, exec, s[2:3]
	s_and_b64 exec, exec, s[0:1]
	s_cbranch_execz .LBB284_34
; %bb.33:
	global_load_dwordx4 v[2:5], v[4:5], off offset:256
	v_mul_f64 v[6:7], s[44:45], v[14:15]
	v_mul_f64 v[8:9], s[42:43], v[14:15]
	v_fma_f64 v[6:7], s[42:43], v[16:17], -v[6:7]
	v_fmac_f64_e32 v[8:9], s[44:45], v[16:17]
	s_waitcnt vmcnt(0)
	v_mul_f64 v[10:11], s[20:21], v[4:5]
	v_mul_f64 v[4:5], s[18:19], v[4:5]
	v_fma_f64 v[10:11], s[18:19], v[2:3], -v[10:11]
	v_fmac_f64_e32 v[4:5], s[20:21], v[2:3]
	v_add_f64 v[2:3], v[6:7], v[10:11]
	v_add_f64 v[4:5], v[8:9], v[4:5]
	global_store_dwordx4 v[0:1], v[2:5], off offset:256
.LBB284_34:
	s_endpgm
	.section	.rodata,"a",@progbits
	.p2align	6, 0x0
	.amdhsa_kernel _ZN12_GLOBAL__N_135rocblas_gemm_batched_general_kernelI19rocblas_complex_numIdELi16ELi16ELi32ELi32ELi8ELi32ELi8ELi8ELi32ELc84ELc84EKPKS2_S5_KPS2_EEvlllT_PT11_llSA_llS8_PT12_llPT13_lli
		.amdhsa_group_segment_fixed_size 8192
		.amdhsa_private_segment_fixed_size 0
		.amdhsa_kernarg_size 156
		.amdhsa_user_sgpr_count 6
		.amdhsa_user_sgpr_private_segment_buffer 1
		.amdhsa_user_sgpr_dispatch_ptr 0
		.amdhsa_user_sgpr_queue_ptr 0
		.amdhsa_user_sgpr_kernarg_segment_ptr 1
		.amdhsa_user_sgpr_dispatch_id 0
		.amdhsa_user_sgpr_flat_scratch_init 0
		.amdhsa_user_sgpr_kernarg_preload_length 0
		.amdhsa_user_sgpr_kernarg_preload_offset 0
		.amdhsa_user_sgpr_private_segment_size 0
		.amdhsa_uses_dynamic_stack 0
		.amdhsa_system_sgpr_private_segment_wavefront_offset 0
		.amdhsa_system_sgpr_workgroup_id_x 1
		.amdhsa_system_sgpr_workgroup_id_y 1
		.amdhsa_system_sgpr_workgroup_id_z 1
		.amdhsa_system_sgpr_workgroup_info 0
		.amdhsa_system_vgpr_workitem_id 1
		.amdhsa_next_free_vgpr 60
		.amdhsa_next_free_sgpr 52
		.amdhsa_accum_offset 60
		.amdhsa_reserve_vcc 1
		.amdhsa_reserve_flat_scratch 0
		.amdhsa_float_round_mode_32 0
		.amdhsa_float_round_mode_16_64 0
		.amdhsa_float_denorm_mode_32 3
		.amdhsa_float_denorm_mode_16_64 3
		.amdhsa_dx10_clamp 1
		.amdhsa_ieee_mode 1
		.amdhsa_fp16_overflow 0
		.amdhsa_tg_split 0
		.amdhsa_exception_fp_ieee_invalid_op 0
		.amdhsa_exception_fp_denorm_src 0
		.amdhsa_exception_fp_ieee_div_zero 0
		.amdhsa_exception_fp_ieee_overflow 0
		.amdhsa_exception_fp_ieee_underflow 0
		.amdhsa_exception_fp_ieee_inexact 0
		.amdhsa_exception_int_div_zero 0
	.end_amdhsa_kernel
	.section	.text._ZN12_GLOBAL__N_135rocblas_gemm_batched_general_kernelI19rocblas_complex_numIdELi16ELi16ELi32ELi32ELi8ELi32ELi8ELi8ELi32ELc84ELc84EKPKS2_S5_KPS2_EEvlllT_PT11_llSA_llS8_PT12_llPT13_lli,"axG",@progbits,_ZN12_GLOBAL__N_135rocblas_gemm_batched_general_kernelI19rocblas_complex_numIdELi16ELi16ELi32ELi32ELi8ELi32ELi8ELi8ELi32ELc84ELc84EKPKS2_S5_KPS2_EEvlllT_PT11_llSA_llS8_PT12_llPT13_lli,comdat
.Lfunc_end284:
	.size	_ZN12_GLOBAL__N_135rocblas_gemm_batched_general_kernelI19rocblas_complex_numIdELi16ELi16ELi32ELi32ELi8ELi32ELi8ELi8ELi32ELc84ELc84EKPKS2_S5_KPS2_EEvlllT_PT11_llSA_llS8_PT12_llPT13_lli, .Lfunc_end284-_ZN12_GLOBAL__N_135rocblas_gemm_batched_general_kernelI19rocblas_complex_numIdELi16ELi16ELi32ELi32ELi8ELi32ELi8ELi8ELi32ELc84ELc84EKPKS2_S5_KPS2_EEvlllT_PT11_llSA_llS8_PT12_llPT13_lli
                                        ; -- End function
	.section	.AMDGPU.csdata,"",@progbits
; Kernel info:
; codeLenInByte = 3912
; NumSgprs: 56
; NumVgprs: 60
; NumAgprs: 0
; TotalNumVgprs: 60
; ScratchSize: 0
; MemoryBound: 0
; FloatMode: 240
; IeeeMode: 1
; LDSByteSize: 8192 bytes/workgroup (compile time only)
; SGPRBlocks: 6
; VGPRBlocks: 7
; NumSGPRsForWavesPerEU: 56
; NumVGPRsForWavesPerEU: 60
; AccumOffset: 60
; Occupancy: 8
; WaveLimiterHint : 1
; COMPUTE_PGM_RSRC2:SCRATCH_EN: 0
; COMPUTE_PGM_RSRC2:USER_SGPR: 6
; COMPUTE_PGM_RSRC2:TRAP_HANDLER: 0
; COMPUTE_PGM_RSRC2:TGID_X_EN: 1
; COMPUTE_PGM_RSRC2:TGID_Y_EN: 1
; COMPUTE_PGM_RSRC2:TGID_Z_EN: 1
; COMPUTE_PGM_RSRC2:TIDIG_COMP_CNT: 1
; COMPUTE_PGM_RSRC3_GFX90A:ACCUM_OFFSET: 14
; COMPUTE_PGM_RSRC3_GFX90A:TG_SPLIT: 0
	.section	.text._ZN12_GLOBAL__N_135rocblas_gemm_batched_general_kernelI19rocblas_complex_numIdELi16ELi16ELi32ELi32ELi8ELi32ELi8ELi8ELi32ELc67ELc67EKPKS2_S5_KPS2_EEvlllT_PT11_llSA_llS8_PT12_llPT13_lli,"axG",@progbits,_ZN12_GLOBAL__N_135rocblas_gemm_batched_general_kernelI19rocblas_complex_numIdELi16ELi16ELi32ELi32ELi8ELi32ELi8ELi8ELi32ELc67ELc67EKPKS2_S5_KPS2_EEvlllT_PT11_llSA_llS8_PT12_llPT13_lli,comdat
	.globl	_ZN12_GLOBAL__N_135rocblas_gemm_batched_general_kernelI19rocblas_complex_numIdELi16ELi16ELi32ELi32ELi8ELi32ELi8ELi8ELi32ELc67ELc67EKPKS2_S5_KPS2_EEvlllT_PT11_llSA_llS8_PT12_llPT13_lli ; -- Begin function _ZN12_GLOBAL__N_135rocblas_gemm_batched_general_kernelI19rocblas_complex_numIdELi16ELi16ELi32ELi32ELi8ELi32ELi8ELi8ELi32ELc67ELc67EKPKS2_S5_KPS2_EEvlllT_PT11_llSA_llS8_PT12_llPT13_lli
	.p2align	8
	.type	_ZN12_GLOBAL__N_135rocblas_gemm_batched_general_kernelI19rocblas_complex_numIdELi16ELi16ELi32ELi32ELi8ELi32ELi8ELi8ELi32ELc67ELc67EKPKS2_S5_KPS2_EEvlllT_PT11_llSA_llS8_PT12_llPT13_lli,@function
_ZN12_GLOBAL__N_135rocblas_gemm_batched_general_kernelI19rocblas_complex_numIdELi16ELi16ELi32ELi32ELi8ELi32ELi8ELi8ELi32ELc67ELc67EKPKS2_S5_KPS2_EEvlllT_PT11_llSA_llS8_PT12_llPT13_lli: ; @_ZN12_GLOBAL__N_135rocblas_gemm_batched_general_kernelI19rocblas_complex_numIdELi16ELi16ELi32ELi32ELi8ELi32ELi8ELi8ELi32ELc67ELc67EKPKS2_S5_KPS2_EEvlllT_PT11_llSA_llS8_PT12_llPT13_lli
; %bb.0:
	s_load_dwordx16 s[36:51], s[4:5], 0x0
	s_load_dwordx16 s[12:27], s[4:5], 0x40
	s_load_dwordx2 s[10:11], s[4:5], 0x90
	s_load_dwordx4 s[28:31], s[4:5], 0x80
	s_mov_b32 s9, 0
	s_lshl_b64 s[0:1], s[8:9], 3
	s_waitcnt lgkmcnt(0)
	s_add_u32 s2, s22, s0
	s_addc_u32 s3, s23, s1
	s_load_dwordx2 s[8:9], s[2:3], 0x0
	s_add_u32 s2, s28, s0
	s_addc_u32 s3, s29, s1
	s_load_dwordx2 s[4:5], s[2:3], 0x0
	s_mov_b32 s34, s7
	s_ashr_i32 s7, s6, 31
	s_ashr_i32 s35, s34, 31
	v_cmp_lt_i64_e64 s[2:3], s[40:41], 1
	v_pk_mov_b32 v[26:27], 0, 0
	v_and_b32_e32 v7, 0x3ff, v0
	v_bfe_u32 v5, v0, 10, 10
	s_lshl_b64 s[6:7], s[6:7], 5
	s_lshl_b64 s[22:23], s[34:35], 5
	s_mov_b64 s[28:29], 0
	s_and_b64 vcc, exec, s[2:3]
	v_pk_mov_b32 v[28:29], v[26:27], v[26:27] op_sel:[0,1]
	v_pk_mov_b32 v[22:23], v[26:27], v[26:27] op_sel:[0,1]
	;; [unrolled: 1-line block ×7, first 2 shown]
	s_cbranch_vccnz .LBB285_7
; %bb.1:
	v_lshl_add_u32 v8, v5, 4, v7
	v_lshrrev_b32_e32 v0, 3, v8
	s_add_u32 s2, s12, s0
	v_mov_b32_e32 v3, s23
	v_add_co_u32_e32 v2, vcc, s22, v0
	s_addc_u32 s3, s13, s1
	v_and_b32_e32 v6, 7, v7
	v_addc_co_u32_e32 v3, vcc, 0, v3, vcc
	s_load_dwordx2 s[12:13], s[2:3], 0x0
	v_cmp_gt_i64_e64 s[2:3], s[38:39], v[2:3]
	v_lshlrev_b32_e32 v2, 4, v6
	s_add_u32 s0, s46, s0
	v_and_b32_e32 v10, 31, v8
	v_lshl_or_b32 v2, v0, 7, v2
	v_lshrrev_b32_e32 v4, 5, v8
	s_addc_u32 s1, s47, s1
	v_mov_b32_e32 v9, s7
	v_or_b32_e32 v8, s6, v10
	v_add_u32_e32 v31, 0x1000, v2
	v_mov_b32_e32 v2, 0x1000
	s_load_dwordx2 s[46:47], s[0:1], 0x0
	v_cmp_gt_i64_e64 s[0:1], s[36:37], v[8:9]
	v_lshlrev_b32_e32 v8, 4, v10
	v_lshl_add_u32 v33, v5, 7, v2
	v_mad_u64_u32 v[2:3], s[52:53], s14, v6, 0
	v_lshl_or_b32 v30, v4, 9, v8
	v_mov_b32_e32 v8, v3
	v_mad_u64_u32 v[8:9], s[52:53], s15, v6, v[8:9]
	s_lshl_b64 s[34:35], s[34:35], 9
	s_lshl_b64 s[16:17], s[16:17], 4
	v_mov_b32_e32 v3, v8
	s_add_u32 s16, s16, s34
	v_lshlrev_b64 v[2:3], 4, v[2:3]
	s_addc_u32 s17, s17, s35
	v_mov_b32_e32 v1, 0
	v_mov_b32_e32 v8, s17
	v_add_co_u32_e32 v2, vcc, s16, v2
	v_addc_co_u32_e32 v3, vcc, v8, v3, vcc
	v_lshlrev_b64 v[0:1], 4, v[0:1]
	v_add_co_u32_e32 v0, vcc, v2, v0
	v_addc_co_u32_e32 v1, vcc, v3, v1, vcc
	s_waitcnt lgkmcnt(0)
	v_mov_b32_e32 v2, s13
	v_add_co_u32_e32 v0, vcc, s12, v0
	v_addc_co_u32_e32 v1, vcc, v1, v2, vcc
	v_add_co_u32_e32 v8, vcc, 8, v0
	v_addc_co_u32_e32 v9, vcc, 0, v1, vcc
	v_mov_b32_e32 v0, s7
	v_add_co_u32_e32 v1, vcc, s6, v10
	v_addc_co_u32_e32 v0, vcc, 0, v0, vcc
	s_lshl_b64 s[12:13], s[14:15], 7
	v_mul_lo_u32 v2, s49, v1
	v_mul_lo_u32 v3, s48, v0
	v_mad_u64_u32 v[0:1], s[14:15], s48, v1, 0
	v_add3_u32 v1, v1, v3, v2
	v_lshlrev_b64 v[0:1], 4, v[0:1]
	s_lshl_b64 s[14:15], s[50:51], 4
	v_mov_b32_e32 v2, s15
	v_add_co_u32_e32 v0, vcc, s14, v0
	v_addc_co_u32_e32 v1, vcc, v1, v2, vcc
	v_lshlrev_b32_e32 v2, 4, v4
	v_add_co_u32_e32 v0, vcc, v0, v2
	v_addc_co_u32_e32 v1, vcc, 0, v1, vcc
	v_mov_b32_e32 v2, s47
	v_add_co_u32_e32 v0, vcc, s46, v0
	v_addc_co_u32_e32 v1, vcc, v1, v2, vcc
	v_add_co_u32_e32 v10, vcc, 8, v0
	v_pk_mov_b32 v[12:13], 0, 0
	v_lshlrev_b32_e32 v32, 4, v7
	v_addc_co_u32_e32 v11, vcc, 0, v1, vcc
	v_pk_mov_b32 v[16:17], v[12:13], v[12:13] op_sel:[0,1]
	v_pk_mov_b32 v[14:15], v[12:13], v[12:13] op_sel:[0,1]
	;; [unrolled: 1-line block ×8, first 2 shown]
	s_branch .LBB285_3
.LBB285_2:                              ;   in Loop: Header=BB285_3 Depth=1
	s_or_b64 exec, exec, s[14:15]
	ds_write_b128 v31, v[0:3]
	s_waitcnt lgkmcnt(0)
	s_barrier
	ds_read_b128 v[34:37], v32
	ds_read_b128 v[38:41], v33
	ds_read_b128 v[42:45], v33 offset:16
	ds_read_b128 v[46:49], v33 offset:32
	;; [unrolled: 1-line block ×4, first 2 shown]
	s_waitcnt lgkmcnt(4)
	v_mul_f64 v[54:55], v[40:41], v[36:37]
	v_fma_f64 v[54:55], v[38:39], v[34:35], -v[54:55]
	v_mul_f64 v[56:57], v[38:39], v[36:37]
	v_fmac_f64_e32 v[56:57], v[40:41], v[34:35]
	v_add_f64 v[54:55], v[26:27], v[54:55]
	s_waitcnt lgkmcnt(0)
	v_mul_f64 v[26:27], v[40:41], v[52:53]
	v_add_f64 v[56:57], v[28:29], v[56:57]
	v_fma_f64 v[58:59], v[38:39], v[50:51], -v[26:27]
	ds_read_b128 v[26:29], v33 offset:2048
	v_mul_f64 v[38:39], v[38:39], v[52:53]
	v_fmac_f64_e32 v[38:39], v[40:41], v[50:51]
	v_add_f64 v[40:41], v[22:23], v[58:59]
	v_add_f64 v[38:39], v[24:25], v[38:39]
	ds_read_b128 v[22:25], v33 offset:2064
	s_waitcnt lgkmcnt(1)
	v_mul_f64 v[58:59], v[28:29], v[36:37]
	v_fma_f64 v[58:59], v[26:27], v[34:35], -v[58:59]
	v_mul_f64 v[36:37], v[26:27], v[36:37]
	v_fmac_f64_e32 v[36:37], v[28:29], v[34:35]
	v_add_f64 v[34:35], v[18:19], v[58:59]
	v_mul_f64 v[18:19], v[28:29], v[52:53]
	v_add_f64 v[36:37], v[20:21], v[36:37]
	v_fma_f64 v[58:59], v[26:27], v[50:51], -v[18:19]
	v_mul_f64 v[26:27], v[26:27], v[52:53]
	ds_read_b128 v[18:21], v32 offset:512
	v_fmac_f64_e32 v[26:27], v[28:29], v[50:51]
	v_add_f64 v[28:29], v[14:15], v[58:59]
	v_add_f64 v[26:27], v[16:17], v[26:27]
	ds_read_b128 v[14:17], v32 offset:768
	s_waitcnt lgkmcnt(1)
	v_mul_f64 v[50:51], v[44:45], v[20:21]
	v_fma_f64 v[50:51], v[42:43], v[18:19], -v[50:51]
	v_add_f64 v[50:51], v[54:55], v[50:51]
	v_mul_f64 v[52:53], v[42:43], v[20:21]
	s_waitcnt lgkmcnt(0)
	v_mul_f64 v[54:55], v[44:45], v[16:17]
	v_fma_f64 v[54:55], v[42:43], v[14:15], -v[54:55]
	v_mul_f64 v[42:43], v[42:43], v[16:17]
	v_fmac_f64_e32 v[42:43], v[44:45], v[14:15]
	v_add_f64 v[38:39], v[38:39], v[42:43]
	v_mul_f64 v[42:43], v[24:25], v[20:21]
	v_mul_f64 v[20:21], v[22:23], v[20:21]
	v_fmac_f64_e32 v[52:53], v[44:45], v[18:19]
	v_fma_f64 v[42:43], v[22:23], v[18:19], -v[42:43]
	v_fmac_f64_e32 v[20:21], v[24:25], v[18:19]
	v_mul_f64 v[18:19], v[24:25], v[16:17]
	v_add_f64 v[44:45], v[36:37], v[20:21]
	v_fma_f64 v[20:21], v[22:23], v[14:15], -v[18:19]
	v_mul_f64 v[22:23], v[22:23], v[16:17]
	ds_read_b128 v[16:19], v32 offset:1024
	v_fmac_f64_e32 v[22:23], v[24:25], v[14:15]
	v_add_f64 v[40:41], v[40:41], v[54:55]
	v_add_f64 v[28:29], v[28:29], v[20:21]
	;; [unrolled: 1-line block ×3, first 2 shown]
	ds_read_b128 v[20:23], v32 offset:1280
	s_waitcnt lgkmcnt(1)
	v_mul_f64 v[24:25], v[46:47], v[18:19]
	v_add_f64 v[52:53], v[56:57], v[52:53]
	v_fmac_f64_e32 v[24:25], v[48:49], v[16:17]
	v_add_f64 v[52:53], v[52:53], v[24:25]
	ds_read_b128 v[24:27], v33 offset:2080
	v_mul_f64 v[14:15], v[48:49], v[18:19]
	v_fma_f64 v[14:15], v[46:47], v[16:17], -v[14:15]
	v_add_f64 v[42:43], v[34:35], v[42:43]
	v_add_f64 v[50:51], v[50:51], v[14:15]
	s_waitcnt lgkmcnt(1)
	v_mul_f64 v[14:15], v[48:49], v[22:23]
	v_mul_f64 v[34:35], v[46:47], v[22:23]
	v_fma_f64 v[14:15], v[46:47], v[20:21], -v[14:15]
	v_fmac_f64_e32 v[34:35], v[48:49], v[20:21]
	v_add_f64 v[40:41], v[40:41], v[14:15]
	v_add_f64 v[38:39], v[38:39], v[34:35]
	ds_read_b128 v[34:37], v33 offset:2096
	s_waitcnt lgkmcnt(1)
	v_mul_f64 v[14:15], v[26:27], v[18:19]
	v_fma_f64 v[14:15], v[24:25], v[16:17], -v[14:15]
	v_mul_f64 v[18:19], v[24:25], v[18:19]
	v_fmac_f64_e32 v[18:19], v[26:27], v[16:17]
	v_add_f64 v[42:43], v[42:43], v[14:15]
	v_mul_f64 v[14:15], v[26:27], v[22:23]
	v_add_f64 v[44:45], v[44:45], v[18:19]
	v_fma_f64 v[18:19], v[24:25], v[20:21], -v[14:15]
	v_mul_f64 v[22:23], v[24:25], v[22:23]
	ds_read_b128 v[14:17], v32 offset:1536
	v_fmac_f64_e32 v[22:23], v[26:27], v[20:21]
	v_add_f64 v[24:25], v[28:29], v[18:19]
	ds_read_b128 v[18:21], v32 offset:1792
	v_add_f64 v[22:23], v[54:55], v[22:23]
	s_waitcnt lgkmcnt(1)
	v_mul_f64 v[26:27], v[2:3], v[16:17]
	v_fma_f64 v[26:27], v[0:1], v[14:15], -v[26:27]
	v_mul_f64 v[28:29], v[0:1], v[16:17]
	s_waitcnt lgkmcnt(0)
	v_mul_f64 v[46:47], v[2:3], v[20:21]
	v_fma_f64 v[46:47], v[0:1], v[18:19], -v[46:47]
	v_mul_f64 v[0:1], v[0:1], v[20:21]
	v_fmac_f64_e32 v[0:1], v[2:3], v[18:19]
	v_add_f64 v[38:39], v[38:39], v[0:1]
	v_mul_f64 v[0:1], v[36:37], v[16:17]
	v_fmac_f64_e32 v[28:29], v[2:3], v[14:15]
	v_fma_f64 v[0:1], v[34:35], v[14:15], -v[0:1]
	v_mul_f64 v[2:3], v[34:35], v[16:17]
	v_fmac_f64_e32 v[2:3], v[36:37], v[14:15]
	v_add_f64 v[42:43], v[42:43], v[0:1]
	v_mul_f64 v[0:1], v[36:37], v[20:21]
	v_add_f64 v[40:41], v[40:41], v[46:47]
	v_add_f64 v[44:45], v[44:45], v[2:3]
	v_fma_f64 v[46:47], v[34:35], v[18:19], -v[0:1]
	ds_read_b128 v[0:3], v33 offset:64
	ds_read_b128 v[14:17], v32 offset:2048
	v_mul_f64 v[20:21], v[34:35], v[20:21]
	v_fmac_f64_e32 v[20:21], v[36:37], v[18:19]
	v_add_f64 v[34:35], v[24:25], v[46:47]
	v_add_f64 v[36:37], v[22:23], v[20:21]
	ds_read_b128 v[18:21], v32 offset:2304
	ds_read_b128 v[22:25], v33 offset:80
	s_waitcnt lgkmcnt(2)
	v_mul_f64 v[46:47], v[2:3], v[16:17]
	v_add_f64 v[26:27], v[50:51], v[26:27]
	v_fma_f64 v[46:47], v[0:1], v[14:15], -v[46:47]
	v_mul_f64 v[48:49], v[0:1], v[16:17]
	v_add_f64 v[28:29], v[52:53], v[28:29]
	v_fmac_f64_e32 v[48:49], v[2:3], v[14:15]
	v_add_f64 v[46:47], v[26:27], v[46:47]
	s_waitcnt lgkmcnt(1)
	v_mul_f64 v[26:27], v[2:3], v[20:21]
	v_add_f64 v[48:49], v[28:29], v[48:49]
	v_fma_f64 v[50:51], v[0:1], v[18:19], -v[26:27]
	ds_read_b128 v[26:29], v33 offset:2112
	v_mul_f64 v[0:1], v[0:1], v[20:21]
	v_fmac_f64_e32 v[0:1], v[2:3], v[18:19]
	v_add_f64 v[40:41], v[40:41], v[50:51]
	v_add_f64 v[38:39], v[38:39], v[0:1]
	ds_read_b128 v[0:3], v33 offset:2128
	s_waitcnt lgkmcnt(1)
	v_mul_f64 v[50:51], v[28:29], v[16:17]
	v_mul_f64 v[16:17], v[26:27], v[16:17]
	v_fma_f64 v[50:51], v[26:27], v[14:15], -v[50:51]
	v_fmac_f64_e32 v[16:17], v[28:29], v[14:15]
	v_mul_f64 v[14:15], v[28:29], v[20:21]
	v_add_f64 v[42:43], v[42:43], v[50:51]
	v_add_f64 v[44:45], v[44:45], v[16:17]
	v_fma_f64 v[50:51], v[26:27], v[18:19], -v[14:15]
	v_mul_f64 v[20:21], v[26:27], v[20:21]
	ds_read_b128 v[14:17], v32 offset:2560
	v_fmac_f64_e32 v[20:21], v[28:29], v[18:19]
	v_add_f64 v[28:29], v[36:37], v[20:21]
	ds_read_b128 v[18:21], v32 offset:2816
	v_add_f64 v[26:27], v[34:35], v[50:51]
	s_waitcnt lgkmcnt(1)
	v_mul_f64 v[34:35], v[24:25], v[16:17]
	v_fma_f64 v[34:35], v[22:23], v[14:15], -v[34:35]
	v_add_f64 v[34:35], v[46:47], v[34:35]
	s_waitcnt lgkmcnt(0)
	v_mul_f64 v[46:47], v[24:25], v[20:21]
	v_mul_f64 v[36:37], v[22:23], v[16:17]
	v_fma_f64 v[46:47], v[22:23], v[18:19], -v[46:47]
	v_mul_f64 v[22:23], v[22:23], v[20:21]
	v_fmac_f64_e32 v[22:23], v[24:25], v[18:19]
	v_add_f64 v[38:39], v[38:39], v[22:23]
	v_mul_f64 v[22:23], v[2:3], v[16:17]
	v_mul_f64 v[16:17], v[0:1], v[16:17]
	v_fmac_f64_e32 v[36:37], v[24:25], v[14:15]
	v_fma_f64 v[22:23], v[0:1], v[14:15], -v[22:23]
	v_fmac_f64_e32 v[16:17], v[2:3], v[14:15]
	v_mul_f64 v[14:15], v[2:3], v[20:21]
	v_mul_f64 v[20:21], v[0:1], v[20:21]
	v_add_f64 v[42:43], v[42:43], v[22:23]
	v_add_f64 v[44:45], v[44:45], v[16:17]
	v_fma_f64 v[22:23], v[0:1], v[18:19], -v[14:15]
	v_fmac_f64_e32 v[20:21], v[2:3], v[18:19]
	ds_read_b128 v[0:3], v33 offset:96
	ds_read_b128 v[14:17], v32 offset:3072
	v_add_f64 v[36:37], v[48:49], v[36:37]
	v_add_f64 v[40:41], v[40:41], v[46:47]
	;; [unrolled: 1-line block ×4, first 2 shown]
	ds_read_b128 v[18:21], v32 offset:3328
	ds_read_b128 v[22:25], v33 offset:112
	s_waitcnt lgkmcnt(2)
	v_mul_f64 v[26:27], v[2:3], v[16:17]
	v_fma_f64 v[26:27], v[0:1], v[14:15], -v[26:27]
	v_mul_f64 v[28:29], v[0:1], v[16:17]
	v_fmac_f64_e32 v[28:29], v[2:3], v[14:15]
	v_add_f64 v[50:51], v[34:35], v[26:27]
	s_waitcnt lgkmcnt(1)
	v_mul_f64 v[26:27], v[2:3], v[20:21]
	v_add_f64 v[52:53], v[36:37], v[28:29]
	v_fma_f64 v[34:35], v[0:1], v[18:19], -v[26:27]
	ds_read_b128 v[26:29], v33 offset:2144
	v_mul_f64 v[0:1], v[0:1], v[20:21]
	v_fmac_f64_e32 v[0:1], v[2:3], v[18:19]
	v_add_f64 v[40:41], v[40:41], v[34:35]
	v_add_f64 v[38:39], v[38:39], v[0:1]
	ds_read_b128 v[0:3], v33 offset:2160
	s_waitcnt lgkmcnt(1)
	v_mul_f64 v[34:35], v[28:29], v[16:17]
	v_mul_f64 v[16:17], v[26:27], v[16:17]
	v_fma_f64 v[34:35], v[26:27], v[14:15], -v[34:35]
	v_fmac_f64_e32 v[16:17], v[28:29], v[14:15]
	v_mul_f64 v[14:15], v[28:29], v[20:21]
	v_add_f64 v[42:43], v[42:43], v[34:35]
	v_add_f64 v[44:45], v[44:45], v[16:17]
	v_fma_f64 v[34:35], v[26:27], v[18:19], -v[14:15]
	ds_read_b128 v[14:17], v32 offset:3584
	v_add_f64 v[46:47], v[46:47], v[34:35]
	ds_read_b128 v[34:37], v32 offset:3840
	v_mul_f64 v[20:21], v[26:27], v[20:21]
	v_fmac_f64_e32 v[20:21], v[28:29], v[18:19]
	s_waitcnt lgkmcnt(1)
	v_mul_f64 v[18:19], v[24:25], v[16:17]
	v_fma_f64 v[18:19], v[22:23], v[14:15], -v[18:19]
	v_add_f64 v[48:49], v[48:49], v[20:21]
	v_mul_f64 v[20:21], v[22:23], v[16:17]
	v_add_f64 v[26:27], v[50:51], v[18:19]
	s_waitcnt lgkmcnt(0)
	v_mul_f64 v[18:19], v[24:25], v[36:37]
	v_fmac_f64_e32 v[20:21], v[24:25], v[14:15]
	v_fma_f64 v[18:19], v[22:23], v[34:35], -v[18:19]
	v_add_f64 v[28:29], v[52:53], v[20:21]
	v_mul_f64 v[20:21], v[22:23], v[36:37]
	v_add_f64 v[22:23], v[40:41], v[18:19]
	v_mul_f64 v[18:19], v[2:3], v[16:17]
	v_mul_f64 v[16:17], v[0:1], v[16:17]
	v_fma_f64 v[18:19], v[0:1], v[14:15], -v[18:19]
	v_fmac_f64_e32 v[16:17], v[2:3], v[14:15]
	v_mul_f64 v[14:15], v[2:3], v[36:37]
	v_fma_f64 v[14:15], v[0:1], v[34:35], -v[14:15]
	v_mul_f64 v[0:1], v[0:1], v[36:37]
	v_fmac_f64_e32 v[20:21], v[24:25], v[34:35]
	v_fmac_f64_e32 v[0:1], v[2:3], v[34:35]
	v_add_f64 v[24:25], v[38:39], v[20:21]
	v_add_f64 v[20:21], v[44:45], v[16:17]
	;; [unrolled: 1-line block ×3, first 2 shown]
	v_mov_b32_e32 v0, s13
	v_add_co_u32_e32 v8, vcc, s12, v8
	v_addc_co_u32_e32 v9, vcc, v9, v0, vcc
	s_add_u32 s28, s28, 8
	v_add_co_u32_e32 v10, vcc, 0x80, v10
	s_addc_u32 s29, s29, 0
	v_addc_co_u32_e32 v11, vcc, 0, v11, vcc
	v_pk_mov_b32 v[0:1], s[40:41], s[40:41] op_sel:[0,1]
	v_cmp_lt_i64_e32 vcc, s[28:29], v[0:1]
	v_add_f64 v[18:19], v[42:43], v[18:19]
	v_add_f64 v[14:15], v[46:47], v[14:15]
	s_barrier
	s_cbranch_vccz .LBB285_7
.LBB285_3:                              ; =>This Inner Loop Header: Depth=1
	v_mov_b32_e32 v1, s29
	v_add_co_u32_e32 v0, vcc, s28, v4
	v_addc_co_u32_e32 v1, vcc, 0, v1, vcc
	v_cmp_gt_i64_e32 vcc, s[40:41], v[0:1]
	s_and_b64 s[16:17], s[0:1], vcc
	v_pk_mov_b32 v[0:1], v[12:13], v[12:13] op_sel:[0,1]
	v_pk_mov_b32 v[2:3], v[12:13], v[12:13] op_sel:[0,1]
	s_and_saveexec_b64 s[14:15], s[16:17]
	s_cbranch_execz .LBB285_5
; %bb.4:                                ;   in Loop: Header=BB285_3 Depth=1
	global_load_dwordx4 v[0:3], v[10:11], off offset:-8
	s_waitcnt vmcnt(0)
	v_xor_b32_e32 v3, 0x80000000, v3
.LBB285_5:                              ;   in Loop: Header=BB285_3 Depth=1
	s_or_b64 exec, exec, s[14:15]
	ds_write_b128 v30, v[0:3]
	v_mov_b32_e32 v1, s29
	v_add_co_u32_e32 v0, vcc, s28, v6
	v_addc_co_u32_e32 v1, vcc, 0, v1, vcc
	v_cmp_gt_i64_e32 vcc, s[40:41], v[0:1]
	v_pk_mov_b32 v[0:1], 0, 0
	s_and_b64 s[16:17], vcc, s[2:3]
	v_pk_mov_b32 v[2:3], v[0:1], v[0:1] op_sel:[0,1]
	s_and_saveexec_b64 s[14:15], s[16:17]
	s_cbranch_execz .LBB285_2
; %bb.6:                                ;   in Loop: Header=BB285_3 Depth=1
	global_load_dwordx4 v[0:3], v[8:9], off offset:-8
	s_waitcnt vmcnt(0)
	v_xor_b32_e32 v3, 0x80000000, v3
	s_branch .LBB285_2
.LBB285_7:
	s_lshl_b64 s[0:1], s[10:11], 4
	s_waitcnt lgkmcnt(0)
	s_add_u32 s14, s4, s0
	s_addc_u32 s15, s5, s1
	v_mov_b32_e32 v1, s23
	v_add_co_u32_e32 v0, vcc, s22, v5
	v_cmp_neq_f64_e64 s[0:1], s[18:19], 0
	v_cmp_neq_f64_e64 s[2:3], s[20:21], 0
	v_addc_co_u32_e32 v1, vcc, 0, v1, vcc
	s_or_b64 s[4:5], s[0:1], s[2:3]
	v_cmp_gt_i64_e64 s[0:1], s[38:39], v[0:1]
	s_mov_b64 s[2:3], -1
	s_and_b64 vcc, exec, s[4:5]
	s_cbranch_vccnz .LBB285_19
; %bb.8:
	s_and_saveexec_b64 s[10:11], s[0:1]
	s_cbranch_execz .LBB285_18
; %bb.9:
	v_mov_b32_e32 v2, s7
	v_add_co_u32_e32 v4, vcc, s6, v7
	v_addc_co_u32_e32 v5, vcc, 0, v2, vcc
	v_mul_lo_u32 v6, v1, s30
	v_mul_lo_u32 v8, v0, s31
	v_mad_u64_u32 v[2:3], s[2:3], v0, s30, 0
	v_add3_u32 v3, v3, v8, v6
	v_lshlrev_b64 v[2:3], 4, v[2:3]
	v_mov_b32_e32 v8, s15
	v_add_co_u32_e64 v6, s[2:3], s14, v2
	v_cmp_gt_i64_e32 vcc, s[36:37], v[4:5]
	v_addc_co_u32_e64 v8, s[2:3], v8, v3, s[2:3]
	v_lshlrev_b64 v[2:3], 4, v[4:5]
	s_and_saveexec_b64 s[4:5], vcc
	s_cbranch_execz .LBB285_11
; %bb.10:
	v_mul_f64 v[10:11], s[44:45], v[28:29]
	v_mul_f64 v[12:13], s[42:43], v[28:29]
	v_add_co_u32_e64 v30, s[2:3], v6, v2
	v_fma_f64 v[10:11], s[42:43], v[26:27], -v[10:11]
	v_fmac_f64_e32 v[12:13], s[44:45], v[26:27]
	v_addc_co_u32_e64 v31, s[2:3], v8, v3, s[2:3]
	global_store_dwordx4 v[30:31], v[10:13], off
.LBB285_11:
	s_or_b64 exec, exec, s[4:5]
	v_add_co_u32_e64 v4, s[2:3], 16, v4
	v_addc_co_u32_e64 v5, s[2:3], 0, v5, s[2:3]
	v_cmp_gt_i64_e64 s[2:3], s[36:37], v[4:5]
	s_and_saveexec_b64 s[12:13], s[2:3]
	s_cbranch_execz .LBB285_13
; %bb.12:
	v_mul_f64 v[4:5], s[44:45], v[24:25]
	v_fma_f64 v[10:11], s[42:43], v[22:23], -v[4:5]
	v_mul_f64 v[12:13], s[42:43], v[24:25]
	v_add_co_u32_e64 v4, s[4:5], v6, v2
	v_fmac_f64_e32 v[12:13], s[44:45], v[22:23]
	v_addc_co_u32_e64 v5, s[4:5], v8, v3, s[4:5]
	global_store_dwordx4 v[4:5], v[10:13], off offset:256
.LBB285_13:
	s_or_b64 exec, exec, s[12:13]
	v_add_co_u32_e64 v4, s[4:5], 16, v0
	v_addc_co_u32_e64 v5, s[4:5], 0, v1, s[4:5]
	v_cmp_gt_i64_e64 s[4:5], s[38:39], v[4:5]
	s_and_b64 exec, exec, s[4:5]
	s_cbranch_execz .LBB285_18
; %bb.14:
	s_lshl_b64 s[4:5], s[30:31], 8
	v_mov_b32_e32 v4, s5
	v_add_co_u32_e64 v5, s[4:5], s4, v6
	v_addc_co_u32_e64 v4, s[4:5], v8, v4, s[4:5]
	v_add_co_u32_e64 v2, s[4:5], v5, v2
	v_addc_co_u32_e64 v3, s[4:5], v4, v3, s[4:5]
	s_and_saveexec_b64 s[4:5], vcc
	s_cbranch_execz .LBB285_16
; %bb.15:
	v_mul_f64 v[4:5], s[44:45], v[20:21]
	v_mul_f64 v[10:11], s[42:43], v[20:21]
	v_fma_f64 v[8:9], s[42:43], v[18:19], -v[4:5]
	v_fmac_f64_e32 v[10:11], s[44:45], v[18:19]
	global_store_dwordx4 v[2:3], v[8:11], off
.LBB285_16:
	s_or_b64 exec, exec, s[4:5]
	s_and_b64 exec, exec, s[2:3]
	s_cbranch_execz .LBB285_18
; %bb.17:
	v_mul_f64 v[4:5], s[44:45], v[16:17]
	v_mul_f64 v[10:11], s[42:43], v[16:17]
	v_fma_f64 v[8:9], s[42:43], v[14:15], -v[4:5]
	v_fmac_f64_e32 v[10:11], s[44:45], v[14:15]
	global_store_dwordx4 v[2:3], v[8:11], off offset:256
.LBB285_18:
	s_or_b64 exec, exec, s[10:11]
	s_mov_b64 s[2:3], 0
.LBB285_19:
	s_andn2_b64 vcc, exec, s[2:3]
	s_cbranch_vccnz .LBB285_30
; %bb.20:
	s_and_saveexec_b64 s[2:3], s[0:1]
	s_cbranch_execz .LBB285_30
; %bb.21:
	s_lshl_b64 s[0:1], s[26:27], 4
	s_add_u32 s2, s8, s0
	v_mov_b32_e32 v2, s7
	v_add_co_u32_e32 v4, vcc, s6, v7
	s_addc_u32 s3, s9, s1
	v_addc_co_u32_e32 v5, vcc, 0, v2, vcc
	v_mul_lo_u32 v6, v1, s24
	v_mul_lo_u32 v7, v0, s25
	v_mad_u64_u32 v[2:3], s[0:1], v0, s24, 0
	v_add3_u32 v3, v3, v7, v6
	v_mul_lo_u32 v6, v1, s30
	v_mul_lo_u32 v7, v0, s31
	v_mad_u64_u32 v[8:9], s[0:1], v0, s30, 0
	v_lshlrev_b64 v[2:3], 4, v[2:3]
	v_add3_u32 v9, v9, v7, v6
	v_mov_b32_e32 v7, s3
	v_add_co_u32_e64 v6, s[0:1], s2, v2
	v_addc_co_u32_e64 v7, s[0:1], v7, v3, s[0:1]
	v_lshlrev_b64 v[2:3], 4, v[8:9]
	v_mov_b32_e32 v9, s15
	v_add_co_u32_e64 v8, s[0:1], s14, v2
	v_cmp_gt_i64_e32 vcc, s[36:37], v[4:5]
	v_addc_co_u32_e64 v9, s[0:1], v9, v3, s[0:1]
	v_lshlrev_b64 v[2:3], 4, v[4:5]
	s_and_saveexec_b64 s[2:3], vcc
	s_cbranch_execz .LBB285_23
; %bb.22:
	v_add_co_u32_e64 v10, s[0:1], v6, v2
	v_addc_co_u32_e64 v11, s[0:1], v7, v3, s[0:1]
	global_load_dwordx4 v[10:13], v[10:11], off
	v_mul_f64 v[30:31], s[44:45], v[28:29]
	v_mul_f64 v[28:29], s[42:43], v[28:29]
	v_fma_f64 v[30:31], s[42:43], v[26:27], -v[30:31]
	v_fmac_f64_e32 v[28:29], s[44:45], v[26:27]
	s_waitcnt vmcnt(0)
	v_mul_f64 v[26:27], s[20:21], v[12:13]
	v_mul_f64 v[12:13], s[18:19], v[12:13]
	v_fma_f64 v[26:27], s[18:19], v[10:11], -v[26:27]
	v_fmac_f64_e32 v[12:13], s[20:21], v[10:11]
	v_add_f64 v[10:11], v[30:31], v[26:27]
	v_add_co_u32_e64 v26, s[0:1], v8, v2
	v_add_f64 v[12:13], v[28:29], v[12:13]
	v_addc_co_u32_e64 v27, s[0:1], v9, v3, s[0:1]
	global_store_dwordx4 v[26:27], v[10:13], off
.LBB285_23:
	s_or_b64 exec, exec, s[2:3]
	v_add_co_u32_e64 v4, s[0:1], 16, v4
	v_addc_co_u32_e64 v5, s[0:1], 0, v5, s[0:1]
	v_cmp_gt_i64_e64 s[0:1], s[36:37], v[4:5]
	s_and_saveexec_b64 s[4:5], s[0:1]
	s_cbranch_execz .LBB285_25
; %bb.24:
	v_add_co_u32_e64 v4, s[2:3], v6, v2
	v_addc_co_u32_e64 v5, s[2:3], v7, v3, s[2:3]
	global_load_dwordx4 v[10:13], v[4:5], off offset:256
	v_mul_f64 v[4:5], s[44:45], v[24:25]
	v_mul_f64 v[24:25], s[42:43], v[24:25]
	v_fma_f64 v[4:5], s[42:43], v[22:23], -v[4:5]
	v_fmac_f64_e32 v[24:25], s[44:45], v[22:23]
	s_waitcnt vmcnt(0)
	v_mul_f64 v[22:23], s[20:21], v[12:13]
	v_mul_f64 v[12:13], s[18:19], v[12:13]
	v_fma_f64 v[22:23], s[18:19], v[10:11], -v[22:23]
	v_fmac_f64_e32 v[12:13], s[20:21], v[10:11]
	v_add_f64 v[10:11], v[4:5], v[22:23]
	v_add_co_u32_e64 v4, s[2:3], v8, v2
	v_add_f64 v[12:13], v[24:25], v[12:13]
	v_addc_co_u32_e64 v5, s[2:3], v9, v3, s[2:3]
	global_store_dwordx4 v[4:5], v[10:13], off offset:256
.LBB285_25:
	s_or_b64 exec, exec, s[4:5]
	v_add_co_u32_e64 v0, s[2:3], 16, v0
	v_addc_co_u32_e64 v1, s[2:3], 0, v1, s[2:3]
	v_cmp_gt_i64_e64 s[2:3], s[38:39], v[0:1]
	s_and_b64 exec, exec, s[2:3]
	s_cbranch_execz .LBB285_30
; %bb.26:
	s_lshl_b64 s[2:3], s[24:25], 8
	v_mov_b32_e32 v0, s3
	v_add_co_u32_e64 v1, s[2:3], s2, v6
	v_addc_co_u32_e64 v0, s[2:3], v7, v0, s[2:3]
	s_lshl_b64 s[2:3], s[30:31], 8
	v_mov_b32_e32 v4, s3
	v_add_co_u32_e64 v6, s[2:3], s2, v8
	v_addc_co_u32_e64 v7, s[2:3], v9, v4, s[2:3]
	v_add_co_u32_e64 v4, s[2:3], v1, v2
	v_addc_co_u32_e64 v5, s[2:3], v0, v3, s[2:3]
	v_add_co_u32_e64 v0, s[2:3], v6, v2
	v_addc_co_u32_e64 v1, s[2:3], v7, v3, s[2:3]
	s_and_saveexec_b64 s[2:3], vcc
	s_cbranch_execz .LBB285_28
; %bb.27:
	global_load_dwordx4 v[6:9], v[4:5], off
	v_mul_f64 v[2:3], s[44:45], v[20:21]
	v_mul_f64 v[10:11], s[42:43], v[20:21]
	v_fma_f64 v[2:3], s[42:43], v[18:19], -v[2:3]
	v_fmac_f64_e32 v[10:11], s[44:45], v[18:19]
	s_waitcnt vmcnt(0)
	v_mul_f64 v[12:13], s[20:21], v[8:9]
	v_mul_f64 v[8:9], s[18:19], v[8:9]
	v_fma_f64 v[12:13], s[18:19], v[6:7], -v[12:13]
	v_fmac_f64_e32 v[8:9], s[20:21], v[6:7]
	v_add_f64 v[6:7], v[2:3], v[12:13]
	v_add_f64 v[8:9], v[10:11], v[8:9]
	global_store_dwordx4 v[0:1], v[6:9], off
.LBB285_28:
	s_or_b64 exec, exec, s[2:3]
	s_and_b64 exec, exec, s[0:1]
	s_cbranch_execz .LBB285_30
; %bb.29:
	global_load_dwordx4 v[2:5], v[4:5], off offset:256
	v_mul_f64 v[6:7], s[44:45], v[16:17]
	v_mul_f64 v[8:9], s[42:43], v[16:17]
	v_fma_f64 v[6:7], s[42:43], v[14:15], -v[6:7]
	v_fmac_f64_e32 v[8:9], s[44:45], v[14:15]
	s_waitcnt vmcnt(0)
	v_mul_f64 v[10:11], s[20:21], v[4:5]
	v_mul_f64 v[4:5], s[18:19], v[4:5]
	v_fma_f64 v[10:11], s[18:19], v[2:3], -v[10:11]
	v_fmac_f64_e32 v[4:5], s[20:21], v[2:3]
	v_add_f64 v[2:3], v[6:7], v[10:11]
	v_add_f64 v[4:5], v[8:9], v[4:5]
	global_store_dwordx4 v[0:1], v[2:5], off offset:256
.LBB285_30:
	s_endpgm
	.section	.rodata,"a",@progbits
	.p2align	6, 0x0
	.amdhsa_kernel _ZN12_GLOBAL__N_135rocblas_gemm_batched_general_kernelI19rocblas_complex_numIdELi16ELi16ELi32ELi32ELi8ELi32ELi8ELi8ELi32ELc67ELc67EKPKS2_S5_KPS2_EEvlllT_PT11_llSA_llS8_PT12_llPT13_lli
		.amdhsa_group_segment_fixed_size 8192
		.amdhsa_private_segment_fixed_size 0
		.amdhsa_kernarg_size 156
		.amdhsa_user_sgpr_count 6
		.amdhsa_user_sgpr_private_segment_buffer 1
		.amdhsa_user_sgpr_dispatch_ptr 0
		.amdhsa_user_sgpr_queue_ptr 0
		.amdhsa_user_sgpr_kernarg_segment_ptr 1
		.amdhsa_user_sgpr_dispatch_id 0
		.amdhsa_user_sgpr_flat_scratch_init 0
		.amdhsa_user_sgpr_kernarg_preload_length 0
		.amdhsa_user_sgpr_kernarg_preload_offset 0
		.amdhsa_user_sgpr_private_segment_size 0
		.amdhsa_uses_dynamic_stack 0
		.amdhsa_system_sgpr_private_segment_wavefront_offset 0
		.amdhsa_system_sgpr_workgroup_id_x 1
		.amdhsa_system_sgpr_workgroup_id_y 1
		.amdhsa_system_sgpr_workgroup_id_z 1
		.amdhsa_system_sgpr_workgroup_info 0
		.amdhsa_system_vgpr_workitem_id 1
		.amdhsa_next_free_vgpr 60
		.amdhsa_next_free_sgpr 54
		.amdhsa_accum_offset 60
		.amdhsa_reserve_vcc 1
		.amdhsa_reserve_flat_scratch 0
		.amdhsa_float_round_mode_32 0
		.amdhsa_float_round_mode_16_64 0
		.amdhsa_float_denorm_mode_32 3
		.amdhsa_float_denorm_mode_16_64 3
		.amdhsa_dx10_clamp 1
		.amdhsa_ieee_mode 1
		.amdhsa_fp16_overflow 0
		.amdhsa_tg_split 0
		.amdhsa_exception_fp_ieee_invalid_op 0
		.amdhsa_exception_fp_denorm_src 0
		.amdhsa_exception_fp_ieee_div_zero 0
		.amdhsa_exception_fp_ieee_overflow 0
		.amdhsa_exception_fp_ieee_underflow 0
		.amdhsa_exception_fp_ieee_inexact 0
		.amdhsa_exception_int_div_zero 0
	.end_amdhsa_kernel
	.section	.text._ZN12_GLOBAL__N_135rocblas_gemm_batched_general_kernelI19rocblas_complex_numIdELi16ELi16ELi32ELi32ELi8ELi32ELi8ELi8ELi32ELc67ELc67EKPKS2_S5_KPS2_EEvlllT_PT11_llSA_llS8_PT12_llPT13_lli,"axG",@progbits,_ZN12_GLOBAL__N_135rocblas_gemm_batched_general_kernelI19rocblas_complex_numIdELi16ELi16ELi32ELi32ELi8ELi32ELi8ELi8ELi32ELc67ELc67EKPKS2_S5_KPS2_EEvlllT_PT11_llSA_llS8_PT12_llPT13_lli,comdat
.Lfunc_end285:
	.size	_ZN12_GLOBAL__N_135rocblas_gemm_batched_general_kernelI19rocblas_complex_numIdELi16ELi16ELi32ELi32ELi8ELi32ELi8ELi8ELi32ELc67ELc67EKPKS2_S5_KPS2_EEvlllT_PT11_llSA_llS8_PT12_llPT13_lli, .Lfunc_end285-_ZN12_GLOBAL__N_135rocblas_gemm_batched_general_kernelI19rocblas_complex_numIdELi16ELi16ELi32ELi32ELi8ELi32ELi8ELi8ELi32ELc67ELc67EKPKS2_S5_KPS2_EEvlllT_PT11_llSA_llS8_PT12_llPT13_lli
                                        ; -- End function
	.section	.AMDGPU.csdata,"",@progbits
; Kernel info:
; codeLenInByte = 3856
; NumSgprs: 58
; NumVgprs: 60
; NumAgprs: 0
; TotalNumVgprs: 60
; ScratchSize: 0
; MemoryBound: 1
; FloatMode: 240
; IeeeMode: 1
; LDSByteSize: 8192 bytes/workgroup (compile time only)
; SGPRBlocks: 7
; VGPRBlocks: 7
; NumSGPRsForWavesPerEU: 58
; NumVGPRsForWavesPerEU: 60
; AccumOffset: 60
; Occupancy: 8
; WaveLimiterHint : 1
; COMPUTE_PGM_RSRC2:SCRATCH_EN: 0
; COMPUTE_PGM_RSRC2:USER_SGPR: 6
; COMPUTE_PGM_RSRC2:TRAP_HANDLER: 0
; COMPUTE_PGM_RSRC2:TGID_X_EN: 1
; COMPUTE_PGM_RSRC2:TGID_Y_EN: 1
; COMPUTE_PGM_RSRC2:TGID_Z_EN: 1
; COMPUTE_PGM_RSRC2:TIDIG_COMP_CNT: 1
; COMPUTE_PGM_RSRC3_GFX90A:ACCUM_OFFSET: 14
; COMPUTE_PGM_RSRC3_GFX90A:TG_SPLIT: 0
	.section	.text._ZN12_GLOBAL__N_135rocblas_gemm_batched_general_kernelI19rocblas_complex_numIdELi16ELi16ELi32ELi32ELi8ELi32ELi8ELi8ELi32ELc67ELc78EKPKS2_S5_KPS2_EEvlllT_PT11_llSA_llS8_PT12_llPT13_lli,"axG",@progbits,_ZN12_GLOBAL__N_135rocblas_gemm_batched_general_kernelI19rocblas_complex_numIdELi16ELi16ELi32ELi32ELi8ELi32ELi8ELi8ELi32ELc67ELc78EKPKS2_S5_KPS2_EEvlllT_PT11_llSA_llS8_PT12_llPT13_lli,comdat
	.globl	_ZN12_GLOBAL__N_135rocblas_gemm_batched_general_kernelI19rocblas_complex_numIdELi16ELi16ELi32ELi32ELi8ELi32ELi8ELi8ELi32ELc67ELc78EKPKS2_S5_KPS2_EEvlllT_PT11_llSA_llS8_PT12_llPT13_lli ; -- Begin function _ZN12_GLOBAL__N_135rocblas_gemm_batched_general_kernelI19rocblas_complex_numIdELi16ELi16ELi32ELi32ELi8ELi32ELi8ELi8ELi32ELc67ELc78EKPKS2_S5_KPS2_EEvlllT_PT11_llSA_llS8_PT12_llPT13_lli
	.p2align	8
	.type	_ZN12_GLOBAL__N_135rocblas_gemm_batched_general_kernelI19rocblas_complex_numIdELi16ELi16ELi32ELi32ELi8ELi32ELi8ELi8ELi32ELc67ELc78EKPKS2_S5_KPS2_EEvlllT_PT11_llSA_llS8_PT12_llPT13_lli,@function
_ZN12_GLOBAL__N_135rocblas_gemm_batched_general_kernelI19rocblas_complex_numIdELi16ELi16ELi32ELi32ELi8ELi32ELi8ELi8ELi32ELc67ELc78EKPKS2_S5_KPS2_EEvlllT_PT11_llSA_llS8_PT12_llPT13_lli: ; @_ZN12_GLOBAL__N_135rocblas_gemm_batched_general_kernelI19rocblas_complex_numIdELi16ELi16ELi32ELi32ELi8ELi32ELi8ELi8ELi32ELc67ELc78EKPKS2_S5_KPS2_EEvlllT_PT11_llSA_llS8_PT12_llPT13_lli
; %bb.0:
	s_load_dwordx16 s[36:51], s[4:5], 0x0
	s_load_dwordx16 s[12:27], s[4:5], 0x40
	s_load_dwordx2 s[10:11], s[4:5], 0x90
	s_load_dwordx4 s[28:31], s[4:5], 0x80
	s_mov_b32 s9, 0
	s_lshl_b64 s[0:1], s[8:9], 3
	s_waitcnt lgkmcnt(0)
	s_add_u32 s4, s22, s0
	s_addc_u32 s5, s23, s1
	s_load_dwordx2 s[8:9], s[4:5], 0x0
	s_add_u32 s4, s28, s0
	s_addc_u32 s5, s29, s1
	s_load_dwordx2 s[4:5], s[4:5], 0x0
	s_mov_b32 s2, s7
	s_ashr_i32 s3, s2, 31
	s_ashr_i32 s7, s6, 31
	s_lshl_b64 s[22:23], s[2:3], 5
	v_cmp_lt_i64_e64 s[2:3], s[40:41], 1
	v_pk_mov_b32 v[28:29], 0, 0
	v_and_b32_e32 v7, 0x3ff, v0
	v_bfe_u32 v9, v0, 10, 10
	s_lshl_b64 s[6:7], s[6:7], 5
	s_mov_b64 s[28:29], 0
	s_and_b64 vcc, exec, s[2:3]
	v_pk_mov_b32 v[30:31], v[28:29], v[28:29] op_sel:[0,1]
	v_pk_mov_b32 v[24:25], v[28:29], v[28:29] op_sel:[0,1]
	;; [unrolled: 1-line block ×7, first 2 shown]
	s_cbranch_vccnz .LBB286_9
; %bb.1:
	s_add_u32 s2, s12, s0
	v_lshl_add_u32 v1, v9, 4, v7
	s_addc_u32 s3, s13, s1
	v_lshrrev_b32_e32 v6, 5, v1
	s_add_u32 s0, s46, s0
	v_lshrrev_b32_e32 v10, 3, v1
	v_and_b32_e32 v1, 31, v1
	s_addc_u32 s1, s47, s1
	v_mov_b32_e32 v5, s7
	v_or_b32_e32 v4, s6, v1
	v_and_b32_e32 v8, 7, v7
	s_load_dwordx2 s[34:35], s[0:1], 0x0
	v_cmp_gt_i64_e64 s[0:1], s[36:37], v[4:5]
	v_lshlrev_b32_e32 v4, 4, v1
	v_lshl_or_b32 v32, v6, 9, v4
	v_lshlrev_b32_e32 v4, 4, v8
	v_mov_b32_e32 v3, s23
	v_add_co_u32_e32 v2, vcc, s22, v10
	v_lshl_or_b32 v5, v10, 7, v4
	v_addc_co_u32_e32 v3, vcc, 0, v3, vcc
	v_add_u32_e32 v33, 0x1000, v5
	v_mov_b32_e32 v5, 0x1000
	s_load_dwordx2 s[12:13], s[2:3], 0x0
	v_cmp_gt_i64_e32 vcc, s[38:39], v[2:3]
	v_lshl_add_u32 v35, v9, 7, v5
	v_mul_lo_u32 v5, s15, v2
	v_mul_lo_u32 v10, s14, v3
	v_mad_u64_u32 v[2:3], s[2:3], s14, v2, 0
	v_add3_u32 v3, v3, v10, v5
	v_lshlrev_b64 v[2:3], 4, v[2:3]
	s_lshl_b64 s[2:3], s[16:17], 4
	v_mov_b32_e32 v5, s3
	v_add_co_u32_e64 v2, s[2:3], s2, v2
	v_addc_co_u32_e64 v3, s[2:3], v3, v5, s[2:3]
	v_add_co_u32_e64 v2, s[2:3], v2, v4
	v_addc_co_u32_e64 v3, s[2:3], 0, v3, s[2:3]
	s_waitcnt lgkmcnt(0)
	v_mov_b32_e32 v4, s13
	v_add_co_u32_e64 v10, s[2:3], s12, v2
	v_addc_co_u32_e64 v11, s[2:3], v4, v3, s[2:3]
	v_mov_b32_e32 v2, s7
	v_add_co_u32_e64 v1, s[2:3], s6, v1
	v_addc_co_u32_e64 v2, s[2:3], 0, v2, s[2:3]
	v_mul_lo_u32 v4, s49, v1
	v_mul_lo_u32 v5, s48, v2
	v_mad_u64_u32 v[2:3], s[2:3], s48, v1, 0
	v_add3_u32 v3, v3, v5, v4
	v_lshlrev_b64 v[2:3], 4, v[2:3]
	s_lshl_b64 s[2:3], s[50:51], 4
	v_mov_b32_e32 v1, s3
	v_add_co_u32_e64 v2, s[2:3], s2, v2
	v_addc_co_u32_e64 v1, s[2:3], v3, v1, s[2:3]
	v_lshlrev_b32_e32 v3, 4, v6
	v_add_co_u32_e64 v2, s[2:3], v2, v3
	v_addc_co_u32_e64 v1, s[2:3], 0, v1, s[2:3]
	v_mov_b32_e32 v3, s35
	v_add_co_u32_e64 v2, s[2:3], s34, v2
	v_addc_co_u32_e64 v1, s[2:3], v1, v3, s[2:3]
	v_add_co_u32_e64 v12, s[2:3], 8, v2
	v_addc_co_u32_e64 v13, s[2:3], 0, v1, s[2:3]
	v_pk_mov_b32 v[14:15], 0, 0
	v_mov_b32_e32 v0, 0
	v_lshlrev_b32_e32 v34, 4, v7
	s_xor_b64 s[2:3], vcc, -1
	v_pk_mov_b32 v[18:19], v[14:15], v[14:15] op_sel:[0,1]
	v_pk_mov_b32 v[16:17], v[14:15], v[14:15] op_sel:[0,1]
	;; [unrolled: 1-line block ×8, first 2 shown]
	s_branch .LBB286_3
.LBB286_2:                              ;   in Loop: Header=BB286_3 Depth=1
	s_or_b64 exec, exec, s[12:13]
	s_waitcnt lgkmcnt(0)
	s_barrier
	ds_read_b128 v[36:39], v34
	ds_read_b128 v[40:43], v35
	ds_read_b128 v[44:47], v35 offset:16
	ds_read_b128 v[48:51], v35 offset:32
	;; [unrolled: 1-line block ×4, first 2 shown]
	s_waitcnt lgkmcnt(4)
	v_mul_f64 v[56:57], v[42:43], v[38:39]
	v_fma_f64 v[56:57], v[40:41], v[36:37], -v[56:57]
	v_mul_f64 v[58:59], v[40:41], v[38:39]
	v_fmac_f64_e32 v[58:59], v[42:43], v[36:37]
	v_add_f64 v[56:57], v[28:29], v[56:57]
	s_waitcnt lgkmcnt(0)
	v_mul_f64 v[28:29], v[42:43], v[54:55]
	v_add_f64 v[58:59], v[30:31], v[58:59]
	v_fma_f64 v[60:61], v[40:41], v[52:53], -v[28:29]
	ds_read_b128 v[28:31], v35 offset:2048
	v_mul_f64 v[40:41], v[40:41], v[54:55]
	v_fmac_f64_e32 v[40:41], v[42:43], v[52:53]
	v_add_f64 v[42:43], v[24:25], v[60:61]
	v_add_f64 v[40:41], v[26:27], v[40:41]
	ds_read_b128 v[24:27], v35 offset:2064
	s_waitcnt lgkmcnt(1)
	v_mul_f64 v[60:61], v[30:31], v[38:39]
	v_fma_f64 v[60:61], v[28:29], v[36:37], -v[60:61]
	v_mul_f64 v[38:39], v[28:29], v[38:39]
	v_fmac_f64_e32 v[38:39], v[30:31], v[36:37]
	v_add_f64 v[36:37], v[20:21], v[60:61]
	v_mul_f64 v[20:21], v[30:31], v[54:55]
	v_add_f64 v[38:39], v[22:23], v[38:39]
	v_fma_f64 v[60:61], v[28:29], v[52:53], -v[20:21]
	v_mul_f64 v[28:29], v[28:29], v[54:55]
	ds_read_b128 v[20:23], v34 offset:512
	v_fmac_f64_e32 v[28:29], v[30:31], v[52:53]
	v_add_f64 v[30:31], v[16:17], v[60:61]
	v_add_f64 v[28:29], v[18:19], v[28:29]
	ds_read_b128 v[16:19], v34 offset:768
	s_waitcnt lgkmcnt(1)
	v_mul_f64 v[52:53], v[46:47], v[22:23]
	v_fma_f64 v[52:53], v[44:45], v[20:21], -v[52:53]
	v_add_f64 v[52:53], v[56:57], v[52:53]
	v_mul_f64 v[54:55], v[44:45], v[22:23]
	s_waitcnt lgkmcnt(0)
	v_mul_f64 v[56:57], v[46:47], v[18:19]
	v_fma_f64 v[56:57], v[44:45], v[16:17], -v[56:57]
	v_mul_f64 v[44:45], v[44:45], v[18:19]
	v_fmac_f64_e32 v[44:45], v[46:47], v[16:17]
	v_add_f64 v[40:41], v[40:41], v[44:45]
	v_mul_f64 v[44:45], v[26:27], v[22:23]
	v_mul_f64 v[22:23], v[24:25], v[22:23]
	v_fmac_f64_e32 v[54:55], v[46:47], v[20:21]
	v_fma_f64 v[44:45], v[24:25], v[20:21], -v[44:45]
	v_fmac_f64_e32 v[22:23], v[26:27], v[20:21]
	v_mul_f64 v[20:21], v[26:27], v[18:19]
	v_add_f64 v[46:47], v[38:39], v[22:23]
	v_fma_f64 v[22:23], v[24:25], v[16:17], -v[20:21]
	v_mul_f64 v[24:25], v[24:25], v[18:19]
	ds_read_b128 v[18:21], v34 offset:1024
	v_fmac_f64_e32 v[24:25], v[26:27], v[16:17]
	v_add_f64 v[42:43], v[42:43], v[56:57]
	v_add_f64 v[30:31], v[30:31], v[22:23]
	;; [unrolled: 1-line block ×3, first 2 shown]
	ds_read_b128 v[22:25], v34 offset:1280
	s_waitcnt lgkmcnt(1)
	v_mul_f64 v[26:27], v[48:49], v[20:21]
	v_add_f64 v[54:55], v[58:59], v[54:55]
	v_fmac_f64_e32 v[26:27], v[50:51], v[18:19]
	v_add_f64 v[54:55], v[54:55], v[26:27]
	ds_read_b128 v[26:29], v35 offset:2080
	v_mul_f64 v[16:17], v[50:51], v[20:21]
	v_fma_f64 v[16:17], v[48:49], v[18:19], -v[16:17]
	v_add_f64 v[44:45], v[36:37], v[44:45]
	v_add_f64 v[52:53], v[52:53], v[16:17]
	s_waitcnt lgkmcnt(1)
	v_mul_f64 v[16:17], v[50:51], v[24:25]
	v_mul_f64 v[36:37], v[48:49], v[24:25]
	v_fma_f64 v[16:17], v[48:49], v[22:23], -v[16:17]
	v_fmac_f64_e32 v[36:37], v[50:51], v[22:23]
	v_add_f64 v[42:43], v[42:43], v[16:17]
	v_add_f64 v[40:41], v[40:41], v[36:37]
	ds_read_b128 v[36:39], v35 offset:2096
	s_waitcnt lgkmcnt(1)
	v_mul_f64 v[16:17], v[28:29], v[20:21]
	v_fma_f64 v[16:17], v[26:27], v[18:19], -v[16:17]
	v_mul_f64 v[20:21], v[26:27], v[20:21]
	v_fmac_f64_e32 v[20:21], v[28:29], v[18:19]
	v_add_f64 v[44:45], v[44:45], v[16:17]
	v_mul_f64 v[16:17], v[28:29], v[24:25]
	v_add_f64 v[46:47], v[46:47], v[20:21]
	v_fma_f64 v[20:21], v[26:27], v[22:23], -v[16:17]
	v_mul_f64 v[24:25], v[26:27], v[24:25]
	ds_read_b128 v[16:19], v34 offset:1536
	v_fmac_f64_e32 v[24:25], v[28:29], v[22:23]
	v_add_f64 v[26:27], v[30:31], v[20:21]
	ds_read_b128 v[20:23], v34 offset:1792
	v_add_f64 v[24:25], v[56:57], v[24:25]
	s_waitcnt lgkmcnt(1)
	v_mul_f64 v[28:29], v[4:5], v[18:19]
	v_fma_f64 v[28:29], v[2:3], v[16:17], -v[28:29]
	v_mul_f64 v[30:31], v[2:3], v[18:19]
	s_waitcnt lgkmcnt(0)
	v_mul_f64 v[48:49], v[4:5], v[22:23]
	v_fma_f64 v[48:49], v[2:3], v[20:21], -v[48:49]
	v_mul_f64 v[2:3], v[2:3], v[22:23]
	v_fmac_f64_e32 v[2:3], v[4:5], v[20:21]
	v_add_f64 v[40:41], v[40:41], v[2:3]
	v_mul_f64 v[2:3], v[38:39], v[18:19]
	v_fmac_f64_e32 v[30:31], v[4:5], v[16:17]
	v_fma_f64 v[2:3], v[36:37], v[16:17], -v[2:3]
	v_mul_f64 v[4:5], v[36:37], v[18:19]
	v_fmac_f64_e32 v[4:5], v[38:39], v[16:17]
	v_add_f64 v[44:45], v[44:45], v[2:3]
	v_mul_f64 v[2:3], v[38:39], v[22:23]
	v_add_f64 v[42:43], v[42:43], v[48:49]
	v_add_f64 v[46:47], v[46:47], v[4:5]
	v_fma_f64 v[48:49], v[36:37], v[20:21], -v[2:3]
	ds_read_b128 v[2:5], v35 offset:64
	ds_read_b128 v[16:19], v34 offset:2048
	v_mul_f64 v[22:23], v[36:37], v[22:23]
	v_fmac_f64_e32 v[22:23], v[38:39], v[20:21]
	v_add_f64 v[36:37], v[26:27], v[48:49]
	v_add_f64 v[38:39], v[24:25], v[22:23]
	ds_read_b128 v[20:23], v34 offset:2304
	ds_read_b128 v[24:27], v35 offset:80
	s_waitcnt lgkmcnt(2)
	v_mul_f64 v[48:49], v[4:5], v[18:19]
	v_add_f64 v[28:29], v[52:53], v[28:29]
	v_fma_f64 v[48:49], v[2:3], v[16:17], -v[48:49]
	v_mul_f64 v[50:51], v[2:3], v[18:19]
	v_add_f64 v[30:31], v[54:55], v[30:31]
	v_fmac_f64_e32 v[50:51], v[4:5], v[16:17]
	v_add_f64 v[48:49], v[28:29], v[48:49]
	s_waitcnt lgkmcnt(1)
	v_mul_f64 v[28:29], v[4:5], v[22:23]
	v_add_f64 v[50:51], v[30:31], v[50:51]
	v_fma_f64 v[52:53], v[2:3], v[20:21], -v[28:29]
	ds_read_b128 v[28:31], v35 offset:2112
	v_mul_f64 v[2:3], v[2:3], v[22:23]
	v_fmac_f64_e32 v[2:3], v[4:5], v[20:21]
	v_add_f64 v[42:43], v[42:43], v[52:53]
	v_add_f64 v[40:41], v[40:41], v[2:3]
	ds_read_b128 v[2:5], v35 offset:2128
	s_waitcnt lgkmcnt(1)
	v_mul_f64 v[52:53], v[30:31], v[18:19]
	v_mul_f64 v[18:19], v[28:29], v[18:19]
	v_fma_f64 v[52:53], v[28:29], v[16:17], -v[52:53]
	v_fmac_f64_e32 v[18:19], v[30:31], v[16:17]
	v_mul_f64 v[16:17], v[30:31], v[22:23]
	v_add_f64 v[44:45], v[44:45], v[52:53]
	v_add_f64 v[46:47], v[46:47], v[18:19]
	v_fma_f64 v[52:53], v[28:29], v[20:21], -v[16:17]
	v_mul_f64 v[22:23], v[28:29], v[22:23]
	ds_read_b128 v[16:19], v34 offset:2560
	v_fmac_f64_e32 v[22:23], v[30:31], v[20:21]
	v_add_f64 v[30:31], v[38:39], v[22:23]
	ds_read_b128 v[20:23], v34 offset:2816
	v_add_f64 v[28:29], v[36:37], v[52:53]
	s_waitcnt lgkmcnt(1)
	v_mul_f64 v[36:37], v[26:27], v[18:19]
	v_fma_f64 v[36:37], v[24:25], v[16:17], -v[36:37]
	v_add_f64 v[36:37], v[48:49], v[36:37]
	s_waitcnt lgkmcnt(0)
	v_mul_f64 v[48:49], v[26:27], v[22:23]
	v_mul_f64 v[38:39], v[24:25], v[18:19]
	v_fma_f64 v[48:49], v[24:25], v[20:21], -v[48:49]
	v_mul_f64 v[24:25], v[24:25], v[22:23]
	v_fmac_f64_e32 v[24:25], v[26:27], v[20:21]
	v_add_f64 v[40:41], v[40:41], v[24:25]
	v_mul_f64 v[24:25], v[4:5], v[18:19]
	v_mul_f64 v[18:19], v[2:3], v[18:19]
	v_fmac_f64_e32 v[38:39], v[26:27], v[16:17]
	v_fma_f64 v[24:25], v[2:3], v[16:17], -v[24:25]
	v_fmac_f64_e32 v[18:19], v[4:5], v[16:17]
	v_mul_f64 v[16:17], v[4:5], v[22:23]
	v_mul_f64 v[22:23], v[2:3], v[22:23]
	v_add_f64 v[44:45], v[44:45], v[24:25]
	v_add_f64 v[46:47], v[46:47], v[18:19]
	v_fma_f64 v[24:25], v[2:3], v[20:21], -v[16:17]
	v_fmac_f64_e32 v[22:23], v[4:5], v[20:21]
	ds_read_b128 v[2:5], v35 offset:96
	ds_read_b128 v[16:19], v34 offset:3072
	v_add_f64 v[38:39], v[50:51], v[38:39]
	v_add_f64 v[42:43], v[42:43], v[48:49]
	;; [unrolled: 1-line block ×4, first 2 shown]
	ds_read_b128 v[20:23], v34 offset:3328
	ds_read_b128 v[24:27], v35 offset:112
	s_waitcnt lgkmcnt(2)
	v_mul_f64 v[28:29], v[4:5], v[18:19]
	v_fma_f64 v[28:29], v[2:3], v[16:17], -v[28:29]
	v_mul_f64 v[30:31], v[2:3], v[18:19]
	v_fmac_f64_e32 v[30:31], v[4:5], v[16:17]
	v_add_f64 v[52:53], v[36:37], v[28:29]
	s_waitcnt lgkmcnt(1)
	v_mul_f64 v[28:29], v[4:5], v[22:23]
	v_add_f64 v[54:55], v[38:39], v[30:31]
	v_fma_f64 v[36:37], v[2:3], v[20:21], -v[28:29]
	ds_read_b128 v[28:31], v35 offset:2144
	v_mul_f64 v[2:3], v[2:3], v[22:23]
	v_fmac_f64_e32 v[2:3], v[4:5], v[20:21]
	v_add_f64 v[42:43], v[42:43], v[36:37]
	v_add_f64 v[40:41], v[40:41], v[2:3]
	ds_read_b128 v[2:5], v35 offset:2160
	s_waitcnt lgkmcnt(1)
	v_mul_f64 v[36:37], v[30:31], v[18:19]
	v_mul_f64 v[18:19], v[28:29], v[18:19]
	v_fma_f64 v[36:37], v[28:29], v[16:17], -v[36:37]
	v_fmac_f64_e32 v[18:19], v[30:31], v[16:17]
	v_mul_f64 v[16:17], v[30:31], v[22:23]
	v_add_f64 v[44:45], v[44:45], v[36:37]
	v_add_f64 v[46:47], v[46:47], v[18:19]
	v_fma_f64 v[36:37], v[28:29], v[20:21], -v[16:17]
	ds_read_b128 v[16:19], v34 offset:3584
	v_add_f64 v[48:49], v[48:49], v[36:37]
	ds_read_b128 v[36:39], v34 offset:3840
	v_mul_f64 v[22:23], v[28:29], v[22:23]
	v_fmac_f64_e32 v[22:23], v[30:31], v[20:21]
	s_waitcnt lgkmcnt(1)
	v_mul_f64 v[20:21], v[26:27], v[18:19]
	v_fma_f64 v[20:21], v[24:25], v[16:17], -v[20:21]
	v_add_f64 v[50:51], v[50:51], v[22:23]
	v_mul_f64 v[22:23], v[24:25], v[18:19]
	v_add_f64 v[28:29], v[52:53], v[20:21]
	s_waitcnt lgkmcnt(0)
	v_mul_f64 v[20:21], v[26:27], v[38:39]
	v_fmac_f64_e32 v[22:23], v[26:27], v[16:17]
	v_fma_f64 v[20:21], v[24:25], v[36:37], -v[20:21]
	v_add_f64 v[30:31], v[54:55], v[22:23]
	v_mul_f64 v[22:23], v[24:25], v[38:39]
	v_add_f64 v[24:25], v[42:43], v[20:21]
	v_mul_f64 v[20:21], v[4:5], v[18:19]
	v_mul_f64 v[18:19], v[2:3], v[18:19]
	v_fma_f64 v[20:21], v[2:3], v[16:17], -v[20:21]
	v_fmac_f64_e32 v[18:19], v[4:5], v[16:17]
	v_mul_f64 v[16:17], v[4:5], v[38:39]
	v_add_co_u32_e32 v10, vcc, 0x80, v10
	v_fma_f64 v[16:17], v[2:3], v[36:37], -v[16:17]
	v_mul_f64 v[2:3], v[2:3], v[38:39]
	v_addc_co_u32_e32 v11, vcc, 0, v11, vcc
	v_fmac_f64_e32 v[22:23], v[26:27], v[36:37]
	v_fmac_f64_e32 v[2:3], v[4:5], v[36:37]
	s_add_u32 s28, s28, 8
	v_add_co_u32_e32 v12, vcc, 0x80, v12
	v_add_f64 v[26:27], v[40:41], v[22:23]
	v_add_f64 v[22:23], v[46:47], v[18:19]
	;; [unrolled: 1-line block ×3, first 2 shown]
	s_addc_u32 s29, s29, 0
	v_addc_co_u32_e32 v13, vcc, 0, v13, vcc
	v_pk_mov_b32 v[2:3], s[40:41], s[40:41] op_sel:[0,1]
	v_cmp_lt_i64_e32 vcc, s[28:29], v[2:3]
	v_add_f64 v[20:21], v[44:45], v[20:21]
	v_add_f64 v[16:17], v[48:49], v[16:17]
	s_barrier
	s_cbranch_vccz .LBB286_9
.LBB286_3:                              ; =>This Inner Loop Header: Depth=1
	v_mov_b32_e32 v1, s29
	v_add_co_u32_e32 v2, vcc, s28, v6
	v_addc_co_u32_e32 v3, vcc, 0, v1, vcc
	v_cmp_gt_i64_e32 vcc, s[40:41], v[2:3]
	s_and_b64 s[14:15], s[0:1], vcc
	v_pk_mov_b32 v[2:3], v[14:15], v[14:15] op_sel:[0,1]
	v_pk_mov_b32 v[4:5], v[14:15], v[14:15] op_sel:[0,1]
	s_and_saveexec_b64 s[12:13], s[14:15]
	s_cbranch_execz .LBB286_5
; %bb.4:                                ;   in Loop: Header=BB286_3 Depth=1
	global_load_dwordx4 v[2:5], v[12:13], off offset:-8
	s_waitcnt vmcnt(0)
	v_xor_b32_e32 v5, 0x80000000, v5
.LBB286_5:                              ;   in Loop: Header=BB286_3 Depth=1
	s_or_b64 exec, exec, s[12:13]
	ds_write_b128 v32, v[2:5]
	v_mov_b32_e32 v1, s29
	v_add_co_u32_e32 v2, vcc, s28, v8
	v_addc_co_u32_e32 v3, vcc, 0, v1, vcc
	v_cmp_le_i64_e32 vcc, s[40:41], v[2:3]
	s_or_b64 s[12:13], vcc, s[2:3]
	s_and_saveexec_b64 s[14:15], s[12:13]
	s_xor_b64 s[12:13], exec, s[14:15]
	s_cbranch_execz .LBB286_7
; %bb.6:                                ;   in Loop: Header=BB286_3 Depth=1
	v_mov_b32_e32 v1, v0
	v_mov_b32_e32 v2, v0
	;; [unrolled: 1-line block ×3, first 2 shown]
	ds_write_b128 v33, v[0:3]
.LBB286_7:                              ;   in Loop: Header=BB286_3 Depth=1
	s_andn2_saveexec_b64 s[12:13], s[12:13]
	s_cbranch_execz .LBB286_2
; %bb.8:                                ;   in Loop: Header=BB286_3 Depth=1
	global_load_dwordx4 v[2:5], v[10:11], off
	s_waitcnt vmcnt(0)
	ds_write2_b64 v33, v[2:3], v[4:5] offset1:1
	s_branch .LBB286_2
.LBB286_9:
	s_lshl_b64 s[0:1], s[10:11], 4
	s_waitcnt lgkmcnt(0)
	s_add_u32 s14, s4, s0
	s_addc_u32 s15, s5, s1
	v_mov_b32_e32 v1, s23
	v_add_co_u32_e32 v0, vcc, s22, v9
	v_cmp_neq_f64_e64 s[0:1], s[18:19], 0
	v_cmp_neq_f64_e64 s[2:3], s[20:21], 0
	v_addc_co_u32_e32 v1, vcc, 0, v1, vcc
	s_or_b64 s[4:5], s[0:1], s[2:3]
	v_cmp_gt_i64_e64 s[0:1], s[38:39], v[0:1]
	s_mov_b64 s[2:3], -1
	s_and_b64 vcc, exec, s[4:5]
	s_cbranch_vccnz .LBB286_21
; %bb.10:
	s_and_saveexec_b64 s[10:11], s[0:1]
	s_cbranch_execz .LBB286_20
; %bb.11:
	v_mov_b32_e32 v2, s7
	v_add_co_u32_e32 v4, vcc, s6, v7
	v_addc_co_u32_e32 v5, vcc, 0, v2, vcc
	v_mul_lo_u32 v6, v1, s30
	v_mul_lo_u32 v8, v0, s31
	v_mad_u64_u32 v[2:3], s[2:3], v0, s30, 0
	v_add3_u32 v3, v3, v8, v6
	v_lshlrev_b64 v[2:3], 4, v[2:3]
	v_mov_b32_e32 v8, s15
	v_add_co_u32_e64 v6, s[2:3], s14, v2
	v_cmp_gt_i64_e32 vcc, s[36:37], v[4:5]
	v_addc_co_u32_e64 v8, s[2:3], v8, v3, s[2:3]
	v_lshlrev_b64 v[2:3], 4, v[4:5]
	s_and_saveexec_b64 s[4:5], vcc
	s_cbranch_execz .LBB286_13
; %bb.12:
	v_mul_f64 v[10:11], s[44:45], v[30:31]
	v_mul_f64 v[12:13], s[42:43], v[30:31]
	v_add_co_u32_e64 v14, s[2:3], v6, v2
	v_fma_f64 v[10:11], s[42:43], v[28:29], -v[10:11]
	v_fmac_f64_e32 v[12:13], s[44:45], v[28:29]
	v_addc_co_u32_e64 v15, s[2:3], v8, v3, s[2:3]
	global_store_dwordx4 v[14:15], v[10:13], off
.LBB286_13:
	s_or_b64 exec, exec, s[4:5]
	v_add_co_u32_e64 v4, s[2:3], 16, v4
	v_addc_co_u32_e64 v5, s[2:3], 0, v5, s[2:3]
	v_cmp_gt_i64_e64 s[2:3], s[36:37], v[4:5]
	s_and_saveexec_b64 s[12:13], s[2:3]
	s_cbranch_execz .LBB286_15
; %bb.14:
	v_mul_f64 v[4:5], s[44:45], v[26:27]
	v_fma_f64 v[10:11], s[42:43], v[24:25], -v[4:5]
	v_mul_f64 v[12:13], s[42:43], v[26:27]
	v_add_co_u32_e64 v4, s[4:5], v6, v2
	v_fmac_f64_e32 v[12:13], s[44:45], v[24:25]
	v_addc_co_u32_e64 v5, s[4:5], v8, v3, s[4:5]
	global_store_dwordx4 v[4:5], v[10:13], off offset:256
.LBB286_15:
	s_or_b64 exec, exec, s[12:13]
	v_add_co_u32_e64 v4, s[4:5], 16, v0
	v_addc_co_u32_e64 v5, s[4:5], 0, v1, s[4:5]
	v_cmp_gt_i64_e64 s[4:5], s[38:39], v[4:5]
	s_and_b64 exec, exec, s[4:5]
	s_cbranch_execz .LBB286_20
; %bb.16:
	s_lshl_b64 s[4:5], s[30:31], 8
	v_mov_b32_e32 v4, s5
	v_add_co_u32_e64 v5, s[4:5], s4, v6
	v_addc_co_u32_e64 v4, s[4:5], v8, v4, s[4:5]
	v_add_co_u32_e64 v2, s[4:5], v5, v2
	v_addc_co_u32_e64 v3, s[4:5], v4, v3, s[4:5]
	s_and_saveexec_b64 s[4:5], vcc
	s_cbranch_execz .LBB286_18
; %bb.17:
	v_mul_f64 v[4:5], s[44:45], v[22:23]
	v_mul_f64 v[10:11], s[42:43], v[22:23]
	v_fma_f64 v[8:9], s[42:43], v[20:21], -v[4:5]
	v_fmac_f64_e32 v[10:11], s[44:45], v[20:21]
	global_store_dwordx4 v[2:3], v[8:11], off
.LBB286_18:
	s_or_b64 exec, exec, s[4:5]
	s_and_b64 exec, exec, s[2:3]
	s_cbranch_execz .LBB286_20
; %bb.19:
	v_mul_f64 v[4:5], s[44:45], v[18:19]
	v_mul_f64 v[10:11], s[42:43], v[18:19]
	v_fma_f64 v[8:9], s[42:43], v[16:17], -v[4:5]
	v_fmac_f64_e32 v[10:11], s[44:45], v[16:17]
	global_store_dwordx4 v[2:3], v[8:11], off offset:256
.LBB286_20:
	s_or_b64 exec, exec, s[10:11]
	s_mov_b64 s[2:3], 0
.LBB286_21:
	s_andn2_b64 vcc, exec, s[2:3]
	s_cbranch_vccnz .LBB286_32
; %bb.22:
	s_and_saveexec_b64 s[2:3], s[0:1]
	s_cbranch_execz .LBB286_32
; %bb.23:
	s_lshl_b64 s[0:1], s[26:27], 4
	s_add_u32 s2, s8, s0
	v_mov_b32_e32 v2, s7
	v_add_co_u32_e32 v4, vcc, s6, v7
	s_addc_u32 s3, s9, s1
	v_addc_co_u32_e32 v5, vcc, 0, v2, vcc
	v_mul_lo_u32 v6, v1, s24
	v_mul_lo_u32 v7, v0, s25
	v_mad_u64_u32 v[2:3], s[0:1], v0, s24, 0
	v_add3_u32 v3, v3, v7, v6
	v_mul_lo_u32 v6, v1, s30
	v_mul_lo_u32 v7, v0, s31
	v_mad_u64_u32 v[8:9], s[0:1], v0, s30, 0
	v_lshlrev_b64 v[2:3], 4, v[2:3]
	v_add3_u32 v9, v9, v7, v6
	v_mov_b32_e32 v7, s3
	v_add_co_u32_e64 v6, s[0:1], s2, v2
	v_addc_co_u32_e64 v7, s[0:1], v7, v3, s[0:1]
	v_lshlrev_b64 v[2:3], 4, v[8:9]
	v_mov_b32_e32 v9, s15
	v_add_co_u32_e64 v8, s[0:1], s14, v2
	v_cmp_gt_i64_e32 vcc, s[36:37], v[4:5]
	v_addc_co_u32_e64 v9, s[0:1], v9, v3, s[0:1]
	v_lshlrev_b64 v[2:3], 4, v[4:5]
	s_and_saveexec_b64 s[2:3], vcc
	s_cbranch_execz .LBB286_25
; %bb.24:
	v_add_co_u32_e64 v10, s[0:1], v6, v2
	v_addc_co_u32_e64 v11, s[0:1], v7, v3, s[0:1]
	global_load_dwordx4 v[10:13], v[10:11], off
	v_mul_f64 v[14:15], s[44:45], v[30:31]
	v_mul_f64 v[30:31], s[42:43], v[30:31]
	v_fma_f64 v[14:15], s[42:43], v[28:29], -v[14:15]
	v_fmac_f64_e32 v[30:31], s[44:45], v[28:29]
	s_waitcnt vmcnt(0)
	v_mul_f64 v[28:29], s[20:21], v[12:13]
	v_mul_f64 v[12:13], s[18:19], v[12:13]
	v_fma_f64 v[28:29], s[18:19], v[10:11], -v[28:29]
	v_fmac_f64_e32 v[12:13], s[20:21], v[10:11]
	v_add_f64 v[10:11], v[14:15], v[28:29]
	v_add_co_u32_e64 v14, s[0:1], v8, v2
	v_add_f64 v[12:13], v[30:31], v[12:13]
	v_addc_co_u32_e64 v15, s[0:1], v9, v3, s[0:1]
	global_store_dwordx4 v[14:15], v[10:13], off
.LBB286_25:
	s_or_b64 exec, exec, s[2:3]
	v_add_co_u32_e64 v4, s[0:1], 16, v4
	v_addc_co_u32_e64 v5, s[0:1], 0, v5, s[0:1]
	v_cmp_gt_i64_e64 s[0:1], s[36:37], v[4:5]
	s_and_saveexec_b64 s[4:5], s[0:1]
	s_cbranch_execz .LBB286_27
; %bb.26:
	v_add_co_u32_e64 v4, s[2:3], v6, v2
	v_addc_co_u32_e64 v5, s[2:3], v7, v3, s[2:3]
	global_load_dwordx4 v[10:13], v[4:5], off offset:256
	v_mul_f64 v[4:5], s[44:45], v[26:27]
	v_mul_f64 v[14:15], s[42:43], v[26:27]
	v_fma_f64 v[4:5], s[42:43], v[24:25], -v[4:5]
	v_fmac_f64_e32 v[14:15], s[44:45], v[24:25]
	s_waitcnt vmcnt(0)
	v_mul_f64 v[24:25], s[20:21], v[12:13]
	v_mul_f64 v[12:13], s[18:19], v[12:13]
	v_fma_f64 v[24:25], s[18:19], v[10:11], -v[24:25]
	v_fmac_f64_e32 v[12:13], s[20:21], v[10:11]
	v_add_f64 v[10:11], v[4:5], v[24:25]
	v_add_co_u32_e64 v4, s[2:3], v8, v2
	v_add_f64 v[12:13], v[14:15], v[12:13]
	v_addc_co_u32_e64 v5, s[2:3], v9, v3, s[2:3]
	global_store_dwordx4 v[4:5], v[10:13], off offset:256
.LBB286_27:
	s_or_b64 exec, exec, s[4:5]
	v_add_co_u32_e64 v0, s[2:3], 16, v0
	v_addc_co_u32_e64 v1, s[2:3], 0, v1, s[2:3]
	v_cmp_gt_i64_e64 s[2:3], s[38:39], v[0:1]
	s_and_b64 exec, exec, s[2:3]
	s_cbranch_execz .LBB286_32
; %bb.28:
	s_lshl_b64 s[2:3], s[24:25], 8
	v_mov_b32_e32 v0, s3
	v_add_co_u32_e64 v1, s[2:3], s2, v6
	v_addc_co_u32_e64 v0, s[2:3], v7, v0, s[2:3]
	s_lshl_b64 s[2:3], s[30:31], 8
	v_mov_b32_e32 v4, s3
	v_add_co_u32_e64 v6, s[2:3], s2, v8
	v_addc_co_u32_e64 v7, s[2:3], v9, v4, s[2:3]
	v_add_co_u32_e64 v4, s[2:3], v1, v2
	v_addc_co_u32_e64 v5, s[2:3], v0, v3, s[2:3]
	;; [unrolled: 2-line block ×3, first 2 shown]
	s_and_saveexec_b64 s[2:3], vcc
	s_cbranch_execz .LBB286_30
; %bb.29:
	global_load_dwordx4 v[6:9], v[4:5], off
	v_mul_f64 v[2:3], s[44:45], v[22:23]
	v_mul_f64 v[10:11], s[42:43], v[22:23]
	v_fma_f64 v[2:3], s[42:43], v[20:21], -v[2:3]
	v_fmac_f64_e32 v[10:11], s[44:45], v[20:21]
	s_waitcnt vmcnt(0)
	v_mul_f64 v[12:13], s[20:21], v[8:9]
	v_mul_f64 v[8:9], s[18:19], v[8:9]
	v_fma_f64 v[12:13], s[18:19], v[6:7], -v[12:13]
	v_fmac_f64_e32 v[8:9], s[20:21], v[6:7]
	v_add_f64 v[6:7], v[2:3], v[12:13]
	v_add_f64 v[8:9], v[10:11], v[8:9]
	global_store_dwordx4 v[0:1], v[6:9], off
.LBB286_30:
	s_or_b64 exec, exec, s[2:3]
	s_and_b64 exec, exec, s[0:1]
	s_cbranch_execz .LBB286_32
; %bb.31:
	global_load_dwordx4 v[2:5], v[4:5], off offset:256
	v_mul_f64 v[6:7], s[44:45], v[18:19]
	v_mul_f64 v[8:9], s[42:43], v[18:19]
	v_fma_f64 v[6:7], s[42:43], v[16:17], -v[6:7]
	v_fmac_f64_e32 v[8:9], s[44:45], v[16:17]
	s_waitcnt vmcnt(0)
	v_mul_f64 v[10:11], s[20:21], v[4:5]
	v_mul_f64 v[4:5], s[18:19], v[4:5]
	v_fma_f64 v[10:11], s[18:19], v[2:3], -v[10:11]
	v_fmac_f64_e32 v[4:5], s[20:21], v[2:3]
	v_add_f64 v[2:3], v[6:7], v[10:11]
	v_add_f64 v[4:5], v[8:9], v[4:5]
	global_store_dwordx4 v[0:1], v[2:5], off offset:256
.LBB286_32:
	s_endpgm
	.section	.rodata,"a",@progbits
	.p2align	6, 0x0
	.amdhsa_kernel _ZN12_GLOBAL__N_135rocblas_gemm_batched_general_kernelI19rocblas_complex_numIdELi16ELi16ELi32ELi32ELi8ELi32ELi8ELi8ELi32ELc67ELc78EKPKS2_S5_KPS2_EEvlllT_PT11_llSA_llS8_PT12_llPT13_lli
		.amdhsa_group_segment_fixed_size 8192
		.amdhsa_private_segment_fixed_size 0
		.amdhsa_kernarg_size 156
		.amdhsa_user_sgpr_count 6
		.amdhsa_user_sgpr_private_segment_buffer 1
		.amdhsa_user_sgpr_dispatch_ptr 0
		.amdhsa_user_sgpr_queue_ptr 0
		.amdhsa_user_sgpr_kernarg_segment_ptr 1
		.amdhsa_user_sgpr_dispatch_id 0
		.amdhsa_user_sgpr_flat_scratch_init 0
		.amdhsa_user_sgpr_kernarg_preload_length 0
		.amdhsa_user_sgpr_kernarg_preload_offset 0
		.amdhsa_user_sgpr_private_segment_size 0
		.amdhsa_uses_dynamic_stack 0
		.amdhsa_system_sgpr_private_segment_wavefront_offset 0
		.amdhsa_system_sgpr_workgroup_id_x 1
		.amdhsa_system_sgpr_workgroup_id_y 1
		.amdhsa_system_sgpr_workgroup_id_z 1
		.amdhsa_system_sgpr_workgroup_info 0
		.amdhsa_system_vgpr_workitem_id 1
		.amdhsa_next_free_vgpr 62
		.amdhsa_next_free_sgpr 52
		.amdhsa_accum_offset 64
		.amdhsa_reserve_vcc 1
		.amdhsa_reserve_flat_scratch 0
		.amdhsa_float_round_mode_32 0
		.amdhsa_float_round_mode_16_64 0
		.amdhsa_float_denorm_mode_32 3
		.amdhsa_float_denorm_mode_16_64 3
		.amdhsa_dx10_clamp 1
		.amdhsa_ieee_mode 1
		.amdhsa_fp16_overflow 0
		.amdhsa_tg_split 0
		.amdhsa_exception_fp_ieee_invalid_op 0
		.amdhsa_exception_fp_denorm_src 0
		.amdhsa_exception_fp_ieee_div_zero 0
		.amdhsa_exception_fp_ieee_overflow 0
		.amdhsa_exception_fp_ieee_underflow 0
		.amdhsa_exception_fp_ieee_inexact 0
		.amdhsa_exception_int_div_zero 0
	.end_amdhsa_kernel
	.section	.text._ZN12_GLOBAL__N_135rocblas_gemm_batched_general_kernelI19rocblas_complex_numIdELi16ELi16ELi32ELi32ELi8ELi32ELi8ELi8ELi32ELc67ELc78EKPKS2_S5_KPS2_EEvlllT_PT11_llSA_llS8_PT12_llPT13_lli,"axG",@progbits,_ZN12_GLOBAL__N_135rocblas_gemm_batched_general_kernelI19rocblas_complex_numIdELi16ELi16ELi32ELi32ELi8ELi32ELi8ELi8ELi32ELc67ELc78EKPKS2_S5_KPS2_EEvlllT_PT11_llSA_llS8_PT12_llPT13_lli,comdat
.Lfunc_end286:
	.size	_ZN12_GLOBAL__N_135rocblas_gemm_batched_general_kernelI19rocblas_complex_numIdELi16ELi16ELi32ELi32ELi8ELi32ELi8ELi8ELi32ELc67ELc78EKPKS2_S5_KPS2_EEvlllT_PT11_llSA_llS8_PT12_llPT13_lli, .Lfunc_end286-_ZN12_GLOBAL__N_135rocblas_gemm_batched_general_kernelI19rocblas_complex_numIdELi16ELi16ELi32ELi32ELi8ELi32ELi8ELi8ELi32ELc67ELc78EKPKS2_S5_KPS2_EEvlllT_PT11_llSA_llS8_PT12_llPT13_lli
                                        ; -- End function
	.section	.AMDGPU.csdata,"",@progbits
; Kernel info:
; codeLenInByte = 3904
; NumSgprs: 56
; NumVgprs: 62
; NumAgprs: 0
; TotalNumVgprs: 62
; ScratchSize: 0
; MemoryBound: 1
; FloatMode: 240
; IeeeMode: 1
; LDSByteSize: 8192 bytes/workgroup (compile time only)
; SGPRBlocks: 6
; VGPRBlocks: 7
; NumSGPRsForWavesPerEU: 56
; NumVGPRsForWavesPerEU: 62
; AccumOffset: 64
; Occupancy: 8
; WaveLimiterHint : 1
; COMPUTE_PGM_RSRC2:SCRATCH_EN: 0
; COMPUTE_PGM_RSRC2:USER_SGPR: 6
; COMPUTE_PGM_RSRC2:TRAP_HANDLER: 0
; COMPUTE_PGM_RSRC2:TGID_X_EN: 1
; COMPUTE_PGM_RSRC2:TGID_Y_EN: 1
; COMPUTE_PGM_RSRC2:TGID_Z_EN: 1
; COMPUTE_PGM_RSRC2:TIDIG_COMP_CNT: 1
; COMPUTE_PGM_RSRC3_GFX90A:ACCUM_OFFSET: 15
; COMPUTE_PGM_RSRC3_GFX90A:TG_SPLIT: 0
	.section	.text._ZN12_GLOBAL__N_135rocblas_gemm_batched_general_kernelI19rocblas_complex_numIdELi16ELi16ELi32ELi32ELi8ELi32ELi8ELi8ELi32ELc67ELc84EKPKS2_S5_KPS2_EEvlllT_PT11_llSA_llS8_PT12_llPT13_lli,"axG",@progbits,_ZN12_GLOBAL__N_135rocblas_gemm_batched_general_kernelI19rocblas_complex_numIdELi16ELi16ELi32ELi32ELi8ELi32ELi8ELi8ELi32ELc67ELc84EKPKS2_S5_KPS2_EEvlllT_PT11_llSA_llS8_PT12_llPT13_lli,comdat
	.globl	_ZN12_GLOBAL__N_135rocblas_gemm_batched_general_kernelI19rocblas_complex_numIdELi16ELi16ELi32ELi32ELi8ELi32ELi8ELi8ELi32ELc67ELc84EKPKS2_S5_KPS2_EEvlllT_PT11_llSA_llS8_PT12_llPT13_lli ; -- Begin function _ZN12_GLOBAL__N_135rocblas_gemm_batched_general_kernelI19rocblas_complex_numIdELi16ELi16ELi32ELi32ELi8ELi32ELi8ELi8ELi32ELc67ELc84EKPKS2_S5_KPS2_EEvlllT_PT11_llSA_llS8_PT12_llPT13_lli
	.p2align	8
	.type	_ZN12_GLOBAL__N_135rocblas_gemm_batched_general_kernelI19rocblas_complex_numIdELi16ELi16ELi32ELi32ELi8ELi32ELi8ELi8ELi32ELc67ELc84EKPKS2_S5_KPS2_EEvlllT_PT11_llSA_llS8_PT12_llPT13_lli,@function
_ZN12_GLOBAL__N_135rocblas_gemm_batched_general_kernelI19rocblas_complex_numIdELi16ELi16ELi32ELi32ELi8ELi32ELi8ELi8ELi32ELc67ELc84EKPKS2_S5_KPS2_EEvlllT_PT11_llSA_llS8_PT12_llPT13_lli: ; @_ZN12_GLOBAL__N_135rocblas_gemm_batched_general_kernelI19rocblas_complex_numIdELi16ELi16ELi32ELi32ELi8ELi32ELi8ELi8ELi32ELc67ELc84EKPKS2_S5_KPS2_EEvlllT_PT11_llSA_llS8_PT12_llPT13_lli
; %bb.0:
	s_load_dwordx16 s[36:51], s[4:5], 0x0
	s_load_dwordx16 s[12:27], s[4:5], 0x40
	s_load_dwordx2 s[10:11], s[4:5], 0x90
	s_load_dwordx4 s[28:31], s[4:5], 0x80
	s_mov_b32 s9, 0
	s_lshl_b64 s[0:1], s[8:9], 3
	s_waitcnt lgkmcnt(0)
	s_add_u32 s4, s22, s0
	s_addc_u32 s5, s23, s1
	s_load_dwordx2 s[8:9], s[4:5], 0x0
	s_add_u32 s4, s28, s0
	s_addc_u32 s5, s29, s1
	s_load_dwordx2 s[4:5], s[4:5], 0x0
	s_mov_b32 s2, s7
	s_ashr_i32 s7, s6, 31
	s_ashr_i32 s3, s2, 31
	v_cmp_lt_i64_e64 s[34:35], s[40:41], 1
	v_pk_mov_b32 v[28:29], 0, 0
	v_and_b32_e32 v7, 0x3ff, v0
	v_bfe_u32 v9, v0, 10, 10
	s_lshl_b64 s[6:7], s[6:7], 5
	s_lshl_b64 s[22:23], s[2:3], 5
	s_mov_b64 s[28:29], 0
	s_and_b64 vcc, exec, s[34:35]
	v_pk_mov_b32 v[30:31], v[28:29], v[28:29] op_sel:[0,1]
	v_pk_mov_b32 v[24:25], v[28:29], v[28:29] op_sel:[0,1]
	;; [unrolled: 1-line block ×7, first 2 shown]
	s_cbranch_vccnz .LBB287_9
; %bb.1:
	v_lshl_add_u32 v1, v9, 4, v7
	v_lshrrev_b32_e32 v2, 3, v1
	v_mov_b32_e32 v5, s23
	v_add_co_u32_e32 v4, vcc, s22, v2
	s_add_u32 s12, s12, s0
	v_and_b32_e32 v8, 7, v7
	v_addc_co_u32_e32 v5, vcc, 0, v5, vcc
	s_addc_u32 s13, s13, s1
	v_cmp_gt_i64_e32 vcc, s[38:39], v[4:5]
	v_lshlrev_b32_e32 v4, 4, v8
	v_lshrrev_b32_e32 v6, 5, v1
	s_add_u32 s0, s46, s0
	v_and_b32_e32 v1, 31, v1
	v_lshl_or_b32 v4, v2, 7, v4
	s_addc_u32 s1, s47, s1
	v_mov_b32_e32 v11, s7
	v_or_b32_e32 v10, s6, v1
	v_add_u32_e32 v33, 0x1000, v4
	v_mov_b32_e32 v4, 0x1000
	s_load_dwordx2 s[34:35], s[0:1], 0x0
	v_cmp_gt_i64_e64 s[0:1], s[36:37], v[10:11]
	v_lshlrev_b32_e32 v10, 4, v1
	v_lshl_add_u32 v35, v9, 7, v4
	v_mad_u64_u32 v[4:5], s[46:47], s14, v8, 0
	v_lshl_or_b32 v32, v6, 9, v10
	v_mov_b32_e32 v10, v5
	v_mad_u64_u32 v[10:11], s[46:47], s15, v8, v[10:11]
	s_lshl_b64 s[2:3], s[2:3], 9
	s_lshl_b64 s[16:17], s[16:17], 4
	v_mov_b32_e32 v5, v10
	s_add_u32 s2, s16, s2
	s_load_dwordx2 s[12:13], s[12:13], 0x0
	v_mov_b32_e32 v0, 0
	v_lshlrev_b64 v[4:5], 4, v[4:5]
	s_addc_u32 s3, s17, s3
	v_mov_b32_e32 v3, v0
	v_mov_b32_e32 v10, s3
	v_add_co_u32_e64 v4, s[2:3], s2, v4
	v_addc_co_u32_e64 v5, s[2:3], v10, v5, s[2:3]
	v_lshlrev_b64 v[2:3], 4, v[2:3]
	v_add_co_u32_e64 v2, s[2:3], v4, v2
	v_addc_co_u32_e64 v3, s[2:3], v5, v3, s[2:3]
	s_waitcnt lgkmcnt(0)
	v_mov_b32_e32 v4, s13
	v_add_co_u32_e64 v10, s[2:3], s12, v2
	v_addc_co_u32_e64 v11, s[2:3], v4, v3, s[2:3]
	v_mov_b32_e32 v2, s7
	v_add_co_u32_e64 v1, s[2:3], s6, v1
	v_addc_co_u32_e64 v2, s[2:3], 0, v2, s[2:3]
	v_mul_lo_u32 v4, s49, v1
	v_mul_lo_u32 v5, s48, v2
	v_mad_u64_u32 v[2:3], s[2:3], s48, v1, 0
	v_add3_u32 v3, v3, v5, v4
	v_lshlrev_b64 v[2:3], 4, v[2:3]
	s_lshl_b64 s[2:3], s[50:51], 4
	v_mov_b32_e32 v1, s3
	v_add_co_u32_e64 v2, s[2:3], s2, v2
	v_addc_co_u32_e64 v1, s[2:3], v3, v1, s[2:3]
	v_lshlrev_b32_e32 v3, 4, v6
	v_add_co_u32_e64 v2, s[2:3], v2, v3
	v_addc_co_u32_e64 v1, s[2:3], 0, v1, s[2:3]
	v_mov_b32_e32 v3, s35
	v_add_co_u32_e64 v2, s[2:3], s34, v2
	v_addc_co_u32_e64 v1, s[2:3], v1, v3, s[2:3]
	v_add_co_u32_e64 v12, s[2:3], 8, v2
	v_addc_co_u32_e64 v13, s[2:3], 0, v1, s[2:3]
	v_pk_mov_b32 v[14:15], 0, 0
	v_lshlrev_b32_e32 v34, 4, v7
	s_lshl_b64 s[12:13], s[14:15], 7
	s_xor_b64 s[2:3], vcc, -1
	v_pk_mov_b32 v[18:19], v[14:15], v[14:15] op_sel:[0,1]
	v_pk_mov_b32 v[16:17], v[14:15], v[14:15] op_sel:[0,1]
	;; [unrolled: 1-line block ×8, first 2 shown]
	s_branch .LBB287_3
.LBB287_2:                              ;   in Loop: Header=BB287_3 Depth=1
	s_or_b64 exec, exec, s[14:15]
	s_waitcnt lgkmcnt(0)
	s_barrier
	ds_read_b128 v[36:39], v34
	ds_read_b128 v[40:43], v35
	ds_read_b128 v[44:47], v35 offset:16
	ds_read_b128 v[48:51], v35 offset:32
	;; [unrolled: 1-line block ×4, first 2 shown]
	s_waitcnt lgkmcnt(4)
	v_mul_f64 v[56:57], v[42:43], v[38:39]
	v_fma_f64 v[56:57], v[40:41], v[36:37], -v[56:57]
	v_mul_f64 v[58:59], v[40:41], v[38:39]
	v_fmac_f64_e32 v[58:59], v[42:43], v[36:37]
	v_add_f64 v[56:57], v[28:29], v[56:57]
	s_waitcnt lgkmcnt(0)
	v_mul_f64 v[28:29], v[42:43], v[54:55]
	v_add_f64 v[58:59], v[30:31], v[58:59]
	v_fma_f64 v[60:61], v[40:41], v[52:53], -v[28:29]
	ds_read_b128 v[28:31], v35 offset:2048
	v_mul_f64 v[40:41], v[40:41], v[54:55]
	v_fmac_f64_e32 v[40:41], v[42:43], v[52:53]
	v_add_f64 v[42:43], v[24:25], v[60:61]
	v_add_f64 v[40:41], v[26:27], v[40:41]
	ds_read_b128 v[24:27], v35 offset:2064
	s_waitcnt lgkmcnt(1)
	v_mul_f64 v[60:61], v[30:31], v[38:39]
	v_fma_f64 v[60:61], v[28:29], v[36:37], -v[60:61]
	v_mul_f64 v[38:39], v[28:29], v[38:39]
	v_fmac_f64_e32 v[38:39], v[30:31], v[36:37]
	v_add_f64 v[36:37], v[20:21], v[60:61]
	v_mul_f64 v[20:21], v[30:31], v[54:55]
	v_add_f64 v[38:39], v[22:23], v[38:39]
	v_fma_f64 v[60:61], v[28:29], v[52:53], -v[20:21]
	v_mul_f64 v[28:29], v[28:29], v[54:55]
	ds_read_b128 v[20:23], v34 offset:512
	v_fmac_f64_e32 v[28:29], v[30:31], v[52:53]
	v_add_f64 v[30:31], v[16:17], v[60:61]
	v_add_f64 v[28:29], v[18:19], v[28:29]
	ds_read_b128 v[16:19], v34 offset:768
	s_waitcnt lgkmcnt(1)
	v_mul_f64 v[52:53], v[46:47], v[22:23]
	v_fma_f64 v[52:53], v[44:45], v[20:21], -v[52:53]
	v_add_f64 v[52:53], v[56:57], v[52:53]
	v_mul_f64 v[54:55], v[44:45], v[22:23]
	s_waitcnt lgkmcnt(0)
	v_mul_f64 v[56:57], v[46:47], v[18:19]
	v_fma_f64 v[56:57], v[44:45], v[16:17], -v[56:57]
	v_mul_f64 v[44:45], v[44:45], v[18:19]
	v_fmac_f64_e32 v[44:45], v[46:47], v[16:17]
	v_add_f64 v[40:41], v[40:41], v[44:45]
	v_mul_f64 v[44:45], v[26:27], v[22:23]
	v_mul_f64 v[22:23], v[24:25], v[22:23]
	v_fmac_f64_e32 v[54:55], v[46:47], v[20:21]
	v_fma_f64 v[44:45], v[24:25], v[20:21], -v[44:45]
	v_fmac_f64_e32 v[22:23], v[26:27], v[20:21]
	v_mul_f64 v[20:21], v[26:27], v[18:19]
	v_add_f64 v[46:47], v[38:39], v[22:23]
	v_fma_f64 v[22:23], v[24:25], v[16:17], -v[20:21]
	v_mul_f64 v[24:25], v[24:25], v[18:19]
	ds_read_b128 v[18:21], v34 offset:1024
	v_fmac_f64_e32 v[24:25], v[26:27], v[16:17]
	v_add_f64 v[42:43], v[42:43], v[56:57]
	v_add_f64 v[30:31], v[30:31], v[22:23]
	;; [unrolled: 1-line block ×3, first 2 shown]
	ds_read_b128 v[22:25], v34 offset:1280
	s_waitcnt lgkmcnt(1)
	v_mul_f64 v[26:27], v[48:49], v[20:21]
	v_add_f64 v[54:55], v[58:59], v[54:55]
	v_fmac_f64_e32 v[26:27], v[50:51], v[18:19]
	v_add_f64 v[54:55], v[54:55], v[26:27]
	ds_read_b128 v[26:29], v35 offset:2080
	v_mul_f64 v[16:17], v[50:51], v[20:21]
	v_fma_f64 v[16:17], v[48:49], v[18:19], -v[16:17]
	v_add_f64 v[44:45], v[36:37], v[44:45]
	v_add_f64 v[52:53], v[52:53], v[16:17]
	s_waitcnt lgkmcnt(1)
	v_mul_f64 v[16:17], v[50:51], v[24:25]
	v_mul_f64 v[36:37], v[48:49], v[24:25]
	v_fma_f64 v[16:17], v[48:49], v[22:23], -v[16:17]
	v_fmac_f64_e32 v[36:37], v[50:51], v[22:23]
	v_add_f64 v[42:43], v[42:43], v[16:17]
	v_add_f64 v[40:41], v[40:41], v[36:37]
	ds_read_b128 v[36:39], v35 offset:2096
	s_waitcnt lgkmcnt(1)
	v_mul_f64 v[16:17], v[28:29], v[20:21]
	v_fma_f64 v[16:17], v[26:27], v[18:19], -v[16:17]
	v_mul_f64 v[20:21], v[26:27], v[20:21]
	v_fmac_f64_e32 v[20:21], v[28:29], v[18:19]
	v_add_f64 v[44:45], v[44:45], v[16:17]
	v_mul_f64 v[16:17], v[28:29], v[24:25]
	v_add_f64 v[46:47], v[46:47], v[20:21]
	v_fma_f64 v[20:21], v[26:27], v[22:23], -v[16:17]
	v_mul_f64 v[24:25], v[26:27], v[24:25]
	ds_read_b128 v[16:19], v34 offset:1536
	v_fmac_f64_e32 v[24:25], v[28:29], v[22:23]
	v_add_f64 v[26:27], v[30:31], v[20:21]
	ds_read_b128 v[20:23], v34 offset:1792
	v_add_f64 v[24:25], v[56:57], v[24:25]
	s_waitcnt lgkmcnt(1)
	v_mul_f64 v[28:29], v[4:5], v[18:19]
	v_fma_f64 v[28:29], v[2:3], v[16:17], -v[28:29]
	v_mul_f64 v[30:31], v[2:3], v[18:19]
	s_waitcnt lgkmcnt(0)
	v_mul_f64 v[48:49], v[4:5], v[22:23]
	v_fma_f64 v[48:49], v[2:3], v[20:21], -v[48:49]
	v_mul_f64 v[2:3], v[2:3], v[22:23]
	v_fmac_f64_e32 v[2:3], v[4:5], v[20:21]
	v_add_f64 v[40:41], v[40:41], v[2:3]
	v_mul_f64 v[2:3], v[38:39], v[18:19]
	v_fmac_f64_e32 v[30:31], v[4:5], v[16:17]
	v_fma_f64 v[2:3], v[36:37], v[16:17], -v[2:3]
	v_mul_f64 v[4:5], v[36:37], v[18:19]
	v_fmac_f64_e32 v[4:5], v[38:39], v[16:17]
	v_add_f64 v[44:45], v[44:45], v[2:3]
	v_mul_f64 v[2:3], v[38:39], v[22:23]
	v_add_f64 v[42:43], v[42:43], v[48:49]
	v_add_f64 v[46:47], v[46:47], v[4:5]
	v_fma_f64 v[48:49], v[36:37], v[20:21], -v[2:3]
	ds_read_b128 v[2:5], v35 offset:64
	ds_read_b128 v[16:19], v34 offset:2048
	v_mul_f64 v[22:23], v[36:37], v[22:23]
	v_fmac_f64_e32 v[22:23], v[38:39], v[20:21]
	v_add_f64 v[36:37], v[26:27], v[48:49]
	v_add_f64 v[38:39], v[24:25], v[22:23]
	ds_read_b128 v[20:23], v34 offset:2304
	ds_read_b128 v[24:27], v35 offset:80
	s_waitcnt lgkmcnt(2)
	v_mul_f64 v[48:49], v[4:5], v[18:19]
	v_add_f64 v[28:29], v[52:53], v[28:29]
	v_fma_f64 v[48:49], v[2:3], v[16:17], -v[48:49]
	v_mul_f64 v[50:51], v[2:3], v[18:19]
	v_add_f64 v[30:31], v[54:55], v[30:31]
	v_fmac_f64_e32 v[50:51], v[4:5], v[16:17]
	v_add_f64 v[48:49], v[28:29], v[48:49]
	s_waitcnt lgkmcnt(1)
	v_mul_f64 v[28:29], v[4:5], v[22:23]
	v_add_f64 v[50:51], v[30:31], v[50:51]
	v_fma_f64 v[52:53], v[2:3], v[20:21], -v[28:29]
	ds_read_b128 v[28:31], v35 offset:2112
	v_mul_f64 v[2:3], v[2:3], v[22:23]
	v_fmac_f64_e32 v[2:3], v[4:5], v[20:21]
	v_add_f64 v[42:43], v[42:43], v[52:53]
	v_add_f64 v[40:41], v[40:41], v[2:3]
	ds_read_b128 v[2:5], v35 offset:2128
	s_waitcnt lgkmcnt(1)
	v_mul_f64 v[52:53], v[30:31], v[18:19]
	v_mul_f64 v[18:19], v[28:29], v[18:19]
	v_fma_f64 v[52:53], v[28:29], v[16:17], -v[52:53]
	v_fmac_f64_e32 v[18:19], v[30:31], v[16:17]
	v_mul_f64 v[16:17], v[30:31], v[22:23]
	v_add_f64 v[44:45], v[44:45], v[52:53]
	v_add_f64 v[46:47], v[46:47], v[18:19]
	v_fma_f64 v[52:53], v[28:29], v[20:21], -v[16:17]
	v_mul_f64 v[22:23], v[28:29], v[22:23]
	ds_read_b128 v[16:19], v34 offset:2560
	v_fmac_f64_e32 v[22:23], v[30:31], v[20:21]
	v_add_f64 v[30:31], v[38:39], v[22:23]
	ds_read_b128 v[20:23], v34 offset:2816
	v_add_f64 v[28:29], v[36:37], v[52:53]
	s_waitcnt lgkmcnt(1)
	v_mul_f64 v[36:37], v[26:27], v[18:19]
	v_fma_f64 v[36:37], v[24:25], v[16:17], -v[36:37]
	v_add_f64 v[36:37], v[48:49], v[36:37]
	s_waitcnt lgkmcnt(0)
	v_mul_f64 v[48:49], v[26:27], v[22:23]
	v_mul_f64 v[38:39], v[24:25], v[18:19]
	v_fma_f64 v[48:49], v[24:25], v[20:21], -v[48:49]
	v_mul_f64 v[24:25], v[24:25], v[22:23]
	v_fmac_f64_e32 v[24:25], v[26:27], v[20:21]
	v_add_f64 v[40:41], v[40:41], v[24:25]
	v_mul_f64 v[24:25], v[4:5], v[18:19]
	v_mul_f64 v[18:19], v[2:3], v[18:19]
	v_fmac_f64_e32 v[38:39], v[26:27], v[16:17]
	v_fma_f64 v[24:25], v[2:3], v[16:17], -v[24:25]
	v_fmac_f64_e32 v[18:19], v[4:5], v[16:17]
	v_mul_f64 v[16:17], v[4:5], v[22:23]
	v_mul_f64 v[22:23], v[2:3], v[22:23]
	v_add_f64 v[44:45], v[44:45], v[24:25]
	v_add_f64 v[46:47], v[46:47], v[18:19]
	v_fma_f64 v[24:25], v[2:3], v[20:21], -v[16:17]
	v_fmac_f64_e32 v[22:23], v[4:5], v[20:21]
	ds_read_b128 v[2:5], v35 offset:96
	ds_read_b128 v[16:19], v34 offset:3072
	v_add_f64 v[38:39], v[50:51], v[38:39]
	v_add_f64 v[42:43], v[42:43], v[48:49]
	;; [unrolled: 1-line block ×4, first 2 shown]
	ds_read_b128 v[20:23], v34 offset:3328
	ds_read_b128 v[24:27], v35 offset:112
	s_waitcnt lgkmcnt(2)
	v_mul_f64 v[28:29], v[4:5], v[18:19]
	v_fma_f64 v[28:29], v[2:3], v[16:17], -v[28:29]
	v_mul_f64 v[30:31], v[2:3], v[18:19]
	v_fmac_f64_e32 v[30:31], v[4:5], v[16:17]
	v_add_f64 v[52:53], v[36:37], v[28:29]
	s_waitcnt lgkmcnt(1)
	v_mul_f64 v[28:29], v[4:5], v[22:23]
	v_add_f64 v[54:55], v[38:39], v[30:31]
	v_fma_f64 v[36:37], v[2:3], v[20:21], -v[28:29]
	ds_read_b128 v[28:31], v35 offset:2144
	v_mul_f64 v[2:3], v[2:3], v[22:23]
	v_fmac_f64_e32 v[2:3], v[4:5], v[20:21]
	v_add_f64 v[42:43], v[42:43], v[36:37]
	v_add_f64 v[40:41], v[40:41], v[2:3]
	ds_read_b128 v[2:5], v35 offset:2160
	s_waitcnt lgkmcnt(1)
	v_mul_f64 v[36:37], v[30:31], v[18:19]
	v_mul_f64 v[18:19], v[28:29], v[18:19]
	v_fma_f64 v[36:37], v[28:29], v[16:17], -v[36:37]
	v_fmac_f64_e32 v[18:19], v[30:31], v[16:17]
	v_mul_f64 v[16:17], v[30:31], v[22:23]
	v_add_f64 v[44:45], v[44:45], v[36:37]
	v_add_f64 v[46:47], v[46:47], v[18:19]
	v_fma_f64 v[36:37], v[28:29], v[20:21], -v[16:17]
	ds_read_b128 v[16:19], v34 offset:3584
	v_add_f64 v[48:49], v[48:49], v[36:37]
	ds_read_b128 v[36:39], v34 offset:3840
	v_mul_f64 v[22:23], v[28:29], v[22:23]
	v_fmac_f64_e32 v[22:23], v[30:31], v[20:21]
	s_waitcnt lgkmcnt(1)
	v_mul_f64 v[20:21], v[26:27], v[18:19]
	v_fma_f64 v[20:21], v[24:25], v[16:17], -v[20:21]
	v_add_f64 v[50:51], v[50:51], v[22:23]
	v_mul_f64 v[22:23], v[24:25], v[18:19]
	v_add_f64 v[28:29], v[52:53], v[20:21]
	s_waitcnt lgkmcnt(0)
	v_mul_f64 v[20:21], v[26:27], v[38:39]
	v_fmac_f64_e32 v[22:23], v[26:27], v[16:17]
	v_fma_f64 v[20:21], v[24:25], v[36:37], -v[20:21]
	v_add_f64 v[30:31], v[54:55], v[22:23]
	v_mul_f64 v[22:23], v[24:25], v[38:39]
	v_add_f64 v[24:25], v[42:43], v[20:21]
	v_mul_f64 v[20:21], v[4:5], v[18:19]
	v_mul_f64 v[18:19], v[2:3], v[18:19]
	v_fma_f64 v[20:21], v[2:3], v[16:17], -v[20:21]
	v_fmac_f64_e32 v[18:19], v[4:5], v[16:17]
	v_mul_f64 v[16:17], v[4:5], v[38:39]
	v_mov_b32_e32 v1, s13
	v_add_co_u32_e32 v10, vcc, s12, v10
	v_fma_f64 v[16:17], v[2:3], v[36:37], -v[16:17]
	v_mul_f64 v[2:3], v[2:3], v[38:39]
	v_addc_co_u32_e32 v11, vcc, v11, v1, vcc
	v_fmac_f64_e32 v[22:23], v[26:27], v[36:37]
	v_fmac_f64_e32 v[2:3], v[4:5], v[36:37]
	s_add_u32 s28, s28, 8
	v_add_co_u32_e32 v12, vcc, 0x80, v12
	v_add_f64 v[26:27], v[40:41], v[22:23]
	v_add_f64 v[22:23], v[46:47], v[18:19]
	;; [unrolled: 1-line block ×3, first 2 shown]
	s_addc_u32 s29, s29, 0
	v_addc_co_u32_e32 v13, vcc, 0, v13, vcc
	v_pk_mov_b32 v[2:3], s[40:41], s[40:41] op_sel:[0,1]
	v_cmp_lt_i64_e32 vcc, s[28:29], v[2:3]
	v_add_f64 v[20:21], v[44:45], v[20:21]
	v_add_f64 v[16:17], v[48:49], v[16:17]
	s_barrier
	s_cbranch_vccz .LBB287_9
.LBB287_3:                              ; =>This Inner Loop Header: Depth=1
	v_mov_b32_e32 v1, s29
	v_add_co_u32_e32 v2, vcc, s28, v6
	v_addc_co_u32_e32 v3, vcc, 0, v1, vcc
	v_cmp_gt_i64_e32 vcc, s[40:41], v[2:3]
	s_and_b64 s[16:17], s[0:1], vcc
	v_pk_mov_b32 v[2:3], v[14:15], v[14:15] op_sel:[0,1]
	v_pk_mov_b32 v[4:5], v[14:15], v[14:15] op_sel:[0,1]
	s_and_saveexec_b64 s[14:15], s[16:17]
	s_cbranch_execz .LBB287_5
; %bb.4:                                ;   in Loop: Header=BB287_3 Depth=1
	global_load_dwordx4 v[2:5], v[12:13], off offset:-8
	s_waitcnt vmcnt(0)
	v_xor_b32_e32 v5, 0x80000000, v5
.LBB287_5:                              ;   in Loop: Header=BB287_3 Depth=1
	s_or_b64 exec, exec, s[14:15]
	ds_write_b128 v32, v[2:5]
	v_mov_b32_e32 v1, s29
	v_add_co_u32_e32 v2, vcc, s28, v8
	v_addc_co_u32_e32 v3, vcc, 0, v1, vcc
	v_cmp_le_i64_e32 vcc, s[40:41], v[2:3]
	s_or_b64 s[14:15], vcc, s[2:3]
	s_and_saveexec_b64 s[16:17], s[14:15]
	s_xor_b64 s[14:15], exec, s[16:17]
	s_cbranch_execz .LBB287_7
; %bb.6:                                ;   in Loop: Header=BB287_3 Depth=1
	v_mov_b32_e32 v1, v0
	v_mov_b32_e32 v2, v0
	;; [unrolled: 1-line block ×3, first 2 shown]
	ds_write_b128 v33, v[0:3]
.LBB287_7:                              ;   in Loop: Header=BB287_3 Depth=1
	s_andn2_saveexec_b64 s[14:15], s[14:15]
	s_cbranch_execz .LBB287_2
; %bb.8:                                ;   in Loop: Header=BB287_3 Depth=1
	global_load_dwordx4 v[2:5], v[10:11], off
	s_waitcnt vmcnt(0)
	ds_write2_b64 v33, v[2:3], v[4:5] offset1:1
	s_branch .LBB287_2
.LBB287_9:
	s_lshl_b64 s[0:1], s[10:11], 4
	s_waitcnt lgkmcnt(0)
	s_add_u32 s14, s4, s0
	s_addc_u32 s15, s5, s1
	v_mov_b32_e32 v1, s23
	v_add_co_u32_e32 v0, vcc, s22, v9
	v_cmp_neq_f64_e64 s[0:1], s[18:19], 0
	v_cmp_neq_f64_e64 s[2:3], s[20:21], 0
	v_addc_co_u32_e32 v1, vcc, 0, v1, vcc
	s_or_b64 s[4:5], s[0:1], s[2:3]
	v_cmp_gt_i64_e64 s[0:1], s[38:39], v[0:1]
	s_mov_b64 s[2:3], -1
	s_and_b64 vcc, exec, s[4:5]
	s_cbranch_vccnz .LBB287_21
; %bb.10:
	s_and_saveexec_b64 s[10:11], s[0:1]
	s_cbranch_execz .LBB287_20
; %bb.11:
	v_mov_b32_e32 v2, s7
	v_add_co_u32_e32 v4, vcc, s6, v7
	v_addc_co_u32_e32 v5, vcc, 0, v2, vcc
	v_mul_lo_u32 v6, v1, s30
	v_mul_lo_u32 v8, v0, s31
	v_mad_u64_u32 v[2:3], s[2:3], v0, s30, 0
	v_add3_u32 v3, v3, v8, v6
	v_lshlrev_b64 v[2:3], 4, v[2:3]
	v_mov_b32_e32 v8, s15
	v_add_co_u32_e64 v6, s[2:3], s14, v2
	v_cmp_gt_i64_e32 vcc, s[36:37], v[4:5]
	v_addc_co_u32_e64 v8, s[2:3], v8, v3, s[2:3]
	v_lshlrev_b64 v[2:3], 4, v[4:5]
	s_and_saveexec_b64 s[4:5], vcc
	s_cbranch_execz .LBB287_13
; %bb.12:
	v_mul_f64 v[10:11], s[44:45], v[30:31]
	v_mul_f64 v[12:13], s[42:43], v[30:31]
	v_add_co_u32_e64 v14, s[2:3], v6, v2
	v_fma_f64 v[10:11], s[42:43], v[28:29], -v[10:11]
	v_fmac_f64_e32 v[12:13], s[44:45], v[28:29]
	v_addc_co_u32_e64 v15, s[2:3], v8, v3, s[2:3]
	global_store_dwordx4 v[14:15], v[10:13], off
.LBB287_13:
	s_or_b64 exec, exec, s[4:5]
	v_add_co_u32_e64 v4, s[2:3], 16, v4
	v_addc_co_u32_e64 v5, s[2:3], 0, v5, s[2:3]
	v_cmp_gt_i64_e64 s[2:3], s[36:37], v[4:5]
	s_and_saveexec_b64 s[12:13], s[2:3]
	s_cbranch_execz .LBB287_15
; %bb.14:
	v_mul_f64 v[4:5], s[44:45], v[26:27]
	v_fma_f64 v[10:11], s[42:43], v[24:25], -v[4:5]
	v_mul_f64 v[12:13], s[42:43], v[26:27]
	v_add_co_u32_e64 v4, s[4:5], v6, v2
	v_fmac_f64_e32 v[12:13], s[44:45], v[24:25]
	v_addc_co_u32_e64 v5, s[4:5], v8, v3, s[4:5]
	global_store_dwordx4 v[4:5], v[10:13], off offset:256
.LBB287_15:
	s_or_b64 exec, exec, s[12:13]
	v_add_co_u32_e64 v4, s[4:5], 16, v0
	v_addc_co_u32_e64 v5, s[4:5], 0, v1, s[4:5]
	v_cmp_gt_i64_e64 s[4:5], s[38:39], v[4:5]
	s_and_b64 exec, exec, s[4:5]
	s_cbranch_execz .LBB287_20
; %bb.16:
	s_lshl_b64 s[4:5], s[30:31], 8
	v_mov_b32_e32 v4, s5
	v_add_co_u32_e64 v5, s[4:5], s4, v6
	v_addc_co_u32_e64 v4, s[4:5], v8, v4, s[4:5]
	v_add_co_u32_e64 v2, s[4:5], v5, v2
	v_addc_co_u32_e64 v3, s[4:5], v4, v3, s[4:5]
	s_and_saveexec_b64 s[4:5], vcc
	s_cbranch_execz .LBB287_18
; %bb.17:
	v_mul_f64 v[4:5], s[44:45], v[22:23]
	v_mul_f64 v[10:11], s[42:43], v[22:23]
	v_fma_f64 v[8:9], s[42:43], v[20:21], -v[4:5]
	v_fmac_f64_e32 v[10:11], s[44:45], v[20:21]
	global_store_dwordx4 v[2:3], v[8:11], off
.LBB287_18:
	s_or_b64 exec, exec, s[4:5]
	s_and_b64 exec, exec, s[2:3]
	s_cbranch_execz .LBB287_20
; %bb.19:
	v_mul_f64 v[4:5], s[44:45], v[18:19]
	v_mul_f64 v[10:11], s[42:43], v[18:19]
	v_fma_f64 v[8:9], s[42:43], v[16:17], -v[4:5]
	v_fmac_f64_e32 v[10:11], s[44:45], v[16:17]
	global_store_dwordx4 v[2:3], v[8:11], off offset:256
.LBB287_20:
	s_or_b64 exec, exec, s[10:11]
	s_mov_b64 s[2:3], 0
.LBB287_21:
	s_andn2_b64 vcc, exec, s[2:3]
	s_cbranch_vccnz .LBB287_32
; %bb.22:
	s_and_saveexec_b64 s[2:3], s[0:1]
	s_cbranch_execz .LBB287_32
; %bb.23:
	s_lshl_b64 s[0:1], s[26:27], 4
	s_add_u32 s2, s8, s0
	v_mov_b32_e32 v2, s7
	v_add_co_u32_e32 v4, vcc, s6, v7
	s_addc_u32 s3, s9, s1
	v_addc_co_u32_e32 v5, vcc, 0, v2, vcc
	v_mul_lo_u32 v6, v1, s24
	v_mul_lo_u32 v7, v0, s25
	v_mad_u64_u32 v[2:3], s[0:1], v0, s24, 0
	v_add3_u32 v3, v3, v7, v6
	v_mul_lo_u32 v6, v1, s30
	v_mul_lo_u32 v7, v0, s31
	v_mad_u64_u32 v[8:9], s[0:1], v0, s30, 0
	v_lshlrev_b64 v[2:3], 4, v[2:3]
	v_add3_u32 v9, v9, v7, v6
	v_mov_b32_e32 v7, s3
	v_add_co_u32_e64 v6, s[0:1], s2, v2
	v_addc_co_u32_e64 v7, s[0:1], v7, v3, s[0:1]
	v_lshlrev_b64 v[2:3], 4, v[8:9]
	v_mov_b32_e32 v9, s15
	v_add_co_u32_e64 v8, s[0:1], s14, v2
	v_cmp_gt_i64_e32 vcc, s[36:37], v[4:5]
	v_addc_co_u32_e64 v9, s[0:1], v9, v3, s[0:1]
	v_lshlrev_b64 v[2:3], 4, v[4:5]
	s_and_saveexec_b64 s[2:3], vcc
	s_cbranch_execz .LBB287_25
; %bb.24:
	v_add_co_u32_e64 v10, s[0:1], v6, v2
	v_addc_co_u32_e64 v11, s[0:1], v7, v3, s[0:1]
	global_load_dwordx4 v[10:13], v[10:11], off
	v_mul_f64 v[14:15], s[44:45], v[30:31]
	v_mul_f64 v[30:31], s[42:43], v[30:31]
	v_fma_f64 v[14:15], s[42:43], v[28:29], -v[14:15]
	v_fmac_f64_e32 v[30:31], s[44:45], v[28:29]
	s_waitcnt vmcnt(0)
	v_mul_f64 v[28:29], s[20:21], v[12:13]
	v_mul_f64 v[12:13], s[18:19], v[12:13]
	v_fma_f64 v[28:29], s[18:19], v[10:11], -v[28:29]
	v_fmac_f64_e32 v[12:13], s[20:21], v[10:11]
	v_add_f64 v[10:11], v[14:15], v[28:29]
	v_add_co_u32_e64 v14, s[0:1], v8, v2
	v_add_f64 v[12:13], v[30:31], v[12:13]
	v_addc_co_u32_e64 v15, s[0:1], v9, v3, s[0:1]
	global_store_dwordx4 v[14:15], v[10:13], off
.LBB287_25:
	s_or_b64 exec, exec, s[2:3]
	v_add_co_u32_e64 v4, s[0:1], 16, v4
	v_addc_co_u32_e64 v5, s[0:1], 0, v5, s[0:1]
	v_cmp_gt_i64_e64 s[0:1], s[36:37], v[4:5]
	s_and_saveexec_b64 s[4:5], s[0:1]
	s_cbranch_execz .LBB287_27
; %bb.26:
	v_add_co_u32_e64 v4, s[2:3], v6, v2
	v_addc_co_u32_e64 v5, s[2:3], v7, v3, s[2:3]
	global_load_dwordx4 v[10:13], v[4:5], off offset:256
	v_mul_f64 v[4:5], s[44:45], v[26:27]
	v_mul_f64 v[14:15], s[42:43], v[26:27]
	v_fma_f64 v[4:5], s[42:43], v[24:25], -v[4:5]
	v_fmac_f64_e32 v[14:15], s[44:45], v[24:25]
	s_waitcnt vmcnt(0)
	v_mul_f64 v[24:25], s[20:21], v[12:13]
	v_mul_f64 v[12:13], s[18:19], v[12:13]
	v_fma_f64 v[24:25], s[18:19], v[10:11], -v[24:25]
	v_fmac_f64_e32 v[12:13], s[20:21], v[10:11]
	v_add_f64 v[10:11], v[4:5], v[24:25]
	v_add_co_u32_e64 v4, s[2:3], v8, v2
	v_add_f64 v[12:13], v[14:15], v[12:13]
	v_addc_co_u32_e64 v5, s[2:3], v9, v3, s[2:3]
	global_store_dwordx4 v[4:5], v[10:13], off offset:256
.LBB287_27:
	s_or_b64 exec, exec, s[4:5]
	v_add_co_u32_e64 v0, s[2:3], 16, v0
	v_addc_co_u32_e64 v1, s[2:3], 0, v1, s[2:3]
	v_cmp_gt_i64_e64 s[2:3], s[38:39], v[0:1]
	s_and_b64 exec, exec, s[2:3]
	s_cbranch_execz .LBB287_32
; %bb.28:
	s_lshl_b64 s[2:3], s[24:25], 8
	v_mov_b32_e32 v0, s3
	v_add_co_u32_e64 v1, s[2:3], s2, v6
	v_addc_co_u32_e64 v0, s[2:3], v7, v0, s[2:3]
	s_lshl_b64 s[2:3], s[30:31], 8
	v_mov_b32_e32 v4, s3
	v_add_co_u32_e64 v6, s[2:3], s2, v8
	v_addc_co_u32_e64 v7, s[2:3], v9, v4, s[2:3]
	v_add_co_u32_e64 v4, s[2:3], v1, v2
	v_addc_co_u32_e64 v5, s[2:3], v0, v3, s[2:3]
	;; [unrolled: 2-line block ×3, first 2 shown]
	s_and_saveexec_b64 s[2:3], vcc
	s_cbranch_execz .LBB287_30
; %bb.29:
	global_load_dwordx4 v[6:9], v[4:5], off
	v_mul_f64 v[2:3], s[44:45], v[22:23]
	v_mul_f64 v[10:11], s[42:43], v[22:23]
	v_fma_f64 v[2:3], s[42:43], v[20:21], -v[2:3]
	v_fmac_f64_e32 v[10:11], s[44:45], v[20:21]
	s_waitcnt vmcnt(0)
	v_mul_f64 v[12:13], s[20:21], v[8:9]
	v_mul_f64 v[8:9], s[18:19], v[8:9]
	v_fma_f64 v[12:13], s[18:19], v[6:7], -v[12:13]
	v_fmac_f64_e32 v[8:9], s[20:21], v[6:7]
	v_add_f64 v[6:7], v[2:3], v[12:13]
	v_add_f64 v[8:9], v[10:11], v[8:9]
	global_store_dwordx4 v[0:1], v[6:9], off
.LBB287_30:
	s_or_b64 exec, exec, s[2:3]
	s_and_b64 exec, exec, s[0:1]
	s_cbranch_execz .LBB287_32
; %bb.31:
	global_load_dwordx4 v[2:5], v[4:5], off offset:256
	v_mul_f64 v[6:7], s[44:45], v[18:19]
	v_mul_f64 v[8:9], s[42:43], v[18:19]
	v_fma_f64 v[6:7], s[42:43], v[16:17], -v[6:7]
	v_fmac_f64_e32 v[8:9], s[44:45], v[16:17]
	s_waitcnt vmcnt(0)
	v_mul_f64 v[10:11], s[20:21], v[4:5]
	v_mul_f64 v[4:5], s[18:19], v[4:5]
	v_fma_f64 v[10:11], s[18:19], v[2:3], -v[10:11]
	v_fmac_f64_e32 v[4:5], s[20:21], v[2:3]
	v_add_f64 v[2:3], v[6:7], v[10:11]
	v_add_f64 v[4:5], v[8:9], v[4:5]
	global_store_dwordx4 v[0:1], v[2:5], off offset:256
.LBB287_32:
	s_endpgm
	.section	.rodata,"a",@progbits
	.p2align	6, 0x0
	.amdhsa_kernel _ZN12_GLOBAL__N_135rocblas_gemm_batched_general_kernelI19rocblas_complex_numIdELi16ELi16ELi32ELi32ELi8ELi32ELi8ELi8ELi32ELc67ELc84EKPKS2_S5_KPS2_EEvlllT_PT11_llSA_llS8_PT12_llPT13_lli
		.amdhsa_group_segment_fixed_size 8192
		.amdhsa_private_segment_fixed_size 0
		.amdhsa_kernarg_size 156
		.amdhsa_user_sgpr_count 6
		.amdhsa_user_sgpr_private_segment_buffer 1
		.amdhsa_user_sgpr_dispatch_ptr 0
		.amdhsa_user_sgpr_queue_ptr 0
		.amdhsa_user_sgpr_kernarg_segment_ptr 1
		.amdhsa_user_sgpr_dispatch_id 0
		.amdhsa_user_sgpr_flat_scratch_init 0
		.amdhsa_user_sgpr_kernarg_preload_length 0
		.amdhsa_user_sgpr_kernarg_preload_offset 0
		.amdhsa_user_sgpr_private_segment_size 0
		.amdhsa_uses_dynamic_stack 0
		.amdhsa_system_sgpr_private_segment_wavefront_offset 0
		.amdhsa_system_sgpr_workgroup_id_x 1
		.amdhsa_system_sgpr_workgroup_id_y 1
		.amdhsa_system_sgpr_workgroup_id_z 1
		.amdhsa_system_sgpr_workgroup_info 0
		.amdhsa_system_vgpr_workitem_id 1
		.amdhsa_next_free_vgpr 62
		.amdhsa_next_free_sgpr 52
		.amdhsa_accum_offset 64
		.amdhsa_reserve_vcc 1
		.amdhsa_reserve_flat_scratch 0
		.amdhsa_float_round_mode_32 0
		.amdhsa_float_round_mode_16_64 0
		.amdhsa_float_denorm_mode_32 3
		.amdhsa_float_denorm_mode_16_64 3
		.amdhsa_dx10_clamp 1
		.amdhsa_ieee_mode 1
		.amdhsa_fp16_overflow 0
		.amdhsa_tg_split 0
		.amdhsa_exception_fp_ieee_invalid_op 0
		.amdhsa_exception_fp_denorm_src 0
		.amdhsa_exception_fp_ieee_div_zero 0
		.amdhsa_exception_fp_ieee_overflow 0
		.amdhsa_exception_fp_ieee_underflow 0
		.amdhsa_exception_fp_ieee_inexact 0
		.amdhsa_exception_int_div_zero 0
	.end_amdhsa_kernel
	.section	.text._ZN12_GLOBAL__N_135rocblas_gemm_batched_general_kernelI19rocblas_complex_numIdELi16ELi16ELi32ELi32ELi8ELi32ELi8ELi8ELi32ELc67ELc84EKPKS2_S5_KPS2_EEvlllT_PT11_llSA_llS8_PT12_llPT13_lli,"axG",@progbits,_ZN12_GLOBAL__N_135rocblas_gemm_batched_general_kernelI19rocblas_complex_numIdELi16ELi16ELi32ELi32ELi8ELi32ELi8ELi8ELi32ELc67ELc84EKPKS2_S5_KPS2_EEvlllT_PT11_llSA_llS8_PT12_llPT13_lli,comdat
.Lfunc_end287:
	.size	_ZN12_GLOBAL__N_135rocblas_gemm_batched_general_kernelI19rocblas_complex_numIdELi16ELi16ELi32ELi32ELi8ELi32ELi8ELi8ELi32ELc67ELc84EKPKS2_S5_KPS2_EEvlllT_PT11_llSA_llS8_PT12_llPT13_lli, .Lfunc_end287-_ZN12_GLOBAL__N_135rocblas_gemm_batched_general_kernelI19rocblas_complex_numIdELi16ELi16ELi32ELi32ELi8ELi32ELi8ELi8ELi32ELc67ELc84EKPKS2_S5_KPS2_EEvlllT_PT11_llSA_llS8_PT12_llPT13_lli
                                        ; -- End function
	.section	.AMDGPU.csdata,"",@progbits
; Kernel info:
; codeLenInByte = 3924
; NumSgprs: 56
; NumVgprs: 62
; NumAgprs: 0
; TotalNumVgprs: 62
; ScratchSize: 0
; MemoryBound: 1
; FloatMode: 240
; IeeeMode: 1
; LDSByteSize: 8192 bytes/workgroup (compile time only)
; SGPRBlocks: 6
; VGPRBlocks: 7
; NumSGPRsForWavesPerEU: 56
; NumVGPRsForWavesPerEU: 62
; AccumOffset: 64
; Occupancy: 8
; WaveLimiterHint : 1
; COMPUTE_PGM_RSRC2:SCRATCH_EN: 0
; COMPUTE_PGM_RSRC2:USER_SGPR: 6
; COMPUTE_PGM_RSRC2:TRAP_HANDLER: 0
; COMPUTE_PGM_RSRC2:TGID_X_EN: 1
; COMPUTE_PGM_RSRC2:TGID_Y_EN: 1
; COMPUTE_PGM_RSRC2:TGID_Z_EN: 1
; COMPUTE_PGM_RSRC2:TIDIG_COMP_CNT: 1
; COMPUTE_PGM_RSRC3_GFX90A:ACCUM_OFFSET: 15
; COMPUTE_PGM_RSRC3_GFX90A:TG_SPLIT: 0
	.section	.text._ZN12_GLOBAL__N_135rocblas_gemm_batched_general_kernelI19rocblas_complex_numIdELi16ELi16ELi32ELi32ELi8ELi32ELi8ELi8ELi32ELc78ELc67EKPKS2_S5_KPS2_EEvlllT_PT11_llSA_llS8_PT12_llPT13_lli,"axG",@progbits,_ZN12_GLOBAL__N_135rocblas_gemm_batched_general_kernelI19rocblas_complex_numIdELi16ELi16ELi32ELi32ELi8ELi32ELi8ELi8ELi32ELc78ELc67EKPKS2_S5_KPS2_EEvlllT_PT11_llSA_llS8_PT12_llPT13_lli,comdat
	.globl	_ZN12_GLOBAL__N_135rocblas_gemm_batched_general_kernelI19rocblas_complex_numIdELi16ELi16ELi32ELi32ELi8ELi32ELi8ELi8ELi32ELc78ELc67EKPKS2_S5_KPS2_EEvlllT_PT11_llSA_llS8_PT12_llPT13_lli ; -- Begin function _ZN12_GLOBAL__N_135rocblas_gemm_batched_general_kernelI19rocblas_complex_numIdELi16ELi16ELi32ELi32ELi8ELi32ELi8ELi8ELi32ELc78ELc67EKPKS2_S5_KPS2_EEvlllT_PT11_llSA_llS8_PT12_llPT13_lli
	.p2align	8
	.type	_ZN12_GLOBAL__N_135rocblas_gemm_batched_general_kernelI19rocblas_complex_numIdELi16ELi16ELi32ELi32ELi8ELi32ELi8ELi8ELi32ELc78ELc67EKPKS2_S5_KPS2_EEvlllT_PT11_llSA_llS8_PT12_llPT13_lli,@function
_ZN12_GLOBAL__N_135rocblas_gemm_batched_general_kernelI19rocblas_complex_numIdELi16ELi16ELi32ELi32ELi8ELi32ELi8ELi8ELi32ELc78ELc67EKPKS2_S5_KPS2_EEvlllT_PT11_llSA_llS8_PT12_llPT13_lli: ; @_ZN12_GLOBAL__N_135rocblas_gemm_batched_general_kernelI19rocblas_complex_numIdELi16ELi16ELi32ELi32ELi8ELi32ELi8ELi8ELi32ELc78ELc67EKPKS2_S5_KPS2_EEvlllT_PT11_llSA_llS8_PT12_llPT13_lli
; %bb.0:
	s_load_dwordx16 s[36:51], s[4:5], 0x0
	s_load_dwordx16 s[12:27], s[4:5], 0x40
	s_load_dwordx2 s[34:35], s[4:5], 0x90
	s_load_dwordx4 s[28:31], s[4:5], 0x80
	s_mov_b32 s9, 0
	s_lshl_b64 s[0:1], s[8:9], 3
	s_waitcnt lgkmcnt(0)
	s_add_u32 s4, s22, s0
	s_addc_u32 s5, s23, s1
	s_load_dwordx2 s[8:9], s[4:5], 0x0
	s_add_u32 s4, s28, s0
	s_addc_u32 s5, s29, s1
	s_load_dwordx2 s[4:5], s[4:5], 0x0
	s_mov_b32 s2, s7
	s_ashr_i32 s7, s6, 31
	s_ashr_i32 s3, s2, 31
	v_cmp_lt_i64_e64 s[52:53], s[40:41], 1
	v_pk_mov_b32 v[26:27], 0, 0
	v_and_b32_e32 v7, 0x3ff, v0
	v_bfe_u32 v9, v0, 10, 10
	s_lshl_b64 s[10:11], s[6:7], 5
	s_lshl_b64 s[22:23], s[2:3], 5
	s_mov_b64 s[28:29], 0
	s_and_b64 vcc, exec, s[52:53]
	v_pk_mov_b32 v[28:29], v[26:27], v[26:27] op_sel:[0,1]
	v_pk_mov_b32 v[22:23], v[26:27], v[26:27] op_sel:[0,1]
	;; [unrolled: 1-line block ×7, first 2 shown]
	s_cbranch_vccnz .LBB288_9
; %bb.1:
	s_add_u32 s12, s12, s0
	v_lshl_add_u32 v1, v9, 4, v7
	s_addc_u32 s13, s13, s1
	v_lshrrev_b32_e32 v2, 3, v1
	v_mov_b32_e32 v5, s23
	v_add_co_u32_e32 v4, vcc, s22, v2
	s_add_u32 s0, s46, s0
	v_and_b32_e32 v8, 7, v7
	v_addc_co_u32_e32 v5, vcc, 0, v5, vcc
	s_addc_u32 s1, s47, s1
	s_load_dwordx2 s[46:47], s[0:1], 0x0
	v_cmp_gt_i64_e64 s[0:1], s[38:39], v[4:5]
	v_lshlrev_b32_e32 v4, 4, v8
	v_lshl_or_b32 v4, v2, 7, v4
	v_lshrrev_b32_e32 v6, 5, v1
	v_and_b32_e32 v1, 31, v1
	v_add_u32_e32 v31, 0x1000, v4
	v_mov_b32_e32 v4, 0x1000
	v_mov_b32_e32 v11, s11
	v_or_b32_e32 v10, s10, v1
	v_lshl_add_u32 v33, v9, 7, v4
	v_mad_u64_u32 v[4:5], s[52:53], s14, v8, 0
	v_cmp_gt_i64_e32 vcc, s[36:37], v[10:11]
	v_mov_b32_e32 v10, v5
	v_mad_u64_u32 v[10:11], s[52:53], s15, v8, v[10:11]
	s_lshl_b64 s[2:3], s[2:3], 9
	s_lshl_b64 s[16:17], s[16:17], 4
	v_mov_b32_e32 v5, v10
	s_add_u32 s2, s16, s2
	s_load_dwordx2 s[12:13], s[12:13], 0x0
	v_mov_b32_e32 v0, 0
	v_lshlrev_b64 v[4:5], 4, v[4:5]
	s_addc_u32 s3, s17, s3
	v_mov_b32_e32 v3, v0
	v_mov_b32_e32 v10, s3
	v_add_co_u32_e64 v4, s[2:3], s2, v4
	v_addc_co_u32_e64 v5, s[2:3], v10, v5, s[2:3]
	v_lshlrev_b64 v[2:3], 4, v[2:3]
	v_add_co_u32_e64 v2, s[2:3], v4, v2
	v_addc_co_u32_e64 v3, s[2:3], v5, v3, s[2:3]
	s_waitcnt lgkmcnt(0)
	v_mov_b32_e32 v4, s13
	v_add_co_u32_e64 v2, s[2:3], s12, v2
	v_addc_co_u32_e64 v3, s[2:3], v3, v4, s[2:3]
	v_add_co_u32_e64 v10, s[2:3], 8, v2
	v_addc_co_u32_e64 v11, s[2:3], 0, v3, s[2:3]
	v_mad_u64_u32 v[2:3], s[2:3], s48, v6, 0
	v_mov_b32_e32 v4, v3
	v_mad_u64_u32 v[4:5], s[2:3], s49, v6, v[4:5]
	s_lshl_b64 s[12:13], s[14:15], 7
	s_lshl_b64 s[2:3], s[6:7], 9
	;; [unrolled: 1-line block ×3, first 2 shown]
	v_mov_b32_e32 v3, v4
	s_add_u32 s2, s6, s2
	v_lshlrev_b64 v[2:3], 4, v[2:3]
	s_addc_u32 s3, s7, s3
	v_mov_b32_e32 v4, s3
	v_add_co_u32_e64 v2, s[2:3], s2, v2
	v_lshlrev_b32_e32 v1, 4, v1
	v_addc_co_u32_e64 v3, s[2:3], v4, v3, s[2:3]
	v_lshl_or_b32 v30, v6, 9, v1
	v_add_co_u32_e64 v1, s[2:3], v2, v1
	v_addc_co_u32_e64 v2, s[2:3], 0, v3, s[2:3]
	v_mov_b32_e32 v3, s47
	v_add_co_u32_e64 v12, s[2:3], s46, v1
	v_addc_co_u32_e64 v13, s[2:3], v3, v2, s[2:3]
	v_pk_mov_b32 v[14:15], 0, 0
	v_lshlrev_b32_e32 v32, 4, v7
	s_lshl_b64 s[2:3], s[48:49], 7
	s_xor_b64 s[6:7], vcc, -1
	v_pk_mov_b32 v[16:17], v[14:15], v[14:15] op_sel:[0,1]
	v_pk_mov_b32 v[20:21], v[14:15], v[14:15] op_sel:[0,1]
	;; [unrolled: 1-line block ×7, first 2 shown]
	s_branch .LBB288_3
.LBB288_2:                              ;   in Loop: Header=BB288_3 Depth=1
	s_or_b64 exec, exec, s[14:15]
	ds_write_b128 v31, v[2:5]
	s_waitcnt lgkmcnt(0)
	s_barrier
	ds_read_b128 v[34:37], v32
	ds_read_b128 v[38:41], v33
	ds_read_b128 v[42:45], v33 offset:16
	ds_read_b128 v[46:49], v33 offset:32
	;; [unrolled: 1-line block ×4, first 2 shown]
	s_waitcnt lgkmcnt(4)
	v_mul_f64 v[54:55], v[40:41], v[36:37]
	v_fma_f64 v[54:55], v[38:39], v[34:35], -v[54:55]
	v_mul_f64 v[56:57], v[38:39], v[36:37]
	v_fmac_f64_e32 v[56:57], v[40:41], v[34:35]
	v_add_f64 v[54:55], v[26:27], v[54:55]
	s_waitcnt lgkmcnt(0)
	v_mul_f64 v[26:27], v[40:41], v[52:53]
	v_add_f64 v[56:57], v[28:29], v[56:57]
	v_fma_f64 v[58:59], v[38:39], v[50:51], -v[26:27]
	ds_read_b128 v[26:29], v33 offset:2048
	v_mul_f64 v[38:39], v[38:39], v[52:53]
	v_fmac_f64_e32 v[38:39], v[40:41], v[50:51]
	v_add_f64 v[40:41], v[22:23], v[58:59]
	v_add_f64 v[38:39], v[24:25], v[38:39]
	ds_read_b128 v[22:25], v33 offset:2064
	s_waitcnt lgkmcnt(1)
	v_mul_f64 v[58:59], v[28:29], v[36:37]
	v_fma_f64 v[58:59], v[26:27], v[34:35], -v[58:59]
	v_mul_f64 v[36:37], v[26:27], v[36:37]
	v_fmac_f64_e32 v[36:37], v[28:29], v[34:35]
	v_add_f64 v[34:35], v[18:19], v[58:59]
	v_mul_f64 v[18:19], v[28:29], v[52:53]
	v_add_f64 v[36:37], v[20:21], v[36:37]
	v_fma_f64 v[58:59], v[26:27], v[50:51], -v[18:19]
	v_mul_f64 v[26:27], v[26:27], v[52:53]
	ds_read_b128 v[18:21], v32 offset:512
	v_fmac_f64_e32 v[26:27], v[28:29], v[50:51]
	v_add_f64 v[28:29], v[16:17], v[58:59]
	v_add_f64 v[26:27], v[14:15], v[26:27]
	ds_read_b128 v[14:17], v32 offset:768
	s_waitcnt lgkmcnt(1)
	v_mul_f64 v[50:51], v[44:45], v[20:21]
	v_fma_f64 v[50:51], v[42:43], v[18:19], -v[50:51]
	v_add_f64 v[50:51], v[54:55], v[50:51]
	v_mul_f64 v[52:53], v[42:43], v[20:21]
	s_waitcnt lgkmcnt(0)
	v_mul_f64 v[54:55], v[44:45], v[16:17]
	v_fma_f64 v[54:55], v[42:43], v[14:15], -v[54:55]
	v_mul_f64 v[42:43], v[42:43], v[16:17]
	v_fmac_f64_e32 v[42:43], v[44:45], v[14:15]
	v_add_f64 v[38:39], v[38:39], v[42:43]
	v_mul_f64 v[42:43], v[24:25], v[20:21]
	v_mul_f64 v[20:21], v[22:23], v[20:21]
	v_fmac_f64_e32 v[52:53], v[44:45], v[18:19]
	v_fma_f64 v[42:43], v[22:23], v[18:19], -v[42:43]
	v_fmac_f64_e32 v[20:21], v[24:25], v[18:19]
	v_mul_f64 v[18:19], v[24:25], v[16:17]
	v_add_f64 v[44:45], v[36:37], v[20:21]
	v_fma_f64 v[20:21], v[22:23], v[14:15], -v[18:19]
	v_mul_f64 v[22:23], v[22:23], v[16:17]
	ds_read_b128 v[16:19], v32 offset:1024
	v_fmac_f64_e32 v[22:23], v[24:25], v[14:15]
	v_add_f64 v[40:41], v[40:41], v[54:55]
	v_add_f64 v[28:29], v[28:29], v[20:21]
	;; [unrolled: 1-line block ×3, first 2 shown]
	ds_read_b128 v[20:23], v32 offset:1280
	s_waitcnt lgkmcnt(1)
	v_mul_f64 v[24:25], v[46:47], v[18:19]
	v_add_f64 v[52:53], v[56:57], v[52:53]
	v_fmac_f64_e32 v[24:25], v[48:49], v[16:17]
	v_add_f64 v[52:53], v[52:53], v[24:25]
	ds_read_b128 v[24:27], v33 offset:2080
	v_mul_f64 v[14:15], v[48:49], v[18:19]
	v_fma_f64 v[14:15], v[46:47], v[16:17], -v[14:15]
	v_add_f64 v[42:43], v[34:35], v[42:43]
	v_add_f64 v[50:51], v[50:51], v[14:15]
	s_waitcnt lgkmcnt(1)
	v_mul_f64 v[14:15], v[48:49], v[22:23]
	v_mul_f64 v[34:35], v[46:47], v[22:23]
	v_fma_f64 v[14:15], v[46:47], v[20:21], -v[14:15]
	v_fmac_f64_e32 v[34:35], v[48:49], v[20:21]
	v_add_f64 v[40:41], v[40:41], v[14:15]
	v_add_f64 v[38:39], v[38:39], v[34:35]
	ds_read_b128 v[34:37], v33 offset:2096
	s_waitcnt lgkmcnt(1)
	v_mul_f64 v[14:15], v[26:27], v[18:19]
	v_fma_f64 v[14:15], v[24:25], v[16:17], -v[14:15]
	v_mul_f64 v[18:19], v[24:25], v[18:19]
	v_fmac_f64_e32 v[18:19], v[26:27], v[16:17]
	v_add_f64 v[42:43], v[42:43], v[14:15]
	v_mul_f64 v[14:15], v[26:27], v[22:23]
	v_add_f64 v[44:45], v[44:45], v[18:19]
	v_fma_f64 v[18:19], v[24:25], v[20:21], -v[14:15]
	v_mul_f64 v[22:23], v[24:25], v[22:23]
	ds_read_b128 v[14:17], v32 offset:1536
	v_fmac_f64_e32 v[22:23], v[26:27], v[20:21]
	v_add_f64 v[24:25], v[28:29], v[18:19]
	ds_read_b128 v[18:21], v32 offset:1792
	v_add_f64 v[22:23], v[54:55], v[22:23]
	s_waitcnt lgkmcnt(1)
	v_mul_f64 v[26:27], v[4:5], v[16:17]
	v_fma_f64 v[26:27], v[2:3], v[14:15], -v[26:27]
	v_mul_f64 v[28:29], v[2:3], v[16:17]
	s_waitcnt lgkmcnt(0)
	v_mul_f64 v[46:47], v[4:5], v[20:21]
	v_fma_f64 v[46:47], v[2:3], v[18:19], -v[46:47]
	v_mul_f64 v[2:3], v[2:3], v[20:21]
	v_fmac_f64_e32 v[2:3], v[4:5], v[18:19]
	v_add_f64 v[38:39], v[38:39], v[2:3]
	v_mul_f64 v[2:3], v[36:37], v[16:17]
	v_fmac_f64_e32 v[28:29], v[4:5], v[14:15]
	v_fma_f64 v[2:3], v[34:35], v[14:15], -v[2:3]
	v_mul_f64 v[4:5], v[34:35], v[16:17]
	v_fmac_f64_e32 v[4:5], v[36:37], v[14:15]
	v_add_f64 v[42:43], v[42:43], v[2:3]
	v_mul_f64 v[2:3], v[36:37], v[20:21]
	v_add_f64 v[40:41], v[40:41], v[46:47]
	v_add_f64 v[44:45], v[44:45], v[4:5]
	v_fma_f64 v[46:47], v[34:35], v[18:19], -v[2:3]
	ds_read_b128 v[2:5], v33 offset:64
	ds_read_b128 v[14:17], v32 offset:2048
	v_mul_f64 v[20:21], v[34:35], v[20:21]
	v_fmac_f64_e32 v[20:21], v[36:37], v[18:19]
	v_add_f64 v[34:35], v[24:25], v[46:47]
	v_add_f64 v[36:37], v[22:23], v[20:21]
	ds_read_b128 v[18:21], v32 offset:2304
	ds_read_b128 v[22:25], v33 offset:80
	s_waitcnt lgkmcnt(2)
	v_mul_f64 v[46:47], v[4:5], v[16:17]
	v_add_f64 v[26:27], v[50:51], v[26:27]
	v_fma_f64 v[46:47], v[2:3], v[14:15], -v[46:47]
	v_mul_f64 v[48:49], v[2:3], v[16:17]
	v_add_f64 v[28:29], v[52:53], v[28:29]
	v_fmac_f64_e32 v[48:49], v[4:5], v[14:15]
	v_add_f64 v[46:47], v[26:27], v[46:47]
	s_waitcnt lgkmcnt(1)
	v_mul_f64 v[26:27], v[4:5], v[20:21]
	v_add_f64 v[48:49], v[28:29], v[48:49]
	v_fma_f64 v[50:51], v[2:3], v[18:19], -v[26:27]
	ds_read_b128 v[26:29], v33 offset:2112
	v_mul_f64 v[2:3], v[2:3], v[20:21]
	v_fmac_f64_e32 v[2:3], v[4:5], v[18:19]
	v_add_f64 v[40:41], v[40:41], v[50:51]
	v_add_f64 v[38:39], v[38:39], v[2:3]
	ds_read_b128 v[2:5], v33 offset:2128
	s_waitcnt lgkmcnt(1)
	v_mul_f64 v[50:51], v[28:29], v[16:17]
	v_mul_f64 v[16:17], v[26:27], v[16:17]
	v_fma_f64 v[50:51], v[26:27], v[14:15], -v[50:51]
	v_fmac_f64_e32 v[16:17], v[28:29], v[14:15]
	v_mul_f64 v[14:15], v[28:29], v[20:21]
	v_add_f64 v[42:43], v[42:43], v[50:51]
	v_add_f64 v[44:45], v[44:45], v[16:17]
	v_fma_f64 v[50:51], v[26:27], v[18:19], -v[14:15]
	v_mul_f64 v[20:21], v[26:27], v[20:21]
	ds_read_b128 v[14:17], v32 offset:2560
	v_fmac_f64_e32 v[20:21], v[28:29], v[18:19]
	v_add_f64 v[28:29], v[36:37], v[20:21]
	ds_read_b128 v[18:21], v32 offset:2816
	v_add_f64 v[26:27], v[34:35], v[50:51]
	s_waitcnt lgkmcnt(1)
	v_mul_f64 v[34:35], v[24:25], v[16:17]
	v_fma_f64 v[34:35], v[22:23], v[14:15], -v[34:35]
	v_add_f64 v[34:35], v[46:47], v[34:35]
	s_waitcnt lgkmcnt(0)
	v_mul_f64 v[46:47], v[24:25], v[20:21]
	v_mul_f64 v[36:37], v[22:23], v[16:17]
	v_fma_f64 v[46:47], v[22:23], v[18:19], -v[46:47]
	v_mul_f64 v[22:23], v[22:23], v[20:21]
	v_fmac_f64_e32 v[22:23], v[24:25], v[18:19]
	v_add_f64 v[38:39], v[38:39], v[22:23]
	v_mul_f64 v[22:23], v[4:5], v[16:17]
	v_mul_f64 v[16:17], v[2:3], v[16:17]
	v_fmac_f64_e32 v[36:37], v[24:25], v[14:15]
	v_fma_f64 v[22:23], v[2:3], v[14:15], -v[22:23]
	v_fmac_f64_e32 v[16:17], v[4:5], v[14:15]
	v_mul_f64 v[14:15], v[4:5], v[20:21]
	v_mul_f64 v[20:21], v[2:3], v[20:21]
	v_add_f64 v[42:43], v[42:43], v[22:23]
	v_add_f64 v[44:45], v[44:45], v[16:17]
	v_fma_f64 v[22:23], v[2:3], v[18:19], -v[14:15]
	v_fmac_f64_e32 v[20:21], v[4:5], v[18:19]
	ds_read_b128 v[2:5], v33 offset:96
	ds_read_b128 v[14:17], v32 offset:3072
	v_add_f64 v[36:37], v[48:49], v[36:37]
	v_add_f64 v[40:41], v[40:41], v[46:47]
	;; [unrolled: 1-line block ×4, first 2 shown]
	ds_read_b128 v[18:21], v32 offset:3328
	ds_read_b128 v[22:25], v33 offset:112
	s_waitcnt lgkmcnt(2)
	v_mul_f64 v[26:27], v[4:5], v[16:17]
	v_fma_f64 v[26:27], v[2:3], v[14:15], -v[26:27]
	v_mul_f64 v[28:29], v[2:3], v[16:17]
	v_fmac_f64_e32 v[28:29], v[4:5], v[14:15]
	v_add_f64 v[50:51], v[34:35], v[26:27]
	s_waitcnt lgkmcnt(1)
	v_mul_f64 v[26:27], v[4:5], v[20:21]
	v_add_f64 v[52:53], v[36:37], v[28:29]
	v_fma_f64 v[34:35], v[2:3], v[18:19], -v[26:27]
	ds_read_b128 v[26:29], v33 offset:2144
	v_mul_f64 v[2:3], v[2:3], v[20:21]
	v_fmac_f64_e32 v[2:3], v[4:5], v[18:19]
	v_add_f64 v[40:41], v[40:41], v[34:35]
	v_add_f64 v[38:39], v[38:39], v[2:3]
	ds_read_b128 v[2:5], v33 offset:2160
	s_waitcnt lgkmcnt(1)
	v_mul_f64 v[34:35], v[28:29], v[16:17]
	v_mul_f64 v[16:17], v[26:27], v[16:17]
	v_fma_f64 v[34:35], v[26:27], v[14:15], -v[34:35]
	v_fmac_f64_e32 v[16:17], v[28:29], v[14:15]
	v_mul_f64 v[14:15], v[28:29], v[20:21]
	v_add_f64 v[42:43], v[42:43], v[34:35]
	v_add_f64 v[44:45], v[44:45], v[16:17]
	v_fma_f64 v[34:35], v[26:27], v[18:19], -v[14:15]
	ds_read_b128 v[14:17], v32 offset:3584
	v_add_f64 v[46:47], v[46:47], v[34:35]
	ds_read_b128 v[34:37], v32 offset:3840
	v_mul_f64 v[20:21], v[26:27], v[20:21]
	v_fmac_f64_e32 v[20:21], v[28:29], v[18:19]
	s_waitcnt lgkmcnt(1)
	v_mul_f64 v[18:19], v[24:25], v[16:17]
	v_fma_f64 v[18:19], v[22:23], v[14:15], -v[18:19]
	v_add_f64 v[48:49], v[48:49], v[20:21]
	v_mul_f64 v[20:21], v[22:23], v[16:17]
	v_add_f64 v[26:27], v[50:51], v[18:19]
	s_waitcnt lgkmcnt(0)
	v_mul_f64 v[18:19], v[24:25], v[36:37]
	v_fmac_f64_e32 v[20:21], v[24:25], v[14:15]
	v_fma_f64 v[18:19], v[22:23], v[34:35], -v[18:19]
	v_add_f64 v[28:29], v[52:53], v[20:21]
	v_mul_f64 v[20:21], v[22:23], v[36:37]
	v_add_f64 v[22:23], v[40:41], v[18:19]
	v_mul_f64 v[18:19], v[4:5], v[16:17]
	v_mul_f64 v[16:17], v[2:3], v[16:17]
	v_fma_f64 v[18:19], v[2:3], v[14:15], -v[18:19]
	v_fmac_f64_e32 v[16:17], v[4:5], v[14:15]
	v_mul_f64 v[14:15], v[4:5], v[36:37]
	v_mov_b32_e32 v1, s13
	v_add_co_u32_e32 v10, vcc, s12, v10
	v_fma_f64 v[14:15], v[2:3], v[34:35], -v[14:15]
	v_mul_f64 v[2:3], v[2:3], v[36:37]
	v_addc_co_u32_e32 v11, vcc, v11, v1, vcc
	v_fmac_f64_e32 v[20:21], v[24:25], v[34:35]
	v_fmac_f64_e32 v[2:3], v[4:5], v[34:35]
	s_add_u32 s28, s28, 8
	v_mov_b32_e32 v1, s3
	v_add_co_u32_e32 v12, vcc, s2, v12
	v_add_f64 v[24:25], v[38:39], v[20:21]
	v_add_f64 v[20:21], v[44:45], v[16:17]
	;; [unrolled: 1-line block ×4, first 2 shown]
	s_addc_u32 s29, s29, 0
	v_addc_co_u32_e32 v13, vcc, v13, v1, vcc
	v_pk_mov_b32 v[2:3], s[40:41], s[40:41] op_sel:[0,1]
	v_cmp_lt_i64_e32 vcc, s[28:29], v[2:3]
	v_add_f64 v[18:19], v[42:43], v[18:19]
	s_barrier
	s_cbranch_vccz .LBB288_9
.LBB288_3:                              ; =>This Inner Loop Header: Depth=1
	v_mov_b32_e32 v1, s29
	v_add_co_u32_e32 v2, vcc, s28, v6
	v_addc_co_u32_e32 v3, vcc, 0, v1, vcc
	v_cmp_le_i64_e32 vcc, s[40:41], v[2:3]
	s_or_b64 s[14:15], s[6:7], vcc
	s_and_saveexec_b64 s[16:17], s[14:15]
	s_xor_b64 s[14:15], exec, s[16:17]
	s_cbranch_execz .LBB288_5
; %bb.4:                                ;   in Loop: Header=BB288_3 Depth=1
	v_mov_b32_e32 v1, v0
	v_mov_b32_e32 v2, v0
	;; [unrolled: 1-line block ×3, first 2 shown]
	ds_write_b128 v30, v[0:3]
.LBB288_5:                              ;   in Loop: Header=BB288_3 Depth=1
	s_andn2_saveexec_b64 s[14:15], s[14:15]
	s_cbranch_execz .LBB288_7
; %bb.6:                                ;   in Loop: Header=BB288_3 Depth=1
	global_load_dwordx4 v[2:5], v[12:13], off
	s_waitcnt vmcnt(0)
	ds_write2_b64 v30, v[2:3], v[4:5] offset1:1
.LBB288_7:                              ;   in Loop: Header=BB288_3 Depth=1
	s_or_b64 exec, exec, s[14:15]
	v_mov_b32_e32 v1, s29
	v_add_co_u32_e32 v2, vcc, s28, v8
	v_addc_co_u32_e32 v3, vcc, 0, v1, vcc
	v_cmp_gt_i64_e32 vcc, s[40:41], v[2:3]
	v_pk_mov_b32 v[2:3], 0, 0
	s_and_b64 s[16:17], vcc, s[0:1]
	v_pk_mov_b32 v[4:5], v[2:3], v[2:3] op_sel:[0,1]
	s_and_saveexec_b64 s[14:15], s[16:17]
	s_cbranch_execz .LBB288_2
; %bb.8:                                ;   in Loop: Header=BB288_3 Depth=1
	global_load_dwordx4 v[2:5], v[10:11], off offset:-8
	s_waitcnt vmcnt(0)
	v_xor_b32_e32 v5, 0x80000000, v5
	s_branch .LBB288_2
.LBB288_9:
	s_lshl_b64 s[0:1], s[34:35], 4
	s_waitcnt lgkmcnt(0)
	s_add_u32 s14, s4, s0
	s_addc_u32 s15, s5, s1
	v_mov_b32_e32 v1, s23
	v_add_co_u32_e32 v0, vcc, s22, v9
	v_cmp_neq_f64_e64 s[0:1], s[18:19], 0
	v_cmp_neq_f64_e64 s[2:3], s[20:21], 0
	v_addc_co_u32_e32 v1, vcc, 0, v1, vcc
	s_or_b64 s[4:5], s[0:1], s[2:3]
	v_cmp_gt_i64_e64 s[0:1], s[38:39], v[0:1]
	s_mov_b64 s[2:3], -1
	s_and_b64 vcc, exec, s[4:5]
	s_cbranch_vccnz .LBB288_21
; %bb.10:
	s_and_saveexec_b64 s[6:7], s[0:1]
	s_cbranch_execz .LBB288_20
; %bb.11:
	v_mov_b32_e32 v2, s11
	v_add_co_u32_e32 v4, vcc, s10, v7
	v_addc_co_u32_e32 v5, vcc, 0, v2, vcc
	v_mul_lo_u32 v6, v1, s30
	v_mul_lo_u32 v8, v0, s31
	v_mad_u64_u32 v[2:3], s[2:3], v0, s30, 0
	v_add3_u32 v3, v3, v8, v6
	v_lshlrev_b64 v[2:3], 4, v[2:3]
	v_mov_b32_e32 v8, s15
	v_add_co_u32_e64 v6, s[2:3], s14, v2
	v_cmp_gt_i64_e32 vcc, s[36:37], v[4:5]
	v_addc_co_u32_e64 v8, s[2:3], v8, v3, s[2:3]
	v_lshlrev_b64 v[2:3], 4, v[4:5]
	s_and_saveexec_b64 s[4:5], vcc
	s_cbranch_execz .LBB288_13
; %bb.12:
	v_mul_f64 v[10:11], s[44:45], v[28:29]
	v_mul_f64 v[12:13], s[42:43], v[28:29]
	v_add_co_u32_e64 v30, s[2:3], v6, v2
	v_fma_f64 v[10:11], s[42:43], v[26:27], -v[10:11]
	v_fmac_f64_e32 v[12:13], s[44:45], v[26:27]
	v_addc_co_u32_e64 v31, s[2:3], v8, v3, s[2:3]
	global_store_dwordx4 v[30:31], v[10:13], off
.LBB288_13:
	s_or_b64 exec, exec, s[4:5]
	v_add_co_u32_e64 v4, s[2:3], 16, v4
	v_addc_co_u32_e64 v5, s[2:3], 0, v5, s[2:3]
	v_cmp_gt_i64_e64 s[2:3], s[36:37], v[4:5]
	s_and_saveexec_b64 s[12:13], s[2:3]
	s_cbranch_execz .LBB288_15
; %bb.14:
	v_mul_f64 v[4:5], s[44:45], v[24:25]
	v_fma_f64 v[10:11], s[42:43], v[22:23], -v[4:5]
	v_mul_f64 v[12:13], s[42:43], v[24:25]
	v_add_co_u32_e64 v4, s[4:5], v6, v2
	v_fmac_f64_e32 v[12:13], s[44:45], v[22:23]
	v_addc_co_u32_e64 v5, s[4:5], v8, v3, s[4:5]
	global_store_dwordx4 v[4:5], v[10:13], off offset:256
.LBB288_15:
	s_or_b64 exec, exec, s[12:13]
	v_add_co_u32_e64 v4, s[4:5], 16, v0
	v_addc_co_u32_e64 v5, s[4:5], 0, v1, s[4:5]
	v_cmp_gt_i64_e64 s[4:5], s[38:39], v[4:5]
	s_and_b64 exec, exec, s[4:5]
	s_cbranch_execz .LBB288_20
; %bb.16:
	s_lshl_b64 s[4:5], s[30:31], 8
	v_mov_b32_e32 v4, s5
	v_add_co_u32_e64 v5, s[4:5], s4, v6
	v_addc_co_u32_e64 v4, s[4:5], v8, v4, s[4:5]
	v_add_co_u32_e64 v2, s[4:5], v5, v2
	v_addc_co_u32_e64 v3, s[4:5], v4, v3, s[4:5]
	s_and_saveexec_b64 s[4:5], vcc
	s_cbranch_execz .LBB288_18
; %bb.17:
	v_mul_f64 v[4:5], s[44:45], v[20:21]
	v_mul_f64 v[10:11], s[42:43], v[20:21]
	v_fma_f64 v[8:9], s[42:43], v[18:19], -v[4:5]
	v_fmac_f64_e32 v[10:11], s[44:45], v[18:19]
	global_store_dwordx4 v[2:3], v[8:11], off
.LBB288_18:
	s_or_b64 exec, exec, s[4:5]
	s_and_b64 exec, exec, s[2:3]
	s_cbranch_execz .LBB288_20
; %bb.19:
	v_mul_f64 v[4:5], s[44:45], v[14:15]
	v_mul_f64 v[10:11], s[42:43], v[14:15]
	v_fma_f64 v[8:9], s[42:43], v[16:17], -v[4:5]
	v_fmac_f64_e32 v[10:11], s[44:45], v[16:17]
	global_store_dwordx4 v[2:3], v[8:11], off offset:256
.LBB288_20:
	s_or_b64 exec, exec, s[6:7]
	s_mov_b64 s[2:3], 0
.LBB288_21:
	s_andn2_b64 vcc, exec, s[2:3]
	s_cbranch_vccnz .LBB288_32
; %bb.22:
	s_and_saveexec_b64 s[2:3], s[0:1]
	s_cbranch_execz .LBB288_32
; %bb.23:
	s_lshl_b64 s[0:1], s[26:27], 4
	s_add_u32 s2, s8, s0
	v_mov_b32_e32 v2, s11
	v_add_co_u32_e32 v4, vcc, s10, v7
	s_addc_u32 s3, s9, s1
	v_addc_co_u32_e32 v5, vcc, 0, v2, vcc
	v_mul_lo_u32 v6, v1, s24
	v_mul_lo_u32 v7, v0, s25
	v_mad_u64_u32 v[2:3], s[0:1], v0, s24, 0
	v_add3_u32 v3, v3, v7, v6
	v_mul_lo_u32 v6, v1, s30
	v_mul_lo_u32 v7, v0, s31
	v_mad_u64_u32 v[8:9], s[0:1], v0, s30, 0
	v_lshlrev_b64 v[2:3], 4, v[2:3]
	v_add3_u32 v9, v9, v7, v6
	v_mov_b32_e32 v7, s3
	v_add_co_u32_e64 v6, s[0:1], s2, v2
	v_addc_co_u32_e64 v7, s[0:1], v7, v3, s[0:1]
	v_lshlrev_b64 v[2:3], 4, v[8:9]
	v_mov_b32_e32 v9, s15
	v_add_co_u32_e64 v8, s[0:1], s14, v2
	v_cmp_gt_i64_e32 vcc, s[36:37], v[4:5]
	v_addc_co_u32_e64 v9, s[0:1], v9, v3, s[0:1]
	v_lshlrev_b64 v[2:3], 4, v[4:5]
	s_and_saveexec_b64 s[2:3], vcc
	s_cbranch_execz .LBB288_25
; %bb.24:
	v_add_co_u32_e64 v10, s[0:1], v6, v2
	v_addc_co_u32_e64 v11, s[0:1], v7, v3, s[0:1]
	global_load_dwordx4 v[10:13], v[10:11], off
	v_mul_f64 v[30:31], s[44:45], v[28:29]
	v_mul_f64 v[28:29], s[42:43], v[28:29]
	v_fma_f64 v[30:31], s[42:43], v[26:27], -v[30:31]
	v_fmac_f64_e32 v[28:29], s[44:45], v[26:27]
	s_waitcnt vmcnt(0)
	v_mul_f64 v[26:27], s[20:21], v[12:13]
	v_mul_f64 v[12:13], s[18:19], v[12:13]
	v_fma_f64 v[26:27], s[18:19], v[10:11], -v[26:27]
	v_fmac_f64_e32 v[12:13], s[20:21], v[10:11]
	v_add_f64 v[10:11], v[30:31], v[26:27]
	v_add_co_u32_e64 v26, s[0:1], v8, v2
	v_add_f64 v[12:13], v[28:29], v[12:13]
	v_addc_co_u32_e64 v27, s[0:1], v9, v3, s[0:1]
	global_store_dwordx4 v[26:27], v[10:13], off
.LBB288_25:
	s_or_b64 exec, exec, s[2:3]
	v_add_co_u32_e64 v4, s[0:1], 16, v4
	v_addc_co_u32_e64 v5, s[0:1], 0, v5, s[0:1]
	v_cmp_gt_i64_e64 s[0:1], s[36:37], v[4:5]
	s_and_saveexec_b64 s[4:5], s[0:1]
	s_cbranch_execz .LBB288_27
; %bb.26:
	v_add_co_u32_e64 v4, s[2:3], v6, v2
	v_addc_co_u32_e64 v5, s[2:3], v7, v3, s[2:3]
	global_load_dwordx4 v[10:13], v[4:5], off offset:256
	v_mul_f64 v[4:5], s[44:45], v[24:25]
	v_mul_f64 v[24:25], s[42:43], v[24:25]
	v_fma_f64 v[4:5], s[42:43], v[22:23], -v[4:5]
	v_fmac_f64_e32 v[24:25], s[44:45], v[22:23]
	s_waitcnt vmcnt(0)
	v_mul_f64 v[22:23], s[20:21], v[12:13]
	v_mul_f64 v[12:13], s[18:19], v[12:13]
	v_fma_f64 v[22:23], s[18:19], v[10:11], -v[22:23]
	v_fmac_f64_e32 v[12:13], s[20:21], v[10:11]
	v_add_f64 v[10:11], v[4:5], v[22:23]
	v_add_co_u32_e64 v4, s[2:3], v8, v2
	v_add_f64 v[12:13], v[24:25], v[12:13]
	v_addc_co_u32_e64 v5, s[2:3], v9, v3, s[2:3]
	global_store_dwordx4 v[4:5], v[10:13], off offset:256
.LBB288_27:
	s_or_b64 exec, exec, s[4:5]
	v_add_co_u32_e64 v0, s[2:3], 16, v0
	v_addc_co_u32_e64 v1, s[2:3], 0, v1, s[2:3]
	v_cmp_gt_i64_e64 s[2:3], s[38:39], v[0:1]
	s_and_b64 exec, exec, s[2:3]
	s_cbranch_execz .LBB288_32
; %bb.28:
	s_lshl_b64 s[2:3], s[24:25], 8
	v_mov_b32_e32 v0, s3
	v_add_co_u32_e64 v1, s[2:3], s2, v6
	v_addc_co_u32_e64 v0, s[2:3], v7, v0, s[2:3]
	s_lshl_b64 s[2:3], s[30:31], 8
	v_mov_b32_e32 v4, s3
	v_add_co_u32_e64 v6, s[2:3], s2, v8
	v_addc_co_u32_e64 v7, s[2:3], v9, v4, s[2:3]
	v_add_co_u32_e64 v4, s[2:3], v1, v2
	v_addc_co_u32_e64 v5, s[2:3], v0, v3, s[2:3]
	;; [unrolled: 2-line block ×3, first 2 shown]
	s_and_saveexec_b64 s[2:3], vcc
	s_cbranch_execz .LBB288_30
; %bb.29:
	global_load_dwordx4 v[6:9], v[4:5], off
	v_mul_f64 v[2:3], s[44:45], v[20:21]
	v_mul_f64 v[10:11], s[42:43], v[20:21]
	v_fma_f64 v[2:3], s[42:43], v[18:19], -v[2:3]
	v_fmac_f64_e32 v[10:11], s[44:45], v[18:19]
	s_waitcnt vmcnt(0)
	v_mul_f64 v[12:13], s[20:21], v[8:9]
	v_mul_f64 v[8:9], s[18:19], v[8:9]
	v_fma_f64 v[12:13], s[18:19], v[6:7], -v[12:13]
	v_fmac_f64_e32 v[8:9], s[20:21], v[6:7]
	v_add_f64 v[6:7], v[2:3], v[12:13]
	v_add_f64 v[8:9], v[10:11], v[8:9]
	global_store_dwordx4 v[0:1], v[6:9], off
.LBB288_30:
	s_or_b64 exec, exec, s[2:3]
	s_and_b64 exec, exec, s[0:1]
	s_cbranch_execz .LBB288_32
; %bb.31:
	global_load_dwordx4 v[2:5], v[4:5], off offset:256
	v_mul_f64 v[6:7], s[44:45], v[14:15]
	v_mul_f64 v[8:9], s[42:43], v[14:15]
	v_fma_f64 v[6:7], s[42:43], v[16:17], -v[6:7]
	v_fmac_f64_e32 v[8:9], s[44:45], v[16:17]
	s_waitcnt vmcnt(0)
	v_mul_f64 v[10:11], s[20:21], v[4:5]
	v_mul_f64 v[4:5], s[18:19], v[4:5]
	v_fma_f64 v[10:11], s[18:19], v[2:3], -v[10:11]
	v_fmac_f64_e32 v[4:5], s[20:21], v[2:3]
	v_add_f64 v[2:3], v[6:7], v[10:11]
	v_add_f64 v[4:5], v[8:9], v[4:5]
	global_store_dwordx4 v[0:1], v[2:5], off offset:256
.LBB288_32:
	s_endpgm
	.section	.rodata,"a",@progbits
	.p2align	6, 0x0
	.amdhsa_kernel _ZN12_GLOBAL__N_135rocblas_gemm_batched_general_kernelI19rocblas_complex_numIdELi16ELi16ELi32ELi32ELi8ELi32ELi8ELi8ELi32ELc78ELc67EKPKS2_S5_KPS2_EEvlllT_PT11_llSA_llS8_PT12_llPT13_lli
		.amdhsa_group_segment_fixed_size 8192
		.amdhsa_private_segment_fixed_size 0
		.amdhsa_kernarg_size 156
		.amdhsa_user_sgpr_count 6
		.amdhsa_user_sgpr_private_segment_buffer 1
		.amdhsa_user_sgpr_dispatch_ptr 0
		.amdhsa_user_sgpr_queue_ptr 0
		.amdhsa_user_sgpr_kernarg_segment_ptr 1
		.amdhsa_user_sgpr_dispatch_id 0
		.amdhsa_user_sgpr_flat_scratch_init 0
		.amdhsa_user_sgpr_kernarg_preload_length 0
		.amdhsa_user_sgpr_kernarg_preload_offset 0
		.amdhsa_user_sgpr_private_segment_size 0
		.amdhsa_uses_dynamic_stack 0
		.amdhsa_system_sgpr_private_segment_wavefront_offset 0
		.amdhsa_system_sgpr_workgroup_id_x 1
		.amdhsa_system_sgpr_workgroup_id_y 1
		.amdhsa_system_sgpr_workgroup_id_z 1
		.amdhsa_system_sgpr_workgroup_info 0
		.amdhsa_system_vgpr_workitem_id 1
		.amdhsa_next_free_vgpr 60
		.amdhsa_next_free_sgpr 54
		.amdhsa_accum_offset 60
		.amdhsa_reserve_vcc 1
		.amdhsa_reserve_flat_scratch 0
		.amdhsa_float_round_mode_32 0
		.amdhsa_float_round_mode_16_64 0
		.amdhsa_float_denorm_mode_32 3
		.amdhsa_float_denorm_mode_16_64 3
		.amdhsa_dx10_clamp 1
		.amdhsa_ieee_mode 1
		.amdhsa_fp16_overflow 0
		.amdhsa_tg_split 0
		.amdhsa_exception_fp_ieee_invalid_op 0
		.amdhsa_exception_fp_denorm_src 0
		.amdhsa_exception_fp_ieee_div_zero 0
		.amdhsa_exception_fp_ieee_overflow 0
		.amdhsa_exception_fp_ieee_underflow 0
		.amdhsa_exception_fp_ieee_inexact 0
		.amdhsa_exception_int_div_zero 0
	.end_amdhsa_kernel
	.section	.text._ZN12_GLOBAL__N_135rocblas_gemm_batched_general_kernelI19rocblas_complex_numIdELi16ELi16ELi32ELi32ELi8ELi32ELi8ELi8ELi32ELc78ELc67EKPKS2_S5_KPS2_EEvlllT_PT11_llSA_llS8_PT12_llPT13_lli,"axG",@progbits,_ZN12_GLOBAL__N_135rocblas_gemm_batched_general_kernelI19rocblas_complex_numIdELi16ELi16ELi32ELi32ELi8ELi32ELi8ELi8ELi32ELc78ELc67EKPKS2_S5_KPS2_EEvlllT_PT11_llSA_llS8_PT12_llPT13_lli,comdat
.Lfunc_end288:
	.size	_ZN12_GLOBAL__N_135rocblas_gemm_batched_general_kernelI19rocblas_complex_numIdELi16ELi16ELi32ELi32ELi8ELi32ELi8ELi8ELi32ELc78ELc67EKPKS2_S5_KPS2_EEvlllT_PT11_llSA_llS8_PT12_llPT13_lli, .Lfunc_end288-_ZN12_GLOBAL__N_135rocblas_gemm_batched_general_kernelI19rocblas_complex_numIdELi16ELi16ELi32ELi32ELi8ELi32ELi8ELi8ELi32ELc78ELc67EKPKS2_S5_KPS2_EEvlllT_PT11_llSA_llS8_PT12_llPT13_lli
                                        ; -- End function
	.section	.AMDGPU.csdata,"",@progbits
; Kernel info:
; codeLenInByte = 3900
; NumSgprs: 58
; NumVgprs: 60
; NumAgprs: 0
; TotalNumVgprs: 60
; ScratchSize: 0
; MemoryBound: 1
; FloatMode: 240
; IeeeMode: 1
; LDSByteSize: 8192 bytes/workgroup (compile time only)
; SGPRBlocks: 7
; VGPRBlocks: 7
; NumSGPRsForWavesPerEU: 58
; NumVGPRsForWavesPerEU: 60
; AccumOffset: 60
; Occupancy: 8
; WaveLimiterHint : 1
; COMPUTE_PGM_RSRC2:SCRATCH_EN: 0
; COMPUTE_PGM_RSRC2:USER_SGPR: 6
; COMPUTE_PGM_RSRC2:TRAP_HANDLER: 0
; COMPUTE_PGM_RSRC2:TGID_X_EN: 1
; COMPUTE_PGM_RSRC2:TGID_Y_EN: 1
; COMPUTE_PGM_RSRC2:TGID_Z_EN: 1
; COMPUTE_PGM_RSRC2:TIDIG_COMP_CNT: 1
; COMPUTE_PGM_RSRC3_GFX90A:ACCUM_OFFSET: 14
; COMPUTE_PGM_RSRC3_GFX90A:TG_SPLIT: 0
	.section	.text._ZN12_GLOBAL__N_135rocblas_gemm_batched_general_kernelI19rocblas_complex_numIdELi16ELi16ELi32ELi32ELi8ELi32ELi8ELi8ELi32ELc84ELc67EKPKS2_S5_KPS2_EEvlllT_PT11_llSA_llS8_PT12_llPT13_lli,"axG",@progbits,_ZN12_GLOBAL__N_135rocblas_gemm_batched_general_kernelI19rocblas_complex_numIdELi16ELi16ELi32ELi32ELi8ELi32ELi8ELi8ELi32ELc84ELc67EKPKS2_S5_KPS2_EEvlllT_PT11_llSA_llS8_PT12_llPT13_lli,comdat
	.globl	_ZN12_GLOBAL__N_135rocblas_gemm_batched_general_kernelI19rocblas_complex_numIdELi16ELi16ELi32ELi32ELi8ELi32ELi8ELi8ELi32ELc84ELc67EKPKS2_S5_KPS2_EEvlllT_PT11_llSA_llS8_PT12_llPT13_lli ; -- Begin function _ZN12_GLOBAL__N_135rocblas_gemm_batched_general_kernelI19rocblas_complex_numIdELi16ELi16ELi32ELi32ELi8ELi32ELi8ELi8ELi32ELc84ELc67EKPKS2_S5_KPS2_EEvlllT_PT11_llSA_llS8_PT12_llPT13_lli
	.p2align	8
	.type	_ZN12_GLOBAL__N_135rocblas_gemm_batched_general_kernelI19rocblas_complex_numIdELi16ELi16ELi32ELi32ELi8ELi32ELi8ELi8ELi32ELc84ELc67EKPKS2_S5_KPS2_EEvlllT_PT11_llSA_llS8_PT12_llPT13_lli,@function
_ZN12_GLOBAL__N_135rocblas_gemm_batched_general_kernelI19rocblas_complex_numIdELi16ELi16ELi32ELi32ELi8ELi32ELi8ELi8ELi32ELc84ELc67EKPKS2_S5_KPS2_EEvlllT_PT11_llSA_llS8_PT12_llPT13_lli: ; @_ZN12_GLOBAL__N_135rocblas_gemm_batched_general_kernelI19rocblas_complex_numIdELi16ELi16ELi32ELi32ELi8ELi32ELi8ELi8ELi32ELc84ELc67EKPKS2_S5_KPS2_EEvlllT_PT11_llSA_llS8_PT12_llPT13_lli
; %bb.0:
	s_load_dwordx16 s[36:51], s[4:5], 0x0
	s_load_dwordx16 s[12:27], s[4:5], 0x40
	s_load_dwordx2 s[10:11], s[4:5], 0x90
	s_load_dwordx4 s[28:31], s[4:5], 0x80
	s_mov_b32 s9, 0
	s_lshl_b64 s[0:1], s[8:9], 3
	s_waitcnt lgkmcnt(0)
	s_add_u32 s4, s22, s0
	s_addc_u32 s5, s23, s1
	s_load_dwordx2 s[8:9], s[4:5], 0x0
	s_add_u32 s4, s28, s0
	s_addc_u32 s5, s29, s1
	s_load_dwordx2 s[4:5], s[4:5], 0x0
	s_mov_b32 s2, s7
	s_ashr_i32 s7, s6, 31
	s_ashr_i32 s3, s2, 31
	v_cmp_lt_i64_e64 s[34:35], s[40:41], 1
	v_pk_mov_b32 v[26:27], 0, 0
	v_and_b32_e32 v7, 0x3ff, v0
	v_bfe_u32 v9, v0, 10, 10
	s_lshl_b64 s[6:7], s[6:7], 5
	s_lshl_b64 s[22:23], s[2:3], 5
	s_mov_b64 s[28:29], 0
	s_and_b64 vcc, exec, s[34:35]
	v_pk_mov_b32 v[28:29], v[26:27], v[26:27] op_sel:[0,1]
	v_pk_mov_b32 v[22:23], v[26:27], v[26:27] op_sel:[0,1]
	;; [unrolled: 1-line block ×7, first 2 shown]
	s_cbranch_vccnz .LBB289_9
; %bb.1:
	s_add_u32 s12, s12, s0
	v_lshl_add_u32 v1, v9, 4, v7
	s_addc_u32 s13, s13, s1
	v_lshrrev_b32_e32 v2, 3, v1
	v_mov_b32_e32 v5, s23
	v_add_co_u32_e32 v4, vcc, s22, v2
	s_add_u32 s0, s46, s0
	v_and_b32_e32 v8, 7, v7
	v_addc_co_u32_e32 v5, vcc, 0, v5, vcc
	s_addc_u32 s1, s47, s1
	s_load_dwordx2 s[34:35], s[0:1], 0x0
	v_cmp_gt_i64_e64 s[0:1], s[38:39], v[4:5]
	v_lshlrev_b32_e32 v4, 4, v8
	v_lshrrev_b32_e32 v6, 5, v1
	v_and_b32_e32 v1, 31, v1
	v_lshl_or_b32 v4, v2, 7, v4
	v_mov_b32_e32 v11, s7
	v_or_b32_e32 v10, s6, v1
	v_add_u32_e32 v31, 0x1000, v4
	v_mov_b32_e32 v4, 0x1000
	v_cmp_gt_i64_e32 vcc, s[36:37], v[10:11]
	v_lshlrev_b32_e32 v10, 4, v1
	v_lshl_add_u32 v33, v9, 7, v4
	v_mad_u64_u32 v[4:5], s[46:47], s14, v8, 0
	v_lshl_or_b32 v30, v6, 9, v10
	v_mov_b32_e32 v10, v5
	v_mad_u64_u32 v[10:11], s[46:47], s15, v8, v[10:11]
	s_lshl_b64 s[2:3], s[2:3], 9
	s_lshl_b64 s[16:17], s[16:17], 4
	v_mov_b32_e32 v5, v10
	s_add_u32 s2, s16, s2
	s_load_dwordx2 s[12:13], s[12:13], 0x0
	v_mov_b32_e32 v0, 0
	v_lshlrev_b64 v[4:5], 4, v[4:5]
	s_addc_u32 s3, s17, s3
	v_mov_b32_e32 v3, v0
	v_mov_b32_e32 v10, s3
	v_add_co_u32_e64 v4, s[2:3], s2, v4
	v_addc_co_u32_e64 v5, s[2:3], v10, v5, s[2:3]
	v_lshlrev_b64 v[2:3], 4, v[2:3]
	v_add_co_u32_e64 v2, s[2:3], v4, v2
	v_addc_co_u32_e64 v3, s[2:3], v5, v3, s[2:3]
	s_waitcnt lgkmcnt(0)
	v_mov_b32_e32 v4, s13
	v_add_co_u32_e64 v2, s[2:3], s12, v2
	v_addc_co_u32_e64 v3, s[2:3], v3, v4, s[2:3]
	v_add_co_u32_e64 v10, s[2:3], 8, v2
	v_addc_co_u32_e64 v11, s[2:3], 0, v3, s[2:3]
	v_mov_b32_e32 v2, s7
	v_add_co_u32_e64 v1, s[2:3], s6, v1
	v_addc_co_u32_e64 v2, s[2:3], 0, v2, s[2:3]
	v_mul_lo_u32 v4, s49, v1
	v_mul_lo_u32 v5, s48, v2
	v_mad_u64_u32 v[2:3], s[2:3], s48, v1, 0
	v_add3_u32 v3, v3, v5, v4
	v_lshlrev_b64 v[2:3], 4, v[2:3]
	s_lshl_b64 s[2:3], s[50:51], 4
	v_mov_b32_e32 v1, s3
	v_add_co_u32_e64 v2, s[2:3], s2, v2
	v_addc_co_u32_e64 v1, s[2:3], v3, v1, s[2:3]
	v_lshlrev_b32_e32 v3, 4, v6
	v_add_co_u32_e64 v2, s[2:3], v2, v3
	v_addc_co_u32_e64 v1, s[2:3], 0, v1, s[2:3]
	v_mov_b32_e32 v3, s35
	v_add_co_u32_e64 v12, s[2:3], s34, v2
	v_addc_co_u32_e64 v13, s[2:3], v3, v1, s[2:3]
	v_pk_mov_b32 v[14:15], 0, 0
	v_lshlrev_b32_e32 v32, 4, v7
	s_lshl_b64 s[12:13], s[14:15], 7
	s_xor_b64 s[2:3], vcc, -1
	v_pk_mov_b32 v[16:17], v[14:15], v[14:15] op_sel:[0,1]
	v_pk_mov_b32 v[20:21], v[14:15], v[14:15] op_sel:[0,1]
	;; [unrolled: 1-line block ×7, first 2 shown]
	s_branch .LBB289_3
.LBB289_2:                              ;   in Loop: Header=BB289_3 Depth=1
	s_or_b64 exec, exec, s[14:15]
	ds_write_b128 v31, v[2:5]
	s_waitcnt lgkmcnt(0)
	s_barrier
	ds_read_b128 v[34:37], v32
	ds_read_b128 v[38:41], v33
	ds_read_b128 v[42:45], v33 offset:16
	ds_read_b128 v[46:49], v33 offset:32
	;; [unrolled: 1-line block ×4, first 2 shown]
	s_waitcnt lgkmcnt(4)
	v_mul_f64 v[54:55], v[40:41], v[36:37]
	v_fma_f64 v[54:55], v[38:39], v[34:35], -v[54:55]
	v_mul_f64 v[56:57], v[38:39], v[36:37]
	v_fmac_f64_e32 v[56:57], v[40:41], v[34:35]
	v_add_f64 v[54:55], v[26:27], v[54:55]
	s_waitcnt lgkmcnt(0)
	v_mul_f64 v[26:27], v[40:41], v[52:53]
	v_add_f64 v[56:57], v[28:29], v[56:57]
	v_fma_f64 v[58:59], v[38:39], v[50:51], -v[26:27]
	ds_read_b128 v[26:29], v33 offset:2048
	v_mul_f64 v[38:39], v[38:39], v[52:53]
	v_fmac_f64_e32 v[38:39], v[40:41], v[50:51]
	v_add_f64 v[40:41], v[22:23], v[58:59]
	v_add_f64 v[38:39], v[24:25], v[38:39]
	ds_read_b128 v[22:25], v33 offset:2064
	s_waitcnt lgkmcnt(1)
	v_mul_f64 v[58:59], v[28:29], v[36:37]
	v_fma_f64 v[58:59], v[26:27], v[34:35], -v[58:59]
	v_mul_f64 v[36:37], v[26:27], v[36:37]
	v_fmac_f64_e32 v[36:37], v[28:29], v[34:35]
	v_add_f64 v[34:35], v[18:19], v[58:59]
	v_mul_f64 v[18:19], v[28:29], v[52:53]
	v_add_f64 v[36:37], v[20:21], v[36:37]
	v_fma_f64 v[58:59], v[26:27], v[50:51], -v[18:19]
	v_mul_f64 v[26:27], v[26:27], v[52:53]
	ds_read_b128 v[18:21], v32 offset:512
	v_fmac_f64_e32 v[26:27], v[28:29], v[50:51]
	v_add_f64 v[28:29], v[16:17], v[58:59]
	v_add_f64 v[26:27], v[14:15], v[26:27]
	ds_read_b128 v[14:17], v32 offset:768
	s_waitcnt lgkmcnt(1)
	v_mul_f64 v[50:51], v[44:45], v[20:21]
	v_fma_f64 v[50:51], v[42:43], v[18:19], -v[50:51]
	v_add_f64 v[50:51], v[54:55], v[50:51]
	v_mul_f64 v[52:53], v[42:43], v[20:21]
	s_waitcnt lgkmcnt(0)
	v_mul_f64 v[54:55], v[44:45], v[16:17]
	v_fma_f64 v[54:55], v[42:43], v[14:15], -v[54:55]
	v_mul_f64 v[42:43], v[42:43], v[16:17]
	v_fmac_f64_e32 v[42:43], v[44:45], v[14:15]
	v_add_f64 v[38:39], v[38:39], v[42:43]
	v_mul_f64 v[42:43], v[24:25], v[20:21]
	v_mul_f64 v[20:21], v[22:23], v[20:21]
	v_fmac_f64_e32 v[52:53], v[44:45], v[18:19]
	v_fma_f64 v[42:43], v[22:23], v[18:19], -v[42:43]
	v_fmac_f64_e32 v[20:21], v[24:25], v[18:19]
	v_mul_f64 v[18:19], v[24:25], v[16:17]
	v_add_f64 v[44:45], v[36:37], v[20:21]
	v_fma_f64 v[20:21], v[22:23], v[14:15], -v[18:19]
	v_mul_f64 v[22:23], v[22:23], v[16:17]
	ds_read_b128 v[16:19], v32 offset:1024
	v_fmac_f64_e32 v[22:23], v[24:25], v[14:15]
	v_add_f64 v[40:41], v[40:41], v[54:55]
	v_add_f64 v[28:29], v[28:29], v[20:21]
	;; [unrolled: 1-line block ×3, first 2 shown]
	ds_read_b128 v[20:23], v32 offset:1280
	s_waitcnt lgkmcnt(1)
	v_mul_f64 v[24:25], v[46:47], v[18:19]
	v_add_f64 v[52:53], v[56:57], v[52:53]
	v_fmac_f64_e32 v[24:25], v[48:49], v[16:17]
	v_add_f64 v[52:53], v[52:53], v[24:25]
	ds_read_b128 v[24:27], v33 offset:2080
	v_mul_f64 v[14:15], v[48:49], v[18:19]
	v_fma_f64 v[14:15], v[46:47], v[16:17], -v[14:15]
	v_add_f64 v[42:43], v[34:35], v[42:43]
	v_add_f64 v[50:51], v[50:51], v[14:15]
	s_waitcnt lgkmcnt(1)
	v_mul_f64 v[14:15], v[48:49], v[22:23]
	v_mul_f64 v[34:35], v[46:47], v[22:23]
	v_fma_f64 v[14:15], v[46:47], v[20:21], -v[14:15]
	v_fmac_f64_e32 v[34:35], v[48:49], v[20:21]
	v_add_f64 v[40:41], v[40:41], v[14:15]
	v_add_f64 v[38:39], v[38:39], v[34:35]
	ds_read_b128 v[34:37], v33 offset:2096
	s_waitcnt lgkmcnt(1)
	v_mul_f64 v[14:15], v[26:27], v[18:19]
	v_fma_f64 v[14:15], v[24:25], v[16:17], -v[14:15]
	v_mul_f64 v[18:19], v[24:25], v[18:19]
	v_fmac_f64_e32 v[18:19], v[26:27], v[16:17]
	v_add_f64 v[42:43], v[42:43], v[14:15]
	v_mul_f64 v[14:15], v[26:27], v[22:23]
	v_add_f64 v[44:45], v[44:45], v[18:19]
	v_fma_f64 v[18:19], v[24:25], v[20:21], -v[14:15]
	v_mul_f64 v[22:23], v[24:25], v[22:23]
	ds_read_b128 v[14:17], v32 offset:1536
	v_fmac_f64_e32 v[22:23], v[26:27], v[20:21]
	v_add_f64 v[24:25], v[28:29], v[18:19]
	ds_read_b128 v[18:21], v32 offset:1792
	v_add_f64 v[22:23], v[54:55], v[22:23]
	s_waitcnt lgkmcnt(1)
	v_mul_f64 v[26:27], v[4:5], v[16:17]
	v_fma_f64 v[26:27], v[2:3], v[14:15], -v[26:27]
	v_mul_f64 v[28:29], v[2:3], v[16:17]
	s_waitcnt lgkmcnt(0)
	v_mul_f64 v[46:47], v[4:5], v[20:21]
	v_fma_f64 v[46:47], v[2:3], v[18:19], -v[46:47]
	v_mul_f64 v[2:3], v[2:3], v[20:21]
	v_fmac_f64_e32 v[2:3], v[4:5], v[18:19]
	v_add_f64 v[38:39], v[38:39], v[2:3]
	v_mul_f64 v[2:3], v[36:37], v[16:17]
	v_fmac_f64_e32 v[28:29], v[4:5], v[14:15]
	v_fma_f64 v[2:3], v[34:35], v[14:15], -v[2:3]
	v_mul_f64 v[4:5], v[34:35], v[16:17]
	v_fmac_f64_e32 v[4:5], v[36:37], v[14:15]
	v_add_f64 v[42:43], v[42:43], v[2:3]
	v_mul_f64 v[2:3], v[36:37], v[20:21]
	v_add_f64 v[40:41], v[40:41], v[46:47]
	v_add_f64 v[44:45], v[44:45], v[4:5]
	v_fma_f64 v[46:47], v[34:35], v[18:19], -v[2:3]
	ds_read_b128 v[2:5], v33 offset:64
	ds_read_b128 v[14:17], v32 offset:2048
	v_mul_f64 v[20:21], v[34:35], v[20:21]
	v_fmac_f64_e32 v[20:21], v[36:37], v[18:19]
	v_add_f64 v[34:35], v[24:25], v[46:47]
	v_add_f64 v[36:37], v[22:23], v[20:21]
	ds_read_b128 v[18:21], v32 offset:2304
	ds_read_b128 v[22:25], v33 offset:80
	s_waitcnt lgkmcnt(2)
	v_mul_f64 v[46:47], v[4:5], v[16:17]
	v_add_f64 v[26:27], v[50:51], v[26:27]
	v_fma_f64 v[46:47], v[2:3], v[14:15], -v[46:47]
	v_mul_f64 v[48:49], v[2:3], v[16:17]
	v_add_f64 v[28:29], v[52:53], v[28:29]
	v_fmac_f64_e32 v[48:49], v[4:5], v[14:15]
	v_add_f64 v[46:47], v[26:27], v[46:47]
	s_waitcnt lgkmcnt(1)
	v_mul_f64 v[26:27], v[4:5], v[20:21]
	v_add_f64 v[48:49], v[28:29], v[48:49]
	v_fma_f64 v[50:51], v[2:3], v[18:19], -v[26:27]
	ds_read_b128 v[26:29], v33 offset:2112
	v_mul_f64 v[2:3], v[2:3], v[20:21]
	v_fmac_f64_e32 v[2:3], v[4:5], v[18:19]
	v_add_f64 v[40:41], v[40:41], v[50:51]
	v_add_f64 v[38:39], v[38:39], v[2:3]
	ds_read_b128 v[2:5], v33 offset:2128
	s_waitcnt lgkmcnt(1)
	v_mul_f64 v[50:51], v[28:29], v[16:17]
	v_mul_f64 v[16:17], v[26:27], v[16:17]
	v_fma_f64 v[50:51], v[26:27], v[14:15], -v[50:51]
	v_fmac_f64_e32 v[16:17], v[28:29], v[14:15]
	v_mul_f64 v[14:15], v[28:29], v[20:21]
	v_add_f64 v[42:43], v[42:43], v[50:51]
	v_add_f64 v[44:45], v[44:45], v[16:17]
	v_fma_f64 v[50:51], v[26:27], v[18:19], -v[14:15]
	v_mul_f64 v[20:21], v[26:27], v[20:21]
	ds_read_b128 v[14:17], v32 offset:2560
	v_fmac_f64_e32 v[20:21], v[28:29], v[18:19]
	v_add_f64 v[28:29], v[36:37], v[20:21]
	ds_read_b128 v[18:21], v32 offset:2816
	v_add_f64 v[26:27], v[34:35], v[50:51]
	s_waitcnt lgkmcnt(1)
	v_mul_f64 v[34:35], v[24:25], v[16:17]
	v_fma_f64 v[34:35], v[22:23], v[14:15], -v[34:35]
	v_add_f64 v[34:35], v[46:47], v[34:35]
	s_waitcnt lgkmcnt(0)
	v_mul_f64 v[46:47], v[24:25], v[20:21]
	v_mul_f64 v[36:37], v[22:23], v[16:17]
	v_fma_f64 v[46:47], v[22:23], v[18:19], -v[46:47]
	v_mul_f64 v[22:23], v[22:23], v[20:21]
	v_fmac_f64_e32 v[22:23], v[24:25], v[18:19]
	v_add_f64 v[38:39], v[38:39], v[22:23]
	v_mul_f64 v[22:23], v[4:5], v[16:17]
	v_mul_f64 v[16:17], v[2:3], v[16:17]
	v_fmac_f64_e32 v[36:37], v[24:25], v[14:15]
	v_fma_f64 v[22:23], v[2:3], v[14:15], -v[22:23]
	v_fmac_f64_e32 v[16:17], v[4:5], v[14:15]
	v_mul_f64 v[14:15], v[4:5], v[20:21]
	v_mul_f64 v[20:21], v[2:3], v[20:21]
	v_add_f64 v[42:43], v[42:43], v[22:23]
	v_add_f64 v[44:45], v[44:45], v[16:17]
	v_fma_f64 v[22:23], v[2:3], v[18:19], -v[14:15]
	v_fmac_f64_e32 v[20:21], v[4:5], v[18:19]
	ds_read_b128 v[2:5], v33 offset:96
	ds_read_b128 v[14:17], v32 offset:3072
	v_add_f64 v[36:37], v[48:49], v[36:37]
	v_add_f64 v[40:41], v[40:41], v[46:47]
	;; [unrolled: 1-line block ×4, first 2 shown]
	ds_read_b128 v[18:21], v32 offset:3328
	ds_read_b128 v[22:25], v33 offset:112
	s_waitcnt lgkmcnt(2)
	v_mul_f64 v[26:27], v[4:5], v[16:17]
	v_fma_f64 v[26:27], v[2:3], v[14:15], -v[26:27]
	v_mul_f64 v[28:29], v[2:3], v[16:17]
	v_fmac_f64_e32 v[28:29], v[4:5], v[14:15]
	v_add_f64 v[50:51], v[34:35], v[26:27]
	s_waitcnt lgkmcnt(1)
	v_mul_f64 v[26:27], v[4:5], v[20:21]
	v_add_f64 v[52:53], v[36:37], v[28:29]
	v_fma_f64 v[34:35], v[2:3], v[18:19], -v[26:27]
	ds_read_b128 v[26:29], v33 offset:2144
	v_mul_f64 v[2:3], v[2:3], v[20:21]
	v_fmac_f64_e32 v[2:3], v[4:5], v[18:19]
	v_add_f64 v[40:41], v[40:41], v[34:35]
	v_add_f64 v[38:39], v[38:39], v[2:3]
	ds_read_b128 v[2:5], v33 offset:2160
	s_waitcnt lgkmcnt(1)
	v_mul_f64 v[34:35], v[28:29], v[16:17]
	v_mul_f64 v[16:17], v[26:27], v[16:17]
	v_fma_f64 v[34:35], v[26:27], v[14:15], -v[34:35]
	v_fmac_f64_e32 v[16:17], v[28:29], v[14:15]
	v_mul_f64 v[14:15], v[28:29], v[20:21]
	v_add_f64 v[42:43], v[42:43], v[34:35]
	v_add_f64 v[44:45], v[44:45], v[16:17]
	v_fma_f64 v[34:35], v[26:27], v[18:19], -v[14:15]
	ds_read_b128 v[14:17], v32 offset:3584
	v_add_f64 v[46:47], v[46:47], v[34:35]
	ds_read_b128 v[34:37], v32 offset:3840
	v_mul_f64 v[20:21], v[26:27], v[20:21]
	v_fmac_f64_e32 v[20:21], v[28:29], v[18:19]
	s_waitcnt lgkmcnt(1)
	v_mul_f64 v[18:19], v[24:25], v[16:17]
	v_fma_f64 v[18:19], v[22:23], v[14:15], -v[18:19]
	v_add_f64 v[48:49], v[48:49], v[20:21]
	v_mul_f64 v[20:21], v[22:23], v[16:17]
	v_add_f64 v[26:27], v[50:51], v[18:19]
	s_waitcnt lgkmcnt(0)
	v_mul_f64 v[18:19], v[24:25], v[36:37]
	v_fmac_f64_e32 v[20:21], v[24:25], v[14:15]
	v_fma_f64 v[18:19], v[22:23], v[34:35], -v[18:19]
	v_add_f64 v[28:29], v[52:53], v[20:21]
	v_mul_f64 v[20:21], v[22:23], v[36:37]
	v_add_f64 v[22:23], v[40:41], v[18:19]
	v_mul_f64 v[18:19], v[4:5], v[16:17]
	v_mul_f64 v[16:17], v[2:3], v[16:17]
	v_fma_f64 v[18:19], v[2:3], v[14:15], -v[18:19]
	v_fmac_f64_e32 v[16:17], v[4:5], v[14:15]
	v_mul_f64 v[14:15], v[4:5], v[36:37]
	v_mov_b32_e32 v1, s13
	v_add_co_u32_e32 v10, vcc, s12, v10
	v_fma_f64 v[14:15], v[2:3], v[34:35], -v[14:15]
	v_mul_f64 v[2:3], v[2:3], v[36:37]
	v_addc_co_u32_e32 v11, vcc, v11, v1, vcc
	v_fmac_f64_e32 v[20:21], v[24:25], v[34:35]
	v_fmac_f64_e32 v[2:3], v[4:5], v[34:35]
	s_add_u32 s28, s28, 8
	v_add_co_u32_e32 v12, vcc, 0x80, v12
	v_add_f64 v[24:25], v[38:39], v[20:21]
	v_add_f64 v[20:21], v[44:45], v[16:17]
	;; [unrolled: 1-line block ×4, first 2 shown]
	s_addc_u32 s29, s29, 0
	v_addc_co_u32_e32 v13, vcc, 0, v13, vcc
	v_pk_mov_b32 v[2:3], s[40:41], s[40:41] op_sel:[0,1]
	v_cmp_lt_i64_e32 vcc, s[28:29], v[2:3]
	v_add_f64 v[18:19], v[42:43], v[18:19]
	s_barrier
	s_cbranch_vccz .LBB289_9
.LBB289_3:                              ; =>This Inner Loop Header: Depth=1
	v_mov_b32_e32 v1, s29
	v_add_co_u32_e32 v2, vcc, s28, v6
	v_addc_co_u32_e32 v3, vcc, 0, v1, vcc
	v_cmp_le_i64_e32 vcc, s[40:41], v[2:3]
	s_or_b64 s[14:15], s[2:3], vcc
	s_and_saveexec_b64 s[16:17], s[14:15]
	s_xor_b64 s[14:15], exec, s[16:17]
	s_cbranch_execz .LBB289_5
; %bb.4:                                ;   in Loop: Header=BB289_3 Depth=1
	v_mov_b32_e32 v1, v0
	v_mov_b32_e32 v2, v0
	;; [unrolled: 1-line block ×3, first 2 shown]
	ds_write_b128 v30, v[0:3]
.LBB289_5:                              ;   in Loop: Header=BB289_3 Depth=1
	s_andn2_saveexec_b64 s[14:15], s[14:15]
	s_cbranch_execz .LBB289_7
; %bb.6:                                ;   in Loop: Header=BB289_3 Depth=1
	global_load_dwordx4 v[2:5], v[12:13], off
	s_waitcnt vmcnt(0)
	ds_write2_b64 v30, v[2:3], v[4:5] offset1:1
.LBB289_7:                              ;   in Loop: Header=BB289_3 Depth=1
	s_or_b64 exec, exec, s[14:15]
	v_mov_b32_e32 v1, s29
	v_add_co_u32_e32 v2, vcc, s28, v8
	v_addc_co_u32_e32 v3, vcc, 0, v1, vcc
	v_cmp_gt_i64_e32 vcc, s[40:41], v[2:3]
	v_pk_mov_b32 v[2:3], 0, 0
	s_and_b64 s[16:17], vcc, s[0:1]
	v_pk_mov_b32 v[4:5], v[2:3], v[2:3] op_sel:[0,1]
	s_and_saveexec_b64 s[14:15], s[16:17]
	s_cbranch_execz .LBB289_2
; %bb.8:                                ;   in Loop: Header=BB289_3 Depth=1
	global_load_dwordx4 v[2:5], v[10:11], off offset:-8
	s_waitcnt vmcnt(0)
	v_xor_b32_e32 v5, 0x80000000, v5
	s_branch .LBB289_2
.LBB289_9:
	s_lshl_b64 s[0:1], s[10:11], 4
	s_waitcnt lgkmcnt(0)
	s_add_u32 s14, s4, s0
	s_addc_u32 s15, s5, s1
	v_mov_b32_e32 v1, s23
	v_add_co_u32_e32 v0, vcc, s22, v9
	v_cmp_neq_f64_e64 s[0:1], s[18:19], 0
	v_cmp_neq_f64_e64 s[2:3], s[20:21], 0
	v_addc_co_u32_e32 v1, vcc, 0, v1, vcc
	s_or_b64 s[4:5], s[0:1], s[2:3]
	v_cmp_gt_i64_e64 s[0:1], s[38:39], v[0:1]
	s_mov_b64 s[2:3], -1
	s_and_b64 vcc, exec, s[4:5]
	s_cbranch_vccnz .LBB289_21
; %bb.10:
	s_and_saveexec_b64 s[10:11], s[0:1]
	s_cbranch_execz .LBB289_20
; %bb.11:
	v_mov_b32_e32 v2, s7
	v_add_co_u32_e32 v4, vcc, s6, v7
	v_addc_co_u32_e32 v5, vcc, 0, v2, vcc
	v_mul_lo_u32 v6, v1, s30
	v_mul_lo_u32 v8, v0, s31
	v_mad_u64_u32 v[2:3], s[2:3], v0, s30, 0
	v_add3_u32 v3, v3, v8, v6
	v_lshlrev_b64 v[2:3], 4, v[2:3]
	v_mov_b32_e32 v8, s15
	v_add_co_u32_e64 v6, s[2:3], s14, v2
	v_cmp_gt_i64_e32 vcc, s[36:37], v[4:5]
	v_addc_co_u32_e64 v8, s[2:3], v8, v3, s[2:3]
	v_lshlrev_b64 v[2:3], 4, v[4:5]
	s_and_saveexec_b64 s[4:5], vcc
	s_cbranch_execz .LBB289_13
; %bb.12:
	v_mul_f64 v[10:11], s[44:45], v[28:29]
	v_mul_f64 v[12:13], s[42:43], v[28:29]
	v_add_co_u32_e64 v30, s[2:3], v6, v2
	v_fma_f64 v[10:11], s[42:43], v[26:27], -v[10:11]
	v_fmac_f64_e32 v[12:13], s[44:45], v[26:27]
	v_addc_co_u32_e64 v31, s[2:3], v8, v3, s[2:3]
	global_store_dwordx4 v[30:31], v[10:13], off
.LBB289_13:
	s_or_b64 exec, exec, s[4:5]
	v_add_co_u32_e64 v4, s[2:3], 16, v4
	v_addc_co_u32_e64 v5, s[2:3], 0, v5, s[2:3]
	v_cmp_gt_i64_e64 s[2:3], s[36:37], v[4:5]
	s_and_saveexec_b64 s[12:13], s[2:3]
	s_cbranch_execz .LBB289_15
; %bb.14:
	v_mul_f64 v[4:5], s[44:45], v[24:25]
	v_fma_f64 v[10:11], s[42:43], v[22:23], -v[4:5]
	v_mul_f64 v[12:13], s[42:43], v[24:25]
	v_add_co_u32_e64 v4, s[4:5], v6, v2
	v_fmac_f64_e32 v[12:13], s[44:45], v[22:23]
	v_addc_co_u32_e64 v5, s[4:5], v8, v3, s[4:5]
	global_store_dwordx4 v[4:5], v[10:13], off offset:256
.LBB289_15:
	s_or_b64 exec, exec, s[12:13]
	v_add_co_u32_e64 v4, s[4:5], 16, v0
	v_addc_co_u32_e64 v5, s[4:5], 0, v1, s[4:5]
	v_cmp_gt_i64_e64 s[4:5], s[38:39], v[4:5]
	s_and_b64 exec, exec, s[4:5]
	s_cbranch_execz .LBB289_20
; %bb.16:
	s_lshl_b64 s[4:5], s[30:31], 8
	v_mov_b32_e32 v4, s5
	v_add_co_u32_e64 v5, s[4:5], s4, v6
	v_addc_co_u32_e64 v4, s[4:5], v8, v4, s[4:5]
	v_add_co_u32_e64 v2, s[4:5], v5, v2
	v_addc_co_u32_e64 v3, s[4:5], v4, v3, s[4:5]
	s_and_saveexec_b64 s[4:5], vcc
	s_cbranch_execz .LBB289_18
; %bb.17:
	v_mul_f64 v[4:5], s[44:45], v[20:21]
	v_mul_f64 v[10:11], s[42:43], v[20:21]
	v_fma_f64 v[8:9], s[42:43], v[18:19], -v[4:5]
	v_fmac_f64_e32 v[10:11], s[44:45], v[18:19]
	global_store_dwordx4 v[2:3], v[8:11], off
.LBB289_18:
	s_or_b64 exec, exec, s[4:5]
	s_and_b64 exec, exec, s[2:3]
	s_cbranch_execz .LBB289_20
; %bb.19:
	v_mul_f64 v[4:5], s[44:45], v[14:15]
	v_mul_f64 v[10:11], s[42:43], v[14:15]
	v_fma_f64 v[8:9], s[42:43], v[16:17], -v[4:5]
	v_fmac_f64_e32 v[10:11], s[44:45], v[16:17]
	global_store_dwordx4 v[2:3], v[8:11], off offset:256
.LBB289_20:
	s_or_b64 exec, exec, s[10:11]
	s_mov_b64 s[2:3], 0
.LBB289_21:
	s_andn2_b64 vcc, exec, s[2:3]
	s_cbranch_vccnz .LBB289_32
; %bb.22:
	s_and_saveexec_b64 s[2:3], s[0:1]
	s_cbranch_execz .LBB289_32
; %bb.23:
	s_lshl_b64 s[0:1], s[26:27], 4
	s_add_u32 s2, s8, s0
	v_mov_b32_e32 v2, s7
	v_add_co_u32_e32 v4, vcc, s6, v7
	s_addc_u32 s3, s9, s1
	v_addc_co_u32_e32 v5, vcc, 0, v2, vcc
	v_mul_lo_u32 v6, v1, s24
	v_mul_lo_u32 v7, v0, s25
	v_mad_u64_u32 v[2:3], s[0:1], v0, s24, 0
	v_add3_u32 v3, v3, v7, v6
	v_mul_lo_u32 v6, v1, s30
	v_mul_lo_u32 v7, v0, s31
	v_mad_u64_u32 v[8:9], s[0:1], v0, s30, 0
	v_lshlrev_b64 v[2:3], 4, v[2:3]
	v_add3_u32 v9, v9, v7, v6
	v_mov_b32_e32 v7, s3
	v_add_co_u32_e64 v6, s[0:1], s2, v2
	v_addc_co_u32_e64 v7, s[0:1], v7, v3, s[0:1]
	v_lshlrev_b64 v[2:3], 4, v[8:9]
	v_mov_b32_e32 v9, s15
	v_add_co_u32_e64 v8, s[0:1], s14, v2
	v_cmp_gt_i64_e32 vcc, s[36:37], v[4:5]
	v_addc_co_u32_e64 v9, s[0:1], v9, v3, s[0:1]
	v_lshlrev_b64 v[2:3], 4, v[4:5]
	s_and_saveexec_b64 s[2:3], vcc
	s_cbranch_execz .LBB289_25
; %bb.24:
	v_add_co_u32_e64 v10, s[0:1], v6, v2
	v_addc_co_u32_e64 v11, s[0:1], v7, v3, s[0:1]
	global_load_dwordx4 v[10:13], v[10:11], off
	v_mul_f64 v[30:31], s[44:45], v[28:29]
	v_mul_f64 v[28:29], s[42:43], v[28:29]
	v_fma_f64 v[30:31], s[42:43], v[26:27], -v[30:31]
	v_fmac_f64_e32 v[28:29], s[44:45], v[26:27]
	s_waitcnt vmcnt(0)
	v_mul_f64 v[26:27], s[20:21], v[12:13]
	v_mul_f64 v[12:13], s[18:19], v[12:13]
	v_fma_f64 v[26:27], s[18:19], v[10:11], -v[26:27]
	v_fmac_f64_e32 v[12:13], s[20:21], v[10:11]
	v_add_f64 v[10:11], v[30:31], v[26:27]
	v_add_co_u32_e64 v26, s[0:1], v8, v2
	v_add_f64 v[12:13], v[28:29], v[12:13]
	v_addc_co_u32_e64 v27, s[0:1], v9, v3, s[0:1]
	global_store_dwordx4 v[26:27], v[10:13], off
.LBB289_25:
	s_or_b64 exec, exec, s[2:3]
	v_add_co_u32_e64 v4, s[0:1], 16, v4
	v_addc_co_u32_e64 v5, s[0:1], 0, v5, s[0:1]
	v_cmp_gt_i64_e64 s[0:1], s[36:37], v[4:5]
	s_and_saveexec_b64 s[4:5], s[0:1]
	s_cbranch_execz .LBB289_27
; %bb.26:
	v_add_co_u32_e64 v4, s[2:3], v6, v2
	v_addc_co_u32_e64 v5, s[2:3], v7, v3, s[2:3]
	global_load_dwordx4 v[10:13], v[4:5], off offset:256
	v_mul_f64 v[4:5], s[44:45], v[24:25]
	v_mul_f64 v[24:25], s[42:43], v[24:25]
	v_fma_f64 v[4:5], s[42:43], v[22:23], -v[4:5]
	v_fmac_f64_e32 v[24:25], s[44:45], v[22:23]
	s_waitcnt vmcnt(0)
	v_mul_f64 v[22:23], s[20:21], v[12:13]
	v_mul_f64 v[12:13], s[18:19], v[12:13]
	v_fma_f64 v[22:23], s[18:19], v[10:11], -v[22:23]
	v_fmac_f64_e32 v[12:13], s[20:21], v[10:11]
	v_add_f64 v[10:11], v[4:5], v[22:23]
	v_add_co_u32_e64 v4, s[2:3], v8, v2
	v_add_f64 v[12:13], v[24:25], v[12:13]
	v_addc_co_u32_e64 v5, s[2:3], v9, v3, s[2:3]
	global_store_dwordx4 v[4:5], v[10:13], off offset:256
.LBB289_27:
	s_or_b64 exec, exec, s[4:5]
	v_add_co_u32_e64 v0, s[2:3], 16, v0
	v_addc_co_u32_e64 v1, s[2:3], 0, v1, s[2:3]
	v_cmp_gt_i64_e64 s[2:3], s[38:39], v[0:1]
	s_and_b64 exec, exec, s[2:3]
	s_cbranch_execz .LBB289_32
; %bb.28:
	s_lshl_b64 s[2:3], s[24:25], 8
	v_mov_b32_e32 v0, s3
	v_add_co_u32_e64 v1, s[2:3], s2, v6
	v_addc_co_u32_e64 v0, s[2:3], v7, v0, s[2:3]
	s_lshl_b64 s[2:3], s[30:31], 8
	v_mov_b32_e32 v4, s3
	v_add_co_u32_e64 v6, s[2:3], s2, v8
	v_addc_co_u32_e64 v7, s[2:3], v9, v4, s[2:3]
	v_add_co_u32_e64 v4, s[2:3], v1, v2
	v_addc_co_u32_e64 v5, s[2:3], v0, v3, s[2:3]
	;; [unrolled: 2-line block ×3, first 2 shown]
	s_and_saveexec_b64 s[2:3], vcc
	s_cbranch_execz .LBB289_30
; %bb.29:
	global_load_dwordx4 v[6:9], v[4:5], off
	v_mul_f64 v[2:3], s[44:45], v[20:21]
	v_mul_f64 v[10:11], s[42:43], v[20:21]
	v_fma_f64 v[2:3], s[42:43], v[18:19], -v[2:3]
	v_fmac_f64_e32 v[10:11], s[44:45], v[18:19]
	s_waitcnt vmcnt(0)
	v_mul_f64 v[12:13], s[20:21], v[8:9]
	v_mul_f64 v[8:9], s[18:19], v[8:9]
	v_fma_f64 v[12:13], s[18:19], v[6:7], -v[12:13]
	v_fmac_f64_e32 v[8:9], s[20:21], v[6:7]
	v_add_f64 v[6:7], v[2:3], v[12:13]
	v_add_f64 v[8:9], v[10:11], v[8:9]
	global_store_dwordx4 v[0:1], v[6:9], off
.LBB289_30:
	s_or_b64 exec, exec, s[2:3]
	s_and_b64 exec, exec, s[0:1]
	s_cbranch_execz .LBB289_32
; %bb.31:
	global_load_dwordx4 v[2:5], v[4:5], off offset:256
	v_mul_f64 v[6:7], s[44:45], v[14:15]
	v_mul_f64 v[8:9], s[42:43], v[14:15]
	v_fma_f64 v[6:7], s[42:43], v[16:17], -v[6:7]
	v_fmac_f64_e32 v[8:9], s[44:45], v[16:17]
	s_waitcnt vmcnt(0)
	v_mul_f64 v[10:11], s[20:21], v[4:5]
	v_mul_f64 v[4:5], s[18:19], v[4:5]
	v_fma_f64 v[10:11], s[18:19], v[2:3], -v[10:11]
	v_fmac_f64_e32 v[4:5], s[20:21], v[2:3]
	v_add_f64 v[2:3], v[6:7], v[10:11]
	v_add_f64 v[4:5], v[8:9], v[4:5]
	global_store_dwordx4 v[0:1], v[2:5], off offset:256
.LBB289_32:
	s_endpgm
	.section	.rodata,"a",@progbits
	.p2align	6, 0x0
	.amdhsa_kernel _ZN12_GLOBAL__N_135rocblas_gemm_batched_general_kernelI19rocblas_complex_numIdELi16ELi16ELi32ELi32ELi8ELi32ELi8ELi8ELi32ELc84ELc67EKPKS2_S5_KPS2_EEvlllT_PT11_llSA_llS8_PT12_llPT13_lli
		.amdhsa_group_segment_fixed_size 8192
		.amdhsa_private_segment_fixed_size 0
		.amdhsa_kernarg_size 156
		.amdhsa_user_sgpr_count 6
		.amdhsa_user_sgpr_private_segment_buffer 1
		.amdhsa_user_sgpr_dispatch_ptr 0
		.amdhsa_user_sgpr_queue_ptr 0
		.amdhsa_user_sgpr_kernarg_segment_ptr 1
		.amdhsa_user_sgpr_dispatch_id 0
		.amdhsa_user_sgpr_flat_scratch_init 0
		.amdhsa_user_sgpr_kernarg_preload_length 0
		.amdhsa_user_sgpr_kernarg_preload_offset 0
		.amdhsa_user_sgpr_private_segment_size 0
		.amdhsa_uses_dynamic_stack 0
		.amdhsa_system_sgpr_private_segment_wavefront_offset 0
		.amdhsa_system_sgpr_workgroup_id_x 1
		.amdhsa_system_sgpr_workgroup_id_y 1
		.amdhsa_system_sgpr_workgroup_id_z 1
		.amdhsa_system_sgpr_workgroup_info 0
		.amdhsa_system_vgpr_workitem_id 1
		.amdhsa_next_free_vgpr 60
		.amdhsa_next_free_sgpr 52
		.amdhsa_accum_offset 60
		.amdhsa_reserve_vcc 1
		.amdhsa_reserve_flat_scratch 0
		.amdhsa_float_round_mode_32 0
		.amdhsa_float_round_mode_16_64 0
		.amdhsa_float_denorm_mode_32 3
		.amdhsa_float_denorm_mode_16_64 3
		.amdhsa_dx10_clamp 1
		.amdhsa_ieee_mode 1
		.amdhsa_fp16_overflow 0
		.amdhsa_tg_split 0
		.amdhsa_exception_fp_ieee_invalid_op 0
		.amdhsa_exception_fp_denorm_src 0
		.amdhsa_exception_fp_ieee_div_zero 0
		.amdhsa_exception_fp_ieee_overflow 0
		.amdhsa_exception_fp_ieee_underflow 0
		.amdhsa_exception_fp_ieee_inexact 0
		.amdhsa_exception_int_div_zero 0
	.end_amdhsa_kernel
	.section	.text._ZN12_GLOBAL__N_135rocblas_gemm_batched_general_kernelI19rocblas_complex_numIdELi16ELi16ELi32ELi32ELi8ELi32ELi8ELi8ELi32ELc84ELc67EKPKS2_S5_KPS2_EEvlllT_PT11_llSA_llS8_PT12_llPT13_lli,"axG",@progbits,_ZN12_GLOBAL__N_135rocblas_gemm_batched_general_kernelI19rocblas_complex_numIdELi16ELi16ELi32ELi32ELi8ELi32ELi8ELi8ELi32ELc84ELc67EKPKS2_S5_KPS2_EEvlllT_PT11_llSA_llS8_PT12_llPT13_lli,comdat
.Lfunc_end289:
	.size	_ZN12_GLOBAL__N_135rocblas_gemm_batched_general_kernelI19rocblas_complex_numIdELi16ELi16ELi32ELi32ELi8ELi32ELi8ELi8ELi32ELc84ELc67EKPKS2_S5_KPS2_EEvlllT_PT11_llSA_llS8_PT12_llPT13_lli, .Lfunc_end289-_ZN12_GLOBAL__N_135rocblas_gemm_batched_general_kernelI19rocblas_complex_numIdELi16ELi16ELi32ELi32ELi8ELi32ELi8ELi8ELi32ELc84ELc67EKPKS2_S5_KPS2_EEvlllT_PT11_llSA_llS8_PT12_llPT13_lli
                                        ; -- End function
	.section	.AMDGPU.csdata,"",@progbits
; Kernel info:
; codeLenInByte = 3916
; NumSgprs: 56
; NumVgprs: 60
; NumAgprs: 0
; TotalNumVgprs: 60
; ScratchSize: 0
; MemoryBound: 1
; FloatMode: 240
; IeeeMode: 1
; LDSByteSize: 8192 bytes/workgroup (compile time only)
; SGPRBlocks: 6
; VGPRBlocks: 7
; NumSGPRsForWavesPerEU: 56
; NumVGPRsForWavesPerEU: 60
; AccumOffset: 60
; Occupancy: 8
; WaveLimiterHint : 1
; COMPUTE_PGM_RSRC2:SCRATCH_EN: 0
; COMPUTE_PGM_RSRC2:USER_SGPR: 6
; COMPUTE_PGM_RSRC2:TRAP_HANDLER: 0
; COMPUTE_PGM_RSRC2:TGID_X_EN: 1
; COMPUTE_PGM_RSRC2:TGID_Y_EN: 1
; COMPUTE_PGM_RSRC2:TGID_Z_EN: 1
; COMPUTE_PGM_RSRC2:TIDIG_COMP_CNT: 1
; COMPUTE_PGM_RSRC3_GFX90A:ACCUM_OFFSET: 14
; COMPUTE_PGM_RSRC3_GFX90A:TG_SPLIT: 0
	.text
	.p2alignl 6, 3212836864
	.fill 256, 4, 3212836864
	.type	__hip_cuid_3e3a064b18b744bc,@object ; @__hip_cuid_3e3a064b18b744bc
	.section	.bss,"aw",@nobits
	.globl	__hip_cuid_3e3a064b18b744bc
__hip_cuid_3e3a064b18b744bc:
	.byte	0                               ; 0x0
	.size	__hip_cuid_3e3a064b18b744bc, 1

	.ident	"AMD clang version 19.0.0git (https://github.com/RadeonOpenCompute/llvm-project roc-6.4.0 25133 c7fe45cf4b819c5991fe208aaa96edf142730f1d)"
	.section	".note.GNU-stack","",@progbits
	.addrsig
	.addrsig_sym __hip_cuid_3e3a064b18b744bc
	.amdgpu_metadata
---
amdhsa.kernels:
  - .agpr_count:     0
    .args:
      - .offset:         0
        .size:           4
        .value_kind:     by_value
      - .offset:         4
        .size:           4
        .value_kind:     by_value
      - .offset:         8
        .size:           2
        .value_kind:     by_value
      - .address_space:  global
        .offset:         16
        .size:           8
        .value_kind:     global_buffer
      - .offset:         24
        .size:           8
        .value_kind:     by_value
      - .offset:         32
        .size:           8
        .value_kind:     by_value
      - .offset:         40
        .size:           8
        .value_kind:     by_value
      - .offset:         48
        .size:           4
        .value_kind:     by_value
    .group_segment_fixed_size: 0
    .kernarg_segment_align: 8
    .kernarg_segment_size: 52
    .language:       OpenCL C
    .language_version:
      - 2
      - 0
    .max_flat_workgroup_size: 1024
    .name:           _ZN12_GLOBAL__N_125rocblas_gemm_scale_kernelILi32ELi32EDF16_PDF16_EEviiT1_T2_llli
    .private_segment_fixed_size: 0
    .sgpr_count:     24
    .sgpr_spill_count: 0
    .symbol:         _ZN12_GLOBAL__N_125rocblas_gemm_scale_kernelILi32ELi32EDF16_PDF16_EEviiT1_T2_llli.kd
    .uniform_work_group_size: 1
    .uses_dynamic_stack: false
    .vgpr_count:     10
    .vgpr_spill_count: 0
    .wavefront_size: 64
  - .agpr_count:     0
    .args:
      - .offset:         0
        .size:           4
        .value_kind:     by_value
      - .offset:         4
        .size:           4
        .value_kind:     by_value
      - .offset:         8
        .size:           2
        .value_kind:     by_value
      - .address_space:  global
        .offset:         16
        .size:           8
        .value_kind:     global_buffer
      - .offset:         24
        .size:           8
        .value_kind:     by_value
      - .offset:         32
        .size:           8
        .value_kind:     by_value
      - .offset:         40
        .size:           8
        .value_kind:     by_value
      - .address_space:  global
        .offset:         48
        .size:           8
        .value_kind:     global_buffer
      - .offset:         56
        .size:           8
        .value_kind:     by_value
      - .offset:         64
        .size:           8
        .value_kind:     by_value
      - .offset:         72
        .size:           8
        .value_kind:     by_value
      - .offset:         80
        .size:           4
        .value_kind:     by_value
    .group_segment_fixed_size: 0
    .kernarg_segment_align: 8
    .kernarg_segment_size: 84
    .language:       OpenCL C
    .language_version:
      - 2
      - 0
    .max_flat_workgroup_size: 1024
    .name:           _ZN12_GLOBAL__N_120gemm_ex_scale_kernelILi32ELi32EDF16_PKDF16_PDF16_EEviiT1_T2_lllT3_llli
    .private_segment_fixed_size: 0
    .sgpr_count:     32
    .sgpr_spill_count: 0
    .symbol:         _ZN12_GLOBAL__N_120gemm_ex_scale_kernelILi32ELi32EDF16_PKDF16_PDF16_EEviiT1_T2_lllT3_llli.kd
    .uniform_work_group_size: 1
    .uses_dynamic_stack: false
    .vgpr_count:     8
    .vgpr_spill_count: 0
    .wavefront_size: 64
  - .agpr_count:     0
    .args:
      - .offset:         0
        .size:           8
        .value_kind:     by_value
      - .offset:         8
        .size:           8
        .value_kind:     by_value
      - .offset:         16
        .size:           8
        .value_kind:     by_value
      - .offset:         24
        .size:           2
        .value_kind:     by_value
      - .address_space:  global
        .offset:         32
        .size:           8
        .value_kind:     global_buffer
      - .offset:         40
        .size:           8
        .value_kind:     by_value
      - .offset:         48
        .size:           8
        .value_kind:     by_value
      - .address_space:  global
        .offset:         56
        .size:           8
        .value_kind:     global_buffer
      - .offset:         64
        .size:           8
        .value_kind:     by_value
      - .offset:         72
        .size:           8
        .value_kind:     by_value
      - .offset:         80
        .size:           2
        .value_kind:     by_value
      - .address_space:  global
        .offset:         88
        .size:           8
        .value_kind:     global_buffer
      - .offset:         96
        .size:           8
        .value_kind:     by_value
      - .offset:         104
        .size:           8
        .value_kind:     by_value
      - .address_space:  global
        .offset:         112
        .size:           8
        .value_kind:     global_buffer
      - .offset:         120
        .size:           8
        .value_kind:     by_value
      - .offset:         128
        .size:           8
        .value_kind:     by_value
      - .offset:         136
        .size:           4
        .value_kind:     by_value
    .group_segment_fixed_size: 1024
    .kernarg_segment_align: 8
    .kernarg_segment_size: 140
    .language:       OpenCL C
    .language_version:
      - 2
      - 0
    .max_flat_workgroup_size: 256
    .name:           _ZN12_GLOBAL__N_127rocblas_gemm_batched_kernelIDF16_Li16ELi16ELi64ELi64ELi4ELi64ELi4ELi4ELi64ELc78ELc78EKDF16_S1_DF16_EEvlllT_PT11_llS4_llS2_PT12_llPT13_lli
    .private_segment_fixed_size: 0
    .sgpr_count:     26
    .sgpr_spill_count: 0
    .symbol:         _ZN12_GLOBAL__N_127rocblas_gemm_batched_kernelIDF16_Li16ELi16ELi64ELi64ELi4ELi64ELi4ELi4ELi64ELc78ELc78EKDF16_S1_DF16_EEvlllT_PT11_llS4_llS2_PT12_llPT13_lli.kd
    .uniform_work_group_size: 1
    .uses_dynamic_stack: false
    .vgpr_count:     58
    .vgpr_spill_count: 0
    .wavefront_size: 64
  - .agpr_count:     0
    .args:
      - .offset:         0
        .size:           8
        .value_kind:     by_value
      - .offset:         8
        .size:           8
        .value_kind:     by_value
      - .offset:         16
        .size:           8
        .value_kind:     by_value
      - .offset:         24
        .size:           2
        .value_kind:     by_value
      - .address_space:  global
        .offset:         32
        .size:           8
        .value_kind:     global_buffer
      - .offset:         40
        .size:           8
        .value_kind:     by_value
      - .offset:         48
        .size:           8
        .value_kind:     by_value
      - .address_space:  global
        .offset:         56
        .size:           8
        .value_kind:     global_buffer
      - .offset:         64
        .size:           8
        .value_kind:     by_value
      - .offset:         72
        .size:           8
        .value_kind:     by_value
      - .offset:         80
        .size:           2
        .value_kind:     by_value
      - .address_space:  global
        .offset:         88
        .size:           8
        .value_kind:     global_buffer
      - .offset:         96
        .size:           8
        .value_kind:     by_value
      - .offset:         104
        .size:           8
        .value_kind:     by_value
      - .address_space:  global
        .offset:         112
        .size:           8
        .value_kind:     global_buffer
      - .offset:         120
        .size:           8
        .value_kind:     by_value
      - .offset:         128
        .size:           8
        .value_kind:     by_value
      - .offset:         136
        .size:           4
        .value_kind:     by_value
    .group_segment_fixed_size: 1024
    .kernarg_segment_align: 8
    .kernarg_segment_size: 140
    .language:       OpenCL C
    .language_version:
      - 2
      - 0
    .max_flat_workgroup_size: 256
    .name:           _ZN12_GLOBAL__N_127rocblas_gemm_batched_kernelIDF16_Li16ELi16ELi64ELi64ELi4ELi64ELi4ELi4ELi64ELc84ELc78EKDF16_S1_DF16_EEvlllT_PT11_llS4_llS2_PT12_llPT13_lli
    .private_segment_fixed_size: 0
    .sgpr_count:     28
    .sgpr_spill_count: 0
    .symbol:         _ZN12_GLOBAL__N_127rocblas_gemm_batched_kernelIDF16_Li16ELi16ELi64ELi64ELi4ELi64ELi4ELi4ELi64ELc84ELc78EKDF16_S1_DF16_EEvlllT_PT11_llS4_llS2_PT12_llPT13_lli.kd
    .uniform_work_group_size: 1
    .uses_dynamic_stack: false
    .vgpr_count:     57
    .vgpr_spill_count: 0
    .wavefront_size: 64
  - .agpr_count:     0
    .args:
      - .offset:         0
        .size:           8
        .value_kind:     by_value
      - .offset:         8
        .size:           8
        .value_kind:     by_value
      - .offset:         16
        .size:           8
        .value_kind:     by_value
      - .offset:         24
        .size:           2
        .value_kind:     by_value
      - .address_space:  global
        .offset:         32
        .size:           8
        .value_kind:     global_buffer
      - .offset:         40
        .size:           8
        .value_kind:     by_value
      - .offset:         48
        .size:           8
        .value_kind:     by_value
      - .address_space:  global
        .offset:         56
        .size:           8
        .value_kind:     global_buffer
      - .offset:         64
        .size:           8
        .value_kind:     by_value
      - .offset:         72
        .size:           8
        .value_kind:     by_value
      - .offset:         80
        .size:           2
        .value_kind:     by_value
      - .address_space:  global
        .offset:         88
        .size:           8
        .value_kind:     global_buffer
      - .offset:         96
        .size:           8
        .value_kind:     by_value
      - .offset:         104
        .size:           8
        .value_kind:     by_value
      - .address_space:  global
        .offset:         112
        .size:           8
        .value_kind:     global_buffer
      - .offset:         120
        .size:           8
        .value_kind:     by_value
      - .offset:         128
        .size:           8
        .value_kind:     by_value
      - .offset:         136
        .size:           4
        .value_kind:     by_value
    .group_segment_fixed_size: 1024
    .kernarg_segment_align: 8
    .kernarg_segment_size: 140
    .language:       OpenCL C
    .language_version:
      - 2
      - 0
    .max_flat_workgroup_size: 256
    .name:           _ZN12_GLOBAL__N_127rocblas_gemm_batched_kernelIDF16_Li16ELi16ELi64ELi64ELi4ELi64ELi4ELi4ELi64ELc78ELc84EKDF16_S1_DF16_EEvlllT_PT11_llS4_llS2_PT12_llPT13_lli
    .private_segment_fixed_size: 0
    .sgpr_count:     28
    .sgpr_spill_count: 0
    .symbol:         _ZN12_GLOBAL__N_127rocblas_gemm_batched_kernelIDF16_Li16ELi16ELi64ELi64ELi4ELi64ELi4ELi4ELi64ELc78ELc84EKDF16_S1_DF16_EEvlllT_PT11_llS4_llS2_PT12_llPT13_lli.kd
    .uniform_work_group_size: 1
    .uses_dynamic_stack: false
    .vgpr_count:     58
    .vgpr_spill_count: 0
    .wavefront_size: 64
  - .agpr_count:     0
    .args:
      - .offset:         0
        .size:           8
        .value_kind:     by_value
      - .offset:         8
        .size:           8
        .value_kind:     by_value
      - .offset:         16
        .size:           8
        .value_kind:     by_value
      - .offset:         24
        .size:           2
        .value_kind:     by_value
      - .address_space:  global
        .offset:         32
        .size:           8
        .value_kind:     global_buffer
      - .offset:         40
        .size:           8
        .value_kind:     by_value
      - .offset:         48
        .size:           8
        .value_kind:     by_value
      - .address_space:  global
        .offset:         56
        .size:           8
        .value_kind:     global_buffer
      - .offset:         64
        .size:           8
        .value_kind:     by_value
      - .offset:         72
        .size:           8
        .value_kind:     by_value
      - .offset:         80
        .size:           2
        .value_kind:     by_value
      - .address_space:  global
        .offset:         88
        .size:           8
        .value_kind:     global_buffer
      - .offset:         96
        .size:           8
        .value_kind:     by_value
      - .offset:         104
        .size:           8
        .value_kind:     by_value
      - .address_space:  global
        .offset:         112
        .size:           8
        .value_kind:     global_buffer
      - .offset:         120
        .size:           8
        .value_kind:     by_value
      - .offset:         128
        .size:           8
        .value_kind:     by_value
      - .offset:         136
        .size:           4
        .value_kind:     by_value
    .group_segment_fixed_size: 1024
    .kernarg_segment_align: 8
    .kernarg_segment_size: 140
    .language:       OpenCL C
    .language_version:
      - 2
      - 0
    .max_flat_workgroup_size: 256
    .name:           _ZN12_GLOBAL__N_127rocblas_gemm_batched_kernelIDF16_Li16ELi16ELi64ELi64ELi4ELi64ELi4ELi4ELi64ELc84ELc84EKDF16_S1_DF16_EEvlllT_PT11_llS4_llS2_PT12_llPT13_lli
    .private_segment_fixed_size: 0
    .sgpr_count:     28
    .sgpr_spill_count: 0
    .symbol:         _ZN12_GLOBAL__N_127rocblas_gemm_batched_kernelIDF16_Li16ELi16ELi64ELi64ELi4ELi64ELi4ELi4ELi64ELc84ELc84EKDF16_S1_DF16_EEvlllT_PT11_llS4_llS2_PT12_llPT13_lli.kd
    .uniform_work_group_size: 1
    .uses_dynamic_stack: false
    .vgpr_count:     58
    .vgpr_spill_count: 0
    .wavefront_size: 64
  - .agpr_count:     0
    .args:
      - .offset:         0
        .size:           8
        .value_kind:     by_value
      - .offset:         8
        .size:           8
        .value_kind:     by_value
      - .offset:         16
        .size:           8
        .value_kind:     by_value
      - .offset:         24
        .size:           2
        .value_kind:     by_value
      - .address_space:  global
        .offset:         32
        .size:           8
        .value_kind:     global_buffer
      - .offset:         40
        .size:           8
        .value_kind:     by_value
      - .offset:         48
        .size:           8
        .value_kind:     by_value
      - .address_space:  global
        .offset:         56
        .size:           8
        .value_kind:     global_buffer
      - .offset:         64
        .size:           8
        .value_kind:     by_value
      - .offset:         72
        .size:           8
        .value_kind:     by_value
      - .offset:         80
        .size:           2
        .value_kind:     by_value
      - .address_space:  global
        .offset:         88
        .size:           8
        .value_kind:     global_buffer
      - .offset:         96
        .size:           8
        .value_kind:     by_value
      - .offset:         104
        .size:           8
        .value_kind:     by_value
      - .address_space:  global
        .offset:         112
        .size:           8
        .value_kind:     global_buffer
      - .offset:         120
        .size:           8
        .value_kind:     by_value
      - .offset:         128
        .size:           8
        .value_kind:     by_value
      - .offset:         136
        .size:           4
        .value_kind:     by_value
    .group_segment_fixed_size: 1024
    .kernarg_segment_align: 8
    .kernarg_segment_size: 140
    .language:       OpenCL C
    .language_version:
      - 2
      - 0
    .max_flat_workgroup_size: 256
    .name:           _ZN12_GLOBAL__N_127rocblas_gemm_batched_kernelIDF16_Li16ELi16ELi64ELi64ELi4ELi64ELi4ELi4ELi64ELc67ELc67EKDF16_S1_DF16_EEvlllT_PT11_llS4_llS2_PT12_llPT13_lli
    .private_segment_fixed_size: 0
    .sgpr_count:     28
    .sgpr_spill_count: 0
    .symbol:         _ZN12_GLOBAL__N_127rocblas_gemm_batched_kernelIDF16_Li16ELi16ELi64ELi64ELi4ELi64ELi4ELi4ELi64ELc67ELc67EKDF16_S1_DF16_EEvlllT_PT11_llS4_llS2_PT12_llPT13_lli.kd
    .uniform_work_group_size: 1
    .uses_dynamic_stack: false
    .vgpr_count:     58
    .vgpr_spill_count: 0
    .wavefront_size: 64
  - .agpr_count:     0
    .args:
      - .offset:         0
        .size:           8
        .value_kind:     by_value
      - .offset:         8
        .size:           8
        .value_kind:     by_value
      - .offset:         16
        .size:           8
        .value_kind:     by_value
      - .offset:         24
        .size:           2
        .value_kind:     by_value
      - .address_space:  global
        .offset:         32
        .size:           8
        .value_kind:     global_buffer
      - .offset:         40
        .size:           8
        .value_kind:     by_value
      - .offset:         48
        .size:           8
        .value_kind:     by_value
      - .address_space:  global
        .offset:         56
        .size:           8
        .value_kind:     global_buffer
      - .offset:         64
        .size:           8
        .value_kind:     by_value
      - .offset:         72
        .size:           8
        .value_kind:     by_value
      - .offset:         80
        .size:           2
        .value_kind:     by_value
      - .address_space:  global
        .offset:         88
        .size:           8
        .value_kind:     global_buffer
      - .offset:         96
        .size:           8
        .value_kind:     by_value
      - .offset:         104
        .size:           8
        .value_kind:     by_value
      - .address_space:  global
        .offset:         112
        .size:           8
        .value_kind:     global_buffer
      - .offset:         120
        .size:           8
        .value_kind:     by_value
      - .offset:         128
        .size:           8
        .value_kind:     by_value
      - .offset:         136
        .size:           4
        .value_kind:     by_value
    .group_segment_fixed_size: 1024
    .kernarg_segment_align: 8
    .kernarg_segment_size: 140
    .language:       OpenCL C
    .language_version:
      - 2
      - 0
    .max_flat_workgroup_size: 256
    .name:           _ZN12_GLOBAL__N_127rocblas_gemm_batched_kernelIDF16_Li16ELi16ELi64ELi64ELi4ELi64ELi4ELi4ELi64ELc67ELc78EKDF16_S1_DF16_EEvlllT_PT11_llS4_llS2_PT12_llPT13_lli
    .private_segment_fixed_size: 0
    .sgpr_count:     28
    .sgpr_spill_count: 0
    .symbol:         _ZN12_GLOBAL__N_127rocblas_gemm_batched_kernelIDF16_Li16ELi16ELi64ELi64ELi4ELi64ELi4ELi4ELi64ELc67ELc78EKDF16_S1_DF16_EEvlllT_PT11_llS4_llS2_PT12_llPT13_lli.kd
    .uniform_work_group_size: 1
    .uses_dynamic_stack: false
    .vgpr_count:     57
    .vgpr_spill_count: 0
    .wavefront_size: 64
  - .agpr_count:     0
    .args:
      - .offset:         0
        .size:           8
        .value_kind:     by_value
      - .offset:         8
        .size:           8
        .value_kind:     by_value
      - .offset:         16
        .size:           8
        .value_kind:     by_value
      - .offset:         24
        .size:           2
        .value_kind:     by_value
      - .address_space:  global
        .offset:         32
        .size:           8
        .value_kind:     global_buffer
      - .offset:         40
        .size:           8
        .value_kind:     by_value
      - .offset:         48
        .size:           8
        .value_kind:     by_value
      - .address_space:  global
        .offset:         56
        .size:           8
        .value_kind:     global_buffer
      - .offset:         64
        .size:           8
        .value_kind:     by_value
      - .offset:         72
        .size:           8
        .value_kind:     by_value
      - .offset:         80
        .size:           2
        .value_kind:     by_value
      - .address_space:  global
        .offset:         88
        .size:           8
        .value_kind:     global_buffer
      - .offset:         96
        .size:           8
        .value_kind:     by_value
      - .offset:         104
        .size:           8
        .value_kind:     by_value
      - .address_space:  global
        .offset:         112
        .size:           8
        .value_kind:     global_buffer
      - .offset:         120
        .size:           8
        .value_kind:     by_value
      - .offset:         128
        .size:           8
        .value_kind:     by_value
      - .offset:         136
        .size:           4
        .value_kind:     by_value
    .group_segment_fixed_size: 1024
    .kernarg_segment_align: 8
    .kernarg_segment_size: 140
    .language:       OpenCL C
    .language_version:
      - 2
      - 0
    .max_flat_workgroup_size: 256
    .name:           _ZN12_GLOBAL__N_127rocblas_gemm_batched_kernelIDF16_Li16ELi16ELi64ELi64ELi4ELi64ELi4ELi4ELi64ELc67ELc84EKDF16_S1_DF16_EEvlllT_PT11_llS4_llS2_PT12_llPT13_lli
    .private_segment_fixed_size: 0
    .sgpr_count:     28
    .sgpr_spill_count: 0
    .symbol:         _ZN12_GLOBAL__N_127rocblas_gemm_batched_kernelIDF16_Li16ELi16ELi64ELi64ELi4ELi64ELi4ELi4ELi64ELc67ELc84EKDF16_S1_DF16_EEvlllT_PT11_llS4_llS2_PT12_llPT13_lli.kd
    .uniform_work_group_size: 1
    .uses_dynamic_stack: false
    .vgpr_count:     58
    .vgpr_spill_count: 0
    .wavefront_size: 64
  - .agpr_count:     0
    .args:
      - .offset:         0
        .size:           8
        .value_kind:     by_value
      - .offset:         8
        .size:           8
        .value_kind:     by_value
      - .offset:         16
        .size:           8
        .value_kind:     by_value
      - .offset:         24
        .size:           2
        .value_kind:     by_value
      - .address_space:  global
        .offset:         32
        .size:           8
        .value_kind:     global_buffer
      - .offset:         40
        .size:           8
        .value_kind:     by_value
      - .offset:         48
        .size:           8
        .value_kind:     by_value
      - .address_space:  global
        .offset:         56
        .size:           8
        .value_kind:     global_buffer
      - .offset:         64
        .size:           8
        .value_kind:     by_value
      - .offset:         72
        .size:           8
        .value_kind:     by_value
      - .offset:         80
        .size:           2
        .value_kind:     by_value
      - .address_space:  global
        .offset:         88
        .size:           8
        .value_kind:     global_buffer
      - .offset:         96
        .size:           8
        .value_kind:     by_value
      - .offset:         104
        .size:           8
        .value_kind:     by_value
      - .address_space:  global
        .offset:         112
        .size:           8
        .value_kind:     global_buffer
      - .offset:         120
        .size:           8
        .value_kind:     by_value
      - .offset:         128
        .size:           8
        .value_kind:     by_value
      - .offset:         136
        .size:           4
        .value_kind:     by_value
    .group_segment_fixed_size: 1024
    .kernarg_segment_align: 8
    .kernarg_segment_size: 140
    .language:       OpenCL C
    .language_version:
      - 2
      - 0
    .max_flat_workgroup_size: 256
    .name:           _ZN12_GLOBAL__N_127rocblas_gemm_batched_kernelIDF16_Li16ELi16ELi64ELi64ELi4ELi64ELi4ELi4ELi64ELc78ELc67EKDF16_S1_DF16_EEvlllT_PT11_llS4_llS2_PT12_llPT13_lli
    .private_segment_fixed_size: 0
    .sgpr_count:     28
    .sgpr_spill_count: 0
    .symbol:         _ZN12_GLOBAL__N_127rocblas_gemm_batched_kernelIDF16_Li16ELi16ELi64ELi64ELi4ELi64ELi4ELi4ELi64ELc78ELc67EKDF16_S1_DF16_EEvlllT_PT11_llS4_llS2_PT12_llPT13_lli.kd
    .uniform_work_group_size: 1
    .uses_dynamic_stack: false
    .vgpr_count:     58
    .vgpr_spill_count: 0
    .wavefront_size: 64
  - .agpr_count:     0
    .args:
      - .offset:         0
        .size:           8
        .value_kind:     by_value
      - .offset:         8
        .size:           8
        .value_kind:     by_value
      - .offset:         16
        .size:           8
        .value_kind:     by_value
      - .offset:         24
        .size:           2
        .value_kind:     by_value
      - .address_space:  global
        .offset:         32
        .size:           8
        .value_kind:     global_buffer
      - .offset:         40
        .size:           8
        .value_kind:     by_value
      - .offset:         48
        .size:           8
        .value_kind:     by_value
      - .address_space:  global
        .offset:         56
        .size:           8
        .value_kind:     global_buffer
      - .offset:         64
        .size:           8
        .value_kind:     by_value
      - .offset:         72
        .size:           8
        .value_kind:     by_value
      - .offset:         80
        .size:           2
        .value_kind:     by_value
      - .address_space:  global
        .offset:         88
        .size:           8
        .value_kind:     global_buffer
      - .offset:         96
        .size:           8
        .value_kind:     by_value
      - .offset:         104
        .size:           8
        .value_kind:     by_value
      - .address_space:  global
        .offset:         112
        .size:           8
        .value_kind:     global_buffer
      - .offset:         120
        .size:           8
        .value_kind:     by_value
      - .offset:         128
        .size:           8
        .value_kind:     by_value
      - .offset:         136
        .size:           4
        .value_kind:     by_value
    .group_segment_fixed_size: 1024
    .kernarg_segment_align: 8
    .kernarg_segment_size: 140
    .language:       OpenCL C
    .language_version:
      - 2
      - 0
    .max_flat_workgroup_size: 256
    .name:           _ZN12_GLOBAL__N_127rocblas_gemm_batched_kernelIDF16_Li16ELi16ELi64ELi64ELi4ELi64ELi4ELi4ELi64ELc84ELc67EKDF16_S1_DF16_EEvlllT_PT11_llS4_llS2_PT12_llPT13_lli
    .private_segment_fixed_size: 0
    .sgpr_count:     28
    .sgpr_spill_count: 0
    .symbol:         _ZN12_GLOBAL__N_127rocblas_gemm_batched_kernelIDF16_Li16ELi16ELi64ELi64ELi4ELi64ELi4ELi4ELi64ELc84ELc67EKDF16_S1_DF16_EEvlllT_PT11_llS4_llS2_PT12_llPT13_lli.kd
    .uniform_work_group_size: 1
    .uses_dynamic_stack: false
    .vgpr_count:     58
    .vgpr_spill_count: 0
    .wavefront_size: 64
  - .agpr_count:     0
    .args:
      - .offset:         0
        .size:           8
        .value_kind:     by_value
      - .offset:         8
        .size:           8
        .value_kind:     by_value
      - .offset:         16
        .size:           8
        .value_kind:     by_value
      - .offset:         24
        .size:           2
        .value_kind:     by_value
      - .address_space:  global
        .offset:         32
        .size:           8
        .value_kind:     global_buffer
      - .offset:         40
        .size:           8
        .value_kind:     by_value
      - .offset:         48
        .size:           8
        .value_kind:     by_value
      - .address_space:  global
        .offset:         56
        .size:           8
        .value_kind:     global_buffer
      - .offset:         64
        .size:           8
        .value_kind:     by_value
      - .offset:         72
        .size:           8
        .value_kind:     by_value
      - .offset:         80
        .size:           2
        .value_kind:     by_value
      - .address_space:  global
        .offset:         88
        .size:           8
        .value_kind:     global_buffer
      - .offset:         96
        .size:           8
        .value_kind:     by_value
      - .offset:         104
        .size:           8
        .value_kind:     by_value
      - .address_space:  global
        .offset:         112
        .size:           8
        .value_kind:     global_buffer
      - .offset:         120
        .size:           8
        .value_kind:     by_value
      - .offset:         128
        .size:           8
        .value_kind:     by_value
      - .offset:         136
        .size:           4
        .value_kind:     by_value
    .group_segment_fixed_size: 1024
    .kernarg_segment_align: 8
    .kernarg_segment_size: 140
    .language:       OpenCL C
    .language_version:
      - 2
      - 0
    .max_flat_workgroup_size: 256
    .name:           _ZN12_GLOBAL__N_127rocblas_gemm_batched_kernelIDF16_Li16ELi16ELi32ELi32ELi8ELi32ELi8ELi8ELi32ELc78ELc78EKDF16_S1_DF16_EEvlllT_PT11_llS4_llS2_PT12_llPT13_lli
    .private_segment_fixed_size: 0
    .sgpr_count:     26
    .sgpr_spill_count: 0
    .symbol:         _ZN12_GLOBAL__N_127rocblas_gemm_batched_kernelIDF16_Li16ELi16ELi32ELi32ELi8ELi32ELi8ELi8ELi32ELc78ELc78EKDF16_S1_DF16_EEvlllT_PT11_llS4_llS2_PT12_llPT13_lli.kd
    .uniform_work_group_size: 1
    .uses_dynamic_stack: false
    .vgpr_count:     48
    .vgpr_spill_count: 0
    .wavefront_size: 64
  - .agpr_count:     0
    .args:
      - .offset:         0
        .size:           8
        .value_kind:     by_value
      - .offset:         8
        .size:           8
        .value_kind:     by_value
      - .offset:         16
        .size:           8
        .value_kind:     by_value
      - .offset:         24
        .size:           2
        .value_kind:     by_value
      - .address_space:  global
        .offset:         32
        .size:           8
        .value_kind:     global_buffer
      - .offset:         40
        .size:           8
        .value_kind:     by_value
      - .offset:         48
        .size:           8
        .value_kind:     by_value
      - .address_space:  global
        .offset:         56
        .size:           8
        .value_kind:     global_buffer
      - .offset:         64
        .size:           8
        .value_kind:     by_value
      - .offset:         72
        .size:           8
        .value_kind:     by_value
      - .offset:         80
        .size:           2
        .value_kind:     by_value
      - .address_space:  global
        .offset:         88
        .size:           8
        .value_kind:     global_buffer
      - .offset:         96
        .size:           8
        .value_kind:     by_value
      - .offset:         104
        .size:           8
        .value_kind:     by_value
      - .address_space:  global
        .offset:         112
        .size:           8
        .value_kind:     global_buffer
      - .offset:         120
        .size:           8
        .value_kind:     by_value
      - .offset:         128
        .size:           8
        .value_kind:     by_value
      - .offset:         136
        .size:           4
        .value_kind:     by_value
    .group_segment_fixed_size: 1024
    .kernarg_segment_align: 8
    .kernarg_segment_size: 140
    .language:       OpenCL C
    .language_version:
      - 2
      - 0
    .max_flat_workgroup_size: 256
    .name:           _ZN12_GLOBAL__N_127rocblas_gemm_batched_kernelIDF16_Li16ELi16ELi32ELi32ELi8ELi32ELi8ELi8ELi32ELc84ELc78EKDF16_S1_DF16_EEvlllT_PT11_llS4_llS2_PT12_llPT13_lli
    .private_segment_fixed_size: 0
    .sgpr_count:     28
    .sgpr_spill_count: 0
    .symbol:         _ZN12_GLOBAL__N_127rocblas_gemm_batched_kernelIDF16_Li16ELi16ELi32ELi32ELi8ELi32ELi8ELi8ELi32ELc84ELc78EKDF16_S1_DF16_EEvlllT_PT11_llS4_llS2_PT12_llPT13_lli.kd
    .uniform_work_group_size: 1
    .uses_dynamic_stack: false
    .vgpr_count:     47
    .vgpr_spill_count: 0
    .wavefront_size: 64
  - .agpr_count:     0
    .args:
      - .offset:         0
        .size:           8
        .value_kind:     by_value
      - .offset:         8
        .size:           8
        .value_kind:     by_value
      - .offset:         16
        .size:           8
        .value_kind:     by_value
      - .offset:         24
        .size:           2
        .value_kind:     by_value
      - .address_space:  global
        .offset:         32
        .size:           8
        .value_kind:     global_buffer
      - .offset:         40
        .size:           8
        .value_kind:     by_value
      - .offset:         48
        .size:           8
        .value_kind:     by_value
      - .address_space:  global
        .offset:         56
        .size:           8
        .value_kind:     global_buffer
      - .offset:         64
        .size:           8
        .value_kind:     by_value
      - .offset:         72
        .size:           8
        .value_kind:     by_value
      - .offset:         80
        .size:           2
        .value_kind:     by_value
      - .address_space:  global
        .offset:         88
        .size:           8
        .value_kind:     global_buffer
      - .offset:         96
        .size:           8
        .value_kind:     by_value
      - .offset:         104
        .size:           8
        .value_kind:     by_value
      - .address_space:  global
        .offset:         112
        .size:           8
        .value_kind:     global_buffer
      - .offset:         120
        .size:           8
        .value_kind:     by_value
      - .offset:         128
        .size:           8
        .value_kind:     by_value
      - .offset:         136
        .size:           4
        .value_kind:     by_value
    .group_segment_fixed_size: 1024
    .kernarg_segment_align: 8
    .kernarg_segment_size: 140
    .language:       OpenCL C
    .language_version:
      - 2
      - 0
    .max_flat_workgroup_size: 256
    .name:           _ZN12_GLOBAL__N_127rocblas_gemm_batched_kernelIDF16_Li16ELi16ELi32ELi32ELi8ELi32ELi8ELi8ELi32ELc78ELc84EKDF16_S1_DF16_EEvlllT_PT11_llS4_llS2_PT12_llPT13_lli
    .private_segment_fixed_size: 0
    .sgpr_count:     28
    .sgpr_spill_count: 0
    .symbol:         _ZN12_GLOBAL__N_127rocblas_gemm_batched_kernelIDF16_Li16ELi16ELi32ELi32ELi8ELi32ELi8ELi8ELi32ELc78ELc84EKDF16_S1_DF16_EEvlllT_PT11_llS4_llS2_PT12_llPT13_lli.kd
    .uniform_work_group_size: 1
    .uses_dynamic_stack: false
    .vgpr_count:     49
    .vgpr_spill_count: 0
    .wavefront_size: 64
  - .agpr_count:     0
    .args:
      - .offset:         0
        .size:           8
        .value_kind:     by_value
      - .offset:         8
        .size:           8
        .value_kind:     by_value
      - .offset:         16
        .size:           8
        .value_kind:     by_value
      - .offset:         24
        .size:           2
        .value_kind:     by_value
      - .address_space:  global
        .offset:         32
        .size:           8
        .value_kind:     global_buffer
      - .offset:         40
        .size:           8
        .value_kind:     by_value
      - .offset:         48
        .size:           8
        .value_kind:     by_value
      - .address_space:  global
        .offset:         56
        .size:           8
        .value_kind:     global_buffer
      - .offset:         64
        .size:           8
        .value_kind:     by_value
      - .offset:         72
        .size:           8
        .value_kind:     by_value
      - .offset:         80
        .size:           2
        .value_kind:     by_value
      - .address_space:  global
        .offset:         88
        .size:           8
        .value_kind:     global_buffer
      - .offset:         96
        .size:           8
        .value_kind:     by_value
      - .offset:         104
        .size:           8
        .value_kind:     by_value
      - .address_space:  global
        .offset:         112
        .size:           8
        .value_kind:     global_buffer
      - .offset:         120
        .size:           8
        .value_kind:     by_value
      - .offset:         128
        .size:           8
        .value_kind:     by_value
      - .offset:         136
        .size:           4
        .value_kind:     by_value
    .group_segment_fixed_size: 1024
    .kernarg_segment_align: 8
    .kernarg_segment_size: 140
    .language:       OpenCL C
    .language_version:
      - 2
      - 0
    .max_flat_workgroup_size: 256
    .name:           _ZN12_GLOBAL__N_127rocblas_gemm_batched_kernelIDF16_Li16ELi16ELi32ELi32ELi8ELi32ELi8ELi8ELi32ELc84ELc84EKDF16_S1_DF16_EEvlllT_PT11_llS4_llS2_PT12_llPT13_lli
    .private_segment_fixed_size: 0
    .sgpr_count:     28
    .sgpr_spill_count: 0
    .symbol:         _ZN12_GLOBAL__N_127rocblas_gemm_batched_kernelIDF16_Li16ELi16ELi32ELi32ELi8ELi32ELi8ELi8ELi32ELc84ELc84EKDF16_S1_DF16_EEvlllT_PT11_llS4_llS2_PT12_llPT13_lli.kd
    .uniform_work_group_size: 1
    .uses_dynamic_stack: false
    .vgpr_count:     48
    .vgpr_spill_count: 0
    .wavefront_size: 64
  - .agpr_count:     0
    .args:
      - .offset:         0
        .size:           8
        .value_kind:     by_value
      - .offset:         8
        .size:           8
        .value_kind:     by_value
      - .offset:         16
        .size:           8
        .value_kind:     by_value
      - .offset:         24
        .size:           2
        .value_kind:     by_value
      - .address_space:  global
        .offset:         32
        .size:           8
        .value_kind:     global_buffer
      - .offset:         40
        .size:           8
        .value_kind:     by_value
      - .offset:         48
        .size:           8
        .value_kind:     by_value
      - .address_space:  global
        .offset:         56
        .size:           8
        .value_kind:     global_buffer
      - .offset:         64
        .size:           8
        .value_kind:     by_value
      - .offset:         72
        .size:           8
        .value_kind:     by_value
      - .offset:         80
        .size:           2
        .value_kind:     by_value
      - .address_space:  global
        .offset:         88
        .size:           8
        .value_kind:     global_buffer
      - .offset:         96
        .size:           8
        .value_kind:     by_value
      - .offset:         104
        .size:           8
        .value_kind:     by_value
      - .address_space:  global
        .offset:         112
        .size:           8
        .value_kind:     global_buffer
      - .offset:         120
        .size:           8
        .value_kind:     by_value
      - .offset:         128
        .size:           8
        .value_kind:     by_value
      - .offset:         136
        .size:           4
        .value_kind:     by_value
    .group_segment_fixed_size: 1024
    .kernarg_segment_align: 8
    .kernarg_segment_size: 140
    .language:       OpenCL C
    .language_version:
      - 2
      - 0
    .max_flat_workgroup_size: 256
    .name:           _ZN12_GLOBAL__N_127rocblas_gemm_batched_kernelIDF16_Li16ELi16ELi32ELi32ELi8ELi32ELi8ELi8ELi32ELc67ELc67EKDF16_S1_DF16_EEvlllT_PT11_llS4_llS2_PT12_llPT13_lli
    .private_segment_fixed_size: 0
    .sgpr_count:     28
    .sgpr_spill_count: 0
    .symbol:         _ZN12_GLOBAL__N_127rocblas_gemm_batched_kernelIDF16_Li16ELi16ELi32ELi32ELi8ELi32ELi8ELi8ELi32ELc67ELc67EKDF16_S1_DF16_EEvlllT_PT11_llS4_llS2_PT12_llPT13_lli.kd
    .uniform_work_group_size: 1
    .uses_dynamic_stack: false
    .vgpr_count:     48
    .vgpr_spill_count: 0
    .wavefront_size: 64
  - .agpr_count:     0
    .args:
      - .offset:         0
        .size:           8
        .value_kind:     by_value
      - .offset:         8
        .size:           8
        .value_kind:     by_value
      - .offset:         16
        .size:           8
        .value_kind:     by_value
      - .offset:         24
        .size:           2
        .value_kind:     by_value
      - .address_space:  global
        .offset:         32
        .size:           8
        .value_kind:     global_buffer
      - .offset:         40
        .size:           8
        .value_kind:     by_value
      - .offset:         48
        .size:           8
        .value_kind:     by_value
      - .address_space:  global
        .offset:         56
        .size:           8
        .value_kind:     global_buffer
      - .offset:         64
        .size:           8
        .value_kind:     by_value
      - .offset:         72
        .size:           8
        .value_kind:     by_value
      - .offset:         80
        .size:           2
        .value_kind:     by_value
      - .address_space:  global
        .offset:         88
        .size:           8
        .value_kind:     global_buffer
      - .offset:         96
        .size:           8
        .value_kind:     by_value
      - .offset:         104
        .size:           8
        .value_kind:     by_value
      - .address_space:  global
        .offset:         112
        .size:           8
        .value_kind:     global_buffer
      - .offset:         120
        .size:           8
        .value_kind:     by_value
      - .offset:         128
        .size:           8
        .value_kind:     by_value
      - .offset:         136
        .size:           4
        .value_kind:     by_value
    .group_segment_fixed_size: 1024
    .kernarg_segment_align: 8
    .kernarg_segment_size: 140
    .language:       OpenCL C
    .language_version:
      - 2
      - 0
    .max_flat_workgroup_size: 256
    .name:           _ZN12_GLOBAL__N_127rocblas_gemm_batched_kernelIDF16_Li16ELi16ELi32ELi32ELi8ELi32ELi8ELi8ELi32ELc67ELc78EKDF16_S1_DF16_EEvlllT_PT11_llS4_llS2_PT12_llPT13_lli
    .private_segment_fixed_size: 0
    .sgpr_count:     28
    .sgpr_spill_count: 0
    .symbol:         _ZN12_GLOBAL__N_127rocblas_gemm_batched_kernelIDF16_Li16ELi16ELi32ELi32ELi8ELi32ELi8ELi8ELi32ELc67ELc78EKDF16_S1_DF16_EEvlllT_PT11_llS4_llS2_PT12_llPT13_lli.kd
    .uniform_work_group_size: 1
    .uses_dynamic_stack: false
    .vgpr_count:     47
    .vgpr_spill_count: 0
    .wavefront_size: 64
  - .agpr_count:     0
    .args:
      - .offset:         0
        .size:           8
        .value_kind:     by_value
      - .offset:         8
        .size:           8
        .value_kind:     by_value
      - .offset:         16
        .size:           8
        .value_kind:     by_value
      - .offset:         24
        .size:           2
        .value_kind:     by_value
      - .address_space:  global
        .offset:         32
        .size:           8
        .value_kind:     global_buffer
      - .offset:         40
        .size:           8
        .value_kind:     by_value
      - .offset:         48
        .size:           8
        .value_kind:     by_value
      - .address_space:  global
        .offset:         56
        .size:           8
        .value_kind:     global_buffer
      - .offset:         64
        .size:           8
        .value_kind:     by_value
      - .offset:         72
        .size:           8
        .value_kind:     by_value
      - .offset:         80
        .size:           2
        .value_kind:     by_value
      - .address_space:  global
        .offset:         88
        .size:           8
        .value_kind:     global_buffer
      - .offset:         96
        .size:           8
        .value_kind:     by_value
      - .offset:         104
        .size:           8
        .value_kind:     by_value
      - .address_space:  global
        .offset:         112
        .size:           8
        .value_kind:     global_buffer
      - .offset:         120
        .size:           8
        .value_kind:     by_value
      - .offset:         128
        .size:           8
        .value_kind:     by_value
      - .offset:         136
        .size:           4
        .value_kind:     by_value
    .group_segment_fixed_size: 1024
    .kernarg_segment_align: 8
    .kernarg_segment_size: 140
    .language:       OpenCL C
    .language_version:
      - 2
      - 0
    .max_flat_workgroup_size: 256
    .name:           _ZN12_GLOBAL__N_127rocblas_gemm_batched_kernelIDF16_Li16ELi16ELi32ELi32ELi8ELi32ELi8ELi8ELi32ELc67ELc84EKDF16_S1_DF16_EEvlllT_PT11_llS4_llS2_PT12_llPT13_lli
    .private_segment_fixed_size: 0
    .sgpr_count:     28
    .sgpr_spill_count: 0
    .symbol:         _ZN12_GLOBAL__N_127rocblas_gemm_batched_kernelIDF16_Li16ELi16ELi32ELi32ELi8ELi32ELi8ELi8ELi32ELc67ELc84EKDF16_S1_DF16_EEvlllT_PT11_llS4_llS2_PT12_llPT13_lli.kd
    .uniform_work_group_size: 1
    .uses_dynamic_stack: false
    .vgpr_count:     48
    .vgpr_spill_count: 0
    .wavefront_size: 64
  - .agpr_count:     0
    .args:
      - .offset:         0
        .size:           8
        .value_kind:     by_value
      - .offset:         8
        .size:           8
        .value_kind:     by_value
      - .offset:         16
        .size:           8
        .value_kind:     by_value
      - .offset:         24
        .size:           2
        .value_kind:     by_value
      - .address_space:  global
        .offset:         32
        .size:           8
        .value_kind:     global_buffer
      - .offset:         40
        .size:           8
        .value_kind:     by_value
      - .offset:         48
        .size:           8
        .value_kind:     by_value
      - .address_space:  global
        .offset:         56
        .size:           8
        .value_kind:     global_buffer
      - .offset:         64
        .size:           8
        .value_kind:     by_value
      - .offset:         72
        .size:           8
        .value_kind:     by_value
      - .offset:         80
        .size:           2
        .value_kind:     by_value
      - .address_space:  global
        .offset:         88
        .size:           8
        .value_kind:     global_buffer
      - .offset:         96
        .size:           8
        .value_kind:     by_value
      - .offset:         104
        .size:           8
        .value_kind:     by_value
      - .address_space:  global
        .offset:         112
        .size:           8
        .value_kind:     global_buffer
      - .offset:         120
        .size:           8
        .value_kind:     by_value
      - .offset:         128
        .size:           8
        .value_kind:     by_value
      - .offset:         136
        .size:           4
        .value_kind:     by_value
    .group_segment_fixed_size: 1024
    .kernarg_segment_align: 8
    .kernarg_segment_size: 140
    .language:       OpenCL C
    .language_version:
      - 2
      - 0
    .max_flat_workgroup_size: 256
    .name:           _ZN12_GLOBAL__N_127rocblas_gemm_batched_kernelIDF16_Li16ELi16ELi32ELi32ELi8ELi32ELi8ELi8ELi32ELc78ELc67EKDF16_S1_DF16_EEvlllT_PT11_llS4_llS2_PT12_llPT13_lli
    .private_segment_fixed_size: 0
    .sgpr_count:     28
    .sgpr_spill_count: 0
    .symbol:         _ZN12_GLOBAL__N_127rocblas_gemm_batched_kernelIDF16_Li16ELi16ELi32ELi32ELi8ELi32ELi8ELi8ELi32ELc78ELc67EKDF16_S1_DF16_EEvlllT_PT11_llS4_llS2_PT12_llPT13_lli.kd
    .uniform_work_group_size: 1
    .uses_dynamic_stack: false
    .vgpr_count:     49
    .vgpr_spill_count: 0
    .wavefront_size: 64
  - .agpr_count:     0
    .args:
      - .offset:         0
        .size:           8
        .value_kind:     by_value
      - .offset:         8
        .size:           8
        .value_kind:     by_value
      - .offset:         16
        .size:           8
        .value_kind:     by_value
      - .offset:         24
        .size:           2
        .value_kind:     by_value
      - .address_space:  global
        .offset:         32
        .size:           8
        .value_kind:     global_buffer
      - .offset:         40
        .size:           8
        .value_kind:     by_value
      - .offset:         48
        .size:           8
        .value_kind:     by_value
      - .address_space:  global
        .offset:         56
        .size:           8
        .value_kind:     global_buffer
      - .offset:         64
        .size:           8
        .value_kind:     by_value
      - .offset:         72
        .size:           8
        .value_kind:     by_value
      - .offset:         80
        .size:           2
        .value_kind:     by_value
      - .address_space:  global
        .offset:         88
        .size:           8
        .value_kind:     global_buffer
      - .offset:         96
        .size:           8
        .value_kind:     by_value
      - .offset:         104
        .size:           8
        .value_kind:     by_value
      - .address_space:  global
        .offset:         112
        .size:           8
        .value_kind:     global_buffer
      - .offset:         120
        .size:           8
        .value_kind:     by_value
      - .offset:         128
        .size:           8
        .value_kind:     by_value
      - .offset:         136
        .size:           4
        .value_kind:     by_value
    .group_segment_fixed_size: 1024
    .kernarg_segment_align: 8
    .kernarg_segment_size: 140
    .language:       OpenCL C
    .language_version:
      - 2
      - 0
    .max_flat_workgroup_size: 256
    .name:           _ZN12_GLOBAL__N_127rocblas_gemm_batched_kernelIDF16_Li16ELi16ELi32ELi32ELi8ELi32ELi8ELi8ELi32ELc84ELc67EKDF16_S1_DF16_EEvlllT_PT11_llS4_llS2_PT12_llPT13_lli
    .private_segment_fixed_size: 0
    .sgpr_count:     28
    .sgpr_spill_count: 0
    .symbol:         _ZN12_GLOBAL__N_127rocblas_gemm_batched_kernelIDF16_Li16ELi16ELi32ELi32ELi8ELi32ELi8ELi8ELi32ELc84ELc67EKDF16_S1_DF16_EEvlllT_PT11_llS4_llS2_PT12_llPT13_lli.kd
    .uniform_work_group_size: 1
    .uses_dynamic_stack: false
    .vgpr_count:     48
    .vgpr_spill_count: 0
    .wavefront_size: 64
  - .agpr_count:     0
    .args:
      - .offset:         0
        .size:           8
        .value_kind:     by_value
      - .offset:         8
        .size:           8
        .value_kind:     by_value
      - .offset:         16
        .size:           8
        .value_kind:     by_value
      - .offset:         24
        .size:           2
        .value_kind:     by_value
      - .address_space:  global
        .offset:         32
        .size:           8
        .value_kind:     global_buffer
      - .offset:         40
        .size:           8
        .value_kind:     by_value
      - .offset:         48
        .size:           8
        .value_kind:     by_value
      - .address_space:  global
        .offset:         56
        .size:           8
        .value_kind:     global_buffer
      - .offset:         64
        .size:           8
        .value_kind:     by_value
      - .offset:         72
        .size:           8
        .value_kind:     by_value
      - .offset:         80
        .size:           2
        .value_kind:     by_value
      - .address_space:  global
        .offset:         88
        .size:           8
        .value_kind:     global_buffer
      - .offset:         96
        .size:           8
        .value_kind:     by_value
      - .offset:         104
        .size:           8
        .value_kind:     by_value
      - .address_space:  global
        .offset:         112
        .size:           8
        .value_kind:     global_buffer
      - .offset:         120
        .size:           8
        .value_kind:     by_value
      - .offset:         128
        .size:           8
        .value_kind:     by_value
      - .offset:         136
        .size:           4
        .value_kind:     by_value
    .group_segment_fixed_size: 1024
    .kernarg_segment_align: 8
    .kernarg_segment_size: 140
    .language:       OpenCL C
    .language_version:
      - 2
      - 0
    .max_flat_workgroup_size: 256
    .name:           _ZN12_GLOBAL__N_135rocblas_gemm_batched_general_kernelIDF16_Li16ELi16ELi32ELi32ELi8ELi32ELi8ELi8ELi32ELc78ELc78EKDF16_S1_DF16_EEvlllT_PT11_llS4_llS2_PT12_llPT13_lli
    .private_segment_fixed_size: 0
    .sgpr_count:     44
    .sgpr_spill_count: 0
    .symbol:         _ZN12_GLOBAL__N_135rocblas_gemm_batched_general_kernelIDF16_Li16ELi16ELi32ELi32ELi8ELi32ELi8ELi8ELi32ELc78ELc78EKDF16_S1_DF16_EEvlllT_PT11_llS4_llS2_PT12_llPT13_lli.kd
    .uniform_work_group_size: 1
    .uses_dynamic_stack: false
    .vgpr_count:     41
    .vgpr_spill_count: 0
    .wavefront_size: 64
  - .agpr_count:     0
    .args:
      - .offset:         0
        .size:           8
        .value_kind:     by_value
      - .offset:         8
        .size:           8
        .value_kind:     by_value
      - .offset:         16
        .size:           8
        .value_kind:     by_value
      - .offset:         24
        .size:           2
        .value_kind:     by_value
      - .address_space:  global
        .offset:         32
        .size:           8
        .value_kind:     global_buffer
      - .offset:         40
        .size:           8
        .value_kind:     by_value
      - .offset:         48
        .size:           8
        .value_kind:     by_value
      - .address_space:  global
        .offset:         56
        .size:           8
        .value_kind:     global_buffer
      - .offset:         64
        .size:           8
        .value_kind:     by_value
      - .offset:         72
        .size:           8
        .value_kind:     by_value
      - .offset:         80
        .size:           2
        .value_kind:     by_value
      - .address_space:  global
        .offset:         88
        .size:           8
        .value_kind:     global_buffer
      - .offset:         96
        .size:           8
        .value_kind:     by_value
      - .offset:         104
        .size:           8
        .value_kind:     by_value
      - .address_space:  global
        .offset:         112
        .size:           8
        .value_kind:     global_buffer
      - .offset:         120
        .size:           8
        .value_kind:     by_value
      - .offset:         128
        .size:           8
        .value_kind:     by_value
      - .offset:         136
        .size:           4
        .value_kind:     by_value
    .group_segment_fixed_size: 1024
    .kernarg_segment_align: 8
    .kernarg_segment_size: 140
    .language:       OpenCL C
    .language_version:
      - 2
      - 0
    .max_flat_workgroup_size: 256
    .name:           _ZN12_GLOBAL__N_135rocblas_gemm_batched_general_kernelIDF16_Li16ELi16ELi32ELi32ELi8ELi32ELi8ELi8ELi32ELc84ELc78EKDF16_S1_DF16_EEvlllT_PT11_llS4_llS2_PT12_llPT13_lli
    .private_segment_fixed_size: 0
    .sgpr_count:     36
    .sgpr_spill_count: 0
    .symbol:         _ZN12_GLOBAL__N_135rocblas_gemm_batched_general_kernelIDF16_Li16ELi16ELi32ELi32ELi8ELi32ELi8ELi8ELi32ELc84ELc78EKDF16_S1_DF16_EEvlllT_PT11_llS4_llS2_PT12_llPT13_lli.kd
    .uniform_work_group_size: 1
    .uses_dynamic_stack: false
    .vgpr_count:     40
    .vgpr_spill_count: 0
    .wavefront_size: 64
  - .agpr_count:     0
    .args:
      - .offset:         0
        .size:           8
        .value_kind:     by_value
      - .offset:         8
        .size:           8
        .value_kind:     by_value
      - .offset:         16
        .size:           8
        .value_kind:     by_value
      - .offset:         24
        .size:           2
        .value_kind:     by_value
      - .address_space:  global
        .offset:         32
        .size:           8
        .value_kind:     global_buffer
      - .offset:         40
        .size:           8
        .value_kind:     by_value
      - .offset:         48
        .size:           8
        .value_kind:     by_value
      - .address_space:  global
        .offset:         56
        .size:           8
        .value_kind:     global_buffer
      - .offset:         64
        .size:           8
        .value_kind:     by_value
      - .offset:         72
        .size:           8
        .value_kind:     by_value
      - .offset:         80
        .size:           2
        .value_kind:     by_value
      - .address_space:  global
        .offset:         88
        .size:           8
        .value_kind:     global_buffer
      - .offset:         96
        .size:           8
        .value_kind:     by_value
      - .offset:         104
        .size:           8
        .value_kind:     by_value
      - .address_space:  global
        .offset:         112
        .size:           8
        .value_kind:     global_buffer
      - .offset:         120
        .size:           8
        .value_kind:     by_value
      - .offset:         128
        .size:           8
        .value_kind:     by_value
      - .offset:         136
        .size:           4
        .value_kind:     by_value
    .group_segment_fixed_size: 1024
    .kernarg_segment_align: 8
    .kernarg_segment_size: 140
    .language:       OpenCL C
    .language_version:
      - 2
      - 0
    .max_flat_workgroup_size: 256
    .name:           _ZN12_GLOBAL__N_135rocblas_gemm_batched_general_kernelIDF16_Li16ELi16ELi32ELi32ELi8ELi32ELi8ELi8ELi32ELc78ELc84EKDF16_S1_DF16_EEvlllT_PT11_llS4_llS2_PT12_llPT13_lli
    .private_segment_fixed_size: 0
    .sgpr_count:     42
    .sgpr_spill_count: 0
    .symbol:         _ZN12_GLOBAL__N_135rocblas_gemm_batched_general_kernelIDF16_Li16ELi16ELi32ELi32ELi8ELi32ELi8ELi8ELi32ELc78ELc84EKDF16_S1_DF16_EEvlllT_PT11_llS4_llS2_PT12_llPT13_lli.kd
    .uniform_work_group_size: 1
    .uses_dynamic_stack: false
    .vgpr_count:     42
    .vgpr_spill_count: 0
    .wavefront_size: 64
  - .agpr_count:     0
    .args:
      - .offset:         0
        .size:           8
        .value_kind:     by_value
      - .offset:         8
        .size:           8
        .value_kind:     by_value
      - .offset:         16
        .size:           8
        .value_kind:     by_value
      - .offset:         24
        .size:           2
        .value_kind:     by_value
      - .address_space:  global
        .offset:         32
        .size:           8
        .value_kind:     global_buffer
      - .offset:         40
        .size:           8
        .value_kind:     by_value
      - .offset:         48
        .size:           8
        .value_kind:     by_value
      - .address_space:  global
        .offset:         56
        .size:           8
        .value_kind:     global_buffer
      - .offset:         64
        .size:           8
        .value_kind:     by_value
      - .offset:         72
        .size:           8
        .value_kind:     by_value
      - .offset:         80
        .size:           2
        .value_kind:     by_value
      - .address_space:  global
        .offset:         88
        .size:           8
        .value_kind:     global_buffer
      - .offset:         96
        .size:           8
        .value_kind:     by_value
      - .offset:         104
        .size:           8
        .value_kind:     by_value
      - .address_space:  global
        .offset:         112
        .size:           8
        .value_kind:     global_buffer
      - .offset:         120
        .size:           8
        .value_kind:     by_value
      - .offset:         128
        .size:           8
        .value_kind:     by_value
      - .offset:         136
        .size:           4
        .value_kind:     by_value
    .group_segment_fixed_size: 1024
    .kernarg_segment_align: 8
    .kernarg_segment_size: 140
    .language:       OpenCL C
    .language_version:
      - 2
      - 0
    .max_flat_workgroup_size: 256
    .name:           _ZN12_GLOBAL__N_135rocblas_gemm_batched_general_kernelIDF16_Li16ELi16ELi32ELi32ELi8ELi32ELi8ELi8ELi32ELc84ELc84EKDF16_S1_DF16_EEvlllT_PT11_llS4_llS2_PT12_llPT13_lli
    .private_segment_fixed_size: 0
    .sgpr_count:     40
    .sgpr_spill_count: 0
    .symbol:         _ZN12_GLOBAL__N_135rocblas_gemm_batched_general_kernelIDF16_Li16ELi16ELi32ELi32ELi8ELi32ELi8ELi8ELi32ELc84ELc84EKDF16_S1_DF16_EEvlllT_PT11_llS4_llS2_PT12_llPT13_lli.kd
    .uniform_work_group_size: 1
    .uses_dynamic_stack: false
    .vgpr_count:     41
    .vgpr_spill_count: 0
    .wavefront_size: 64
  - .agpr_count:     0
    .args:
      - .offset:         0
        .size:           8
        .value_kind:     by_value
      - .offset:         8
        .size:           8
        .value_kind:     by_value
      - .offset:         16
        .size:           8
        .value_kind:     by_value
      - .offset:         24
        .size:           2
        .value_kind:     by_value
      - .address_space:  global
        .offset:         32
        .size:           8
        .value_kind:     global_buffer
      - .offset:         40
        .size:           8
        .value_kind:     by_value
      - .offset:         48
        .size:           8
        .value_kind:     by_value
      - .address_space:  global
        .offset:         56
        .size:           8
        .value_kind:     global_buffer
      - .offset:         64
        .size:           8
        .value_kind:     by_value
      - .offset:         72
        .size:           8
        .value_kind:     by_value
      - .offset:         80
        .size:           2
        .value_kind:     by_value
      - .address_space:  global
        .offset:         88
        .size:           8
        .value_kind:     global_buffer
      - .offset:         96
        .size:           8
        .value_kind:     by_value
      - .offset:         104
        .size:           8
        .value_kind:     by_value
      - .address_space:  global
        .offset:         112
        .size:           8
        .value_kind:     global_buffer
      - .offset:         120
        .size:           8
        .value_kind:     by_value
      - .offset:         128
        .size:           8
        .value_kind:     by_value
      - .offset:         136
        .size:           4
        .value_kind:     by_value
    .group_segment_fixed_size: 1024
    .kernarg_segment_align: 8
    .kernarg_segment_size: 140
    .language:       OpenCL C
    .language_version:
      - 2
      - 0
    .max_flat_workgroup_size: 256
    .name:           _ZN12_GLOBAL__N_135rocblas_gemm_batched_general_kernelIDF16_Li16ELi16ELi32ELi32ELi8ELi32ELi8ELi8ELi32ELc67ELc67EKDF16_S1_DF16_EEvlllT_PT11_llS4_llS2_PT12_llPT13_lli
    .private_segment_fixed_size: 0
    .sgpr_count:     40
    .sgpr_spill_count: 0
    .symbol:         _ZN12_GLOBAL__N_135rocblas_gemm_batched_general_kernelIDF16_Li16ELi16ELi32ELi32ELi8ELi32ELi8ELi8ELi32ELc67ELc67EKDF16_S1_DF16_EEvlllT_PT11_llS4_llS2_PT12_llPT13_lli.kd
    .uniform_work_group_size: 1
    .uses_dynamic_stack: false
    .vgpr_count:     41
    .vgpr_spill_count: 0
    .wavefront_size: 64
  - .agpr_count:     0
    .args:
      - .offset:         0
        .size:           8
        .value_kind:     by_value
      - .offset:         8
        .size:           8
        .value_kind:     by_value
      - .offset:         16
        .size:           8
        .value_kind:     by_value
      - .offset:         24
        .size:           2
        .value_kind:     by_value
      - .address_space:  global
        .offset:         32
        .size:           8
        .value_kind:     global_buffer
      - .offset:         40
        .size:           8
        .value_kind:     by_value
      - .offset:         48
        .size:           8
        .value_kind:     by_value
      - .address_space:  global
        .offset:         56
        .size:           8
        .value_kind:     global_buffer
      - .offset:         64
        .size:           8
        .value_kind:     by_value
      - .offset:         72
        .size:           8
        .value_kind:     by_value
      - .offset:         80
        .size:           2
        .value_kind:     by_value
      - .address_space:  global
        .offset:         88
        .size:           8
        .value_kind:     global_buffer
      - .offset:         96
        .size:           8
        .value_kind:     by_value
      - .offset:         104
        .size:           8
        .value_kind:     by_value
      - .address_space:  global
        .offset:         112
        .size:           8
        .value_kind:     global_buffer
      - .offset:         120
        .size:           8
        .value_kind:     by_value
      - .offset:         128
        .size:           8
        .value_kind:     by_value
      - .offset:         136
        .size:           4
        .value_kind:     by_value
    .group_segment_fixed_size: 1024
    .kernarg_segment_align: 8
    .kernarg_segment_size: 140
    .language:       OpenCL C
    .language_version:
      - 2
      - 0
    .max_flat_workgroup_size: 256
    .name:           _ZN12_GLOBAL__N_135rocblas_gemm_batched_general_kernelIDF16_Li16ELi16ELi32ELi32ELi8ELi32ELi8ELi8ELi32ELc67ELc78EKDF16_S1_DF16_EEvlllT_PT11_llS4_llS2_PT12_llPT13_lli
    .private_segment_fixed_size: 0
    .sgpr_count:     36
    .sgpr_spill_count: 0
    .symbol:         _ZN12_GLOBAL__N_135rocblas_gemm_batched_general_kernelIDF16_Li16ELi16ELi32ELi32ELi8ELi32ELi8ELi8ELi32ELc67ELc78EKDF16_S1_DF16_EEvlllT_PT11_llS4_llS2_PT12_llPT13_lli.kd
    .uniform_work_group_size: 1
    .uses_dynamic_stack: false
    .vgpr_count:     40
    .vgpr_spill_count: 0
    .wavefront_size: 64
  - .agpr_count:     0
    .args:
      - .offset:         0
        .size:           8
        .value_kind:     by_value
      - .offset:         8
        .size:           8
        .value_kind:     by_value
      - .offset:         16
        .size:           8
        .value_kind:     by_value
      - .offset:         24
        .size:           2
        .value_kind:     by_value
      - .address_space:  global
        .offset:         32
        .size:           8
        .value_kind:     global_buffer
      - .offset:         40
        .size:           8
        .value_kind:     by_value
      - .offset:         48
        .size:           8
        .value_kind:     by_value
      - .address_space:  global
        .offset:         56
        .size:           8
        .value_kind:     global_buffer
      - .offset:         64
        .size:           8
        .value_kind:     by_value
      - .offset:         72
        .size:           8
        .value_kind:     by_value
      - .offset:         80
        .size:           2
        .value_kind:     by_value
      - .address_space:  global
        .offset:         88
        .size:           8
        .value_kind:     global_buffer
      - .offset:         96
        .size:           8
        .value_kind:     by_value
      - .offset:         104
        .size:           8
        .value_kind:     by_value
      - .address_space:  global
        .offset:         112
        .size:           8
        .value_kind:     global_buffer
      - .offset:         120
        .size:           8
        .value_kind:     by_value
      - .offset:         128
        .size:           8
        .value_kind:     by_value
      - .offset:         136
        .size:           4
        .value_kind:     by_value
    .group_segment_fixed_size: 1024
    .kernarg_segment_align: 8
    .kernarg_segment_size: 140
    .language:       OpenCL C
    .language_version:
      - 2
      - 0
    .max_flat_workgroup_size: 256
    .name:           _ZN12_GLOBAL__N_135rocblas_gemm_batched_general_kernelIDF16_Li16ELi16ELi32ELi32ELi8ELi32ELi8ELi8ELi32ELc67ELc84EKDF16_S1_DF16_EEvlllT_PT11_llS4_llS2_PT12_llPT13_lli
    .private_segment_fixed_size: 0
    .sgpr_count:     40
    .sgpr_spill_count: 0
    .symbol:         _ZN12_GLOBAL__N_135rocblas_gemm_batched_general_kernelIDF16_Li16ELi16ELi32ELi32ELi8ELi32ELi8ELi8ELi32ELc67ELc84EKDF16_S1_DF16_EEvlllT_PT11_llS4_llS2_PT12_llPT13_lli.kd
    .uniform_work_group_size: 1
    .uses_dynamic_stack: false
    .vgpr_count:     41
    .vgpr_spill_count: 0
    .wavefront_size: 64
  - .agpr_count:     0
    .args:
      - .offset:         0
        .size:           8
        .value_kind:     by_value
      - .offset:         8
        .size:           8
        .value_kind:     by_value
      - .offset:         16
        .size:           8
        .value_kind:     by_value
      - .offset:         24
        .size:           2
        .value_kind:     by_value
      - .address_space:  global
        .offset:         32
        .size:           8
        .value_kind:     global_buffer
      - .offset:         40
        .size:           8
        .value_kind:     by_value
      - .offset:         48
        .size:           8
        .value_kind:     by_value
      - .address_space:  global
        .offset:         56
        .size:           8
        .value_kind:     global_buffer
      - .offset:         64
        .size:           8
        .value_kind:     by_value
      - .offset:         72
        .size:           8
        .value_kind:     by_value
      - .offset:         80
        .size:           2
        .value_kind:     by_value
      - .address_space:  global
        .offset:         88
        .size:           8
        .value_kind:     global_buffer
      - .offset:         96
        .size:           8
        .value_kind:     by_value
      - .offset:         104
        .size:           8
        .value_kind:     by_value
      - .address_space:  global
        .offset:         112
        .size:           8
        .value_kind:     global_buffer
      - .offset:         120
        .size:           8
        .value_kind:     by_value
      - .offset:         128
        .size:           8
        .value_kind:     by_value
      - .offset:         136
        .size:           4
        .value_kind:     by_value
    .group_segment_fixed_size: 1024
    .kernarg_segment_align: 8
    .kernarg_segment_size: 140
    .language:       OpenCL C
    .language_version:
      - 2
      - 0
    .max_flat_workgroup_size: 256
    .name:           _ZN12_GLOBAL__N_135rocblas_gemm_batched_general_kernelIDF16_Li16ELi16ELi32ELi32ELi8ELi32ELi8ELi8ELi32ELc78ELc67EKDF16_S1_DF16_EEvlllT_PT11_llS4_llS2_PT12_llPT13_lli
    .private_segment_fixed_size: 0
    .sgpr_count:     42
    .sgpr_spill_count: 0
    .symbol:         _ZN12_GLOBAL__N_135rocblas_gemm_batched_general_kernelIDF16_Li16ELi16ELi32ELi32ELi8ELi32ELi8ELi8ELi32ELc78ELc67EKDF16_S1_DF16_EEvlllT_PT11_llS4_llS2_PT12_llPT13_lli.kd
    .uniform_work_group_size: 1
    .uses_dynamic_stack: false
    .vgpr_count:     42
    .vgpr_spill_count: 0
    .wavefront_size: 64
  - .agpr_count:     0
    .args:
      - .offset:         0
        .size:           8
        .value_kind:     by_value
      - .offset:         8
        .size:           8
        .value_kind:     by_value
      - .offset:         16
        .size:           8
        .value_kind:     by_value
      - .offset:         24
        .size:           2
        .value_kind:     by_value
      - .address_space:  global
        .offset:         32
        .size:           8
        .value_kind:     global_buffer
      - .offset:         40
        .size:           8
        .value_kind:     by_value
      - .offset:         48
        .size:           8
        .value_kind:     by_value
      - .address_space:  global
        .offset:         56
        .size:           8
        .value_kind:     global_buffer
      - .offset:         64
        .size:           8
        .value_kind:     by_value
      - .offset:         72
        .size:           8
        .value_kind:     by_value
      - .offset:         80
        .size:           2
        .value_kind:     by_value
      - .address_space:  global
        .offset:         88
        .size:           8
        .value_kind:     global_buffer
      - .offset:         96
        .size:           8
        .value_kind:     by_value
      - .offset:         104
        .size:           8
        .value_kind:     by_value
      - .address_space:  global
        .offset:         112
        .size:           8
        .value_kind:     global_buffer
      - .offset:         120
        .size:           8
        .value_kind:     by_value
      - .offset:         128
        .size:           8
        .value_kind:     by_value
      - .offset:         136
        .size:           4
        .value_kind:     by_value
    .group_segment_fixed_size: 1024
    .kernarg_segment_align: 8
    .kernarg_segment_size: 140
    .language:       OpenCL C
    .language_version:
      - 2
      - 0
    .max_flat_workgroup_size: 256
    .name:           _ZN12_GLOBAL__N_135rocblas_gemm_batched_general_kernelIDF16_Li16ELi16ELi32ELi32ELi8ELi32ELi8ELi8ELi32ELc84ELc67EKDF16_S1_DF16_EEvlllT_PT11_llS4_llS2_PT12_llPT13_lli
    .private_segment_fixed_size: 0
    .sgpr_count:     40
    .sgpr_spill_count: 0
    .symbol:         _ZN12_GLOBAL__N_135rocblas_gemm_batched_general_kernelIDF16_Li16ELi16ELi32ELi32ELi8ELi32ELi8ELi8ELi32ELc84ELc67EKDF16_S1_DF16_EEvlllT_PT11_llS4_llS2_PT12_llPT13_lli.kd
    .uniform_work_group_size: 1
    .uses_dynamic_stack: false
    .vgpr_count:     41
    .vgpr_spill_count: 0
    .wavefront_size: 64
  - .agpr_count:     0
    .args:
      - .offset:         0
        .size:           4
        .value_kind:     by_value
      - .offset:         4
        .size:           4
        .value_kind:     by_value
      - .offset:         8
        .size:           4
        .value_kind:     by_value
      - .address_space:  global
        .offset:         16
        .size:           8
        .value_kind:     global_buffer
      - .offset:         24
        .size:           8
        .value_kind:     by_value
      - .offset:         32
        .size:           8
        .value_kind:     by_value
      - .offset:         40
        .size:           8
        .value_kind:     by_value
      - .offset:         48
        .size:           4
        .value_kind:     by_value
    .group_segment_fixed_size: 0
    .kernarg_segment_align: 8
    .kernarg_segment_size: 52
    .language:       OpenCL C
    .language_version:
      - 2
      - 0
    .max_flat_workgroup_size: 1024
    .name:           _ZN12_GLOBAL__N_125rocblas_gemm_scale_kernelILi32ELi32EfPfEEviiT1_T2_llli
    .private_segment_fixed_size: 0
    .sgpr_count:     24
    .sgpr_spill_count: 0
    .symbol:         _ZN12_GLOBAL__N_125rocblas_gemm_scale_kernelILi32ELi32EfPfEEviiT1_T2_llli.kd
    .uniform_work_group_size: 1
    .uses_dynamic_stack: false
    .vgpr_count:     10
    .vgpr_spill_count: 0
    .wavefront_size: 64
  - .agpr_count:     0
    .args:
      - .offset:         0
        .size:           4
        .value_kind:     by_value
      - .offset:         4
        .size:           4
        .value_kind:     by_value
      - .offset:         8
        .size:           4
        .value_kind:     by_value
      - .address_space:  global
        .offset:         16
        .size:           8
        .value_kind:     global_buffer
      - .offset:         24
        .size:           8
        .value_kind:     by_value
      - .offset:         32
        .size:           8
        .value_kind:     by_value
      - .offset:         40
        .size:           8
        .value_kind:     by_value
      - .address_space:  global
        .offset:         48
        .size:           8
        .value_kind:     global_buffer
      - .offset:         56
        .size:           8
        .value_kind:     by_value
      - .offset:         64
        .size:           8
        .value_kind:     by_value
      - .offset:         72
        .size:           8
        .value_kind:     by_value
      - .offset:         80
        .size:           4
        .value_kind:     by_value
    .group_segment_fixed_size: 0
    .kernarg_segment_align: 8
    .kernarg_segment_size: 84
    .language:       OpenCL C
    .language_version:
      - 2
      - 0
    .max_flat_workgroup_size: 1024
    .name:           _ZN12_GLOBAL__N_120gemm_ex_scale_kernelILi32ELi32EfPKfPfEEviiT1_T2_lllT3_llli
    .private_segment_fixed_size: 0
    .sgpr_count:     32
    .sgpr_spill_count: 0
    .symbol:         _ZN12_GLOBAL__N_120gemm_ex_scale_kernelILi32ELi32EfPKfPfEEviiT1_T2_lllT3_llli.kd
    .uniform_work_group_size: 1
    .uses_dynamic_stack: false
    .vgpr_count:     8
    .vgpr_spill_count: 0
    .wavefront_size: 64
  - .agpr_count:     0
    .args:
      - .offset:         0
        .size:           8
        .value_kind:     by_value
      - .offset:         8
        .size:           8
        .value_kind:     by_value
      - .offset:         16
        .size:           8
        .value_kind:     by_value
      - .offset:         24
        .size:           4
        .value_kind:     by_value
      - .address_space:  global
        .offset:         32
        .size:           8
        .value_kind:     global_buffer
      - .offset:         40
        .size:           8
        .value_kind:     by_value
      - .offset:         48
        .size:           8
        .value_kind:     by_value
      - .address_space:  global
        .offset:         56
        .size:           8
        .value_kind:     global_buffer
      - .offset:         64
        .size:           8
        .value_kind:     by_value
      - .offset:         72
        .size:           8
        .value_kind:     by_value
      - .offset:         80
        .size:           4
        .value_kind:     by_value
      - .address_space:  global
        .offset:         88
        .size:           8
        .value_kind:     global_buffer
      - .offset:         96
        .size:           8
        .value_kind:     by_value
      - .offset:         104
        .size:           8
        .value_kind:     by_value
      - .address_space:  global
        .offset:         112
        .size:           8
        .value_kind:     global_buffer
      - .offset:         120
        .size:           8
        .value_kind:     by_value
      - .offset:         128
        .size:           8
        .value_kind:     by_value
      - .offset:         136
        .size:           4
        .value_kind:     by_value
    .group_segment_fixed_size: 2048
    .kernarg_segment_align: 8
    .kernarg_segment_size: 140
    .language:       OpenCL C
    .language_version:
      - 2
      - 0
    .max_flat_workgroup_size: 256
    .name:           _ZN12_GLOBAL__N_127rocblas_gemm_batched_kernelIfLi16ELi16ELi64ELi64ELi4ELi64ELi4ELi4ELi64ELc78ELc78EKfS1_fEEvlllT_PT11_llS4_llS2_PT12_llPT13_lli
    .private_segment_fixed_size: 0
    .sgpr_count:     26
    .sgpr_spill_count: 0
    .symbol:         _ZN12_GLOBAL__N_127rocblas_gemm_batched_kernelIfLi16ELi16ELi64ELi64ELi4ELi64ELi4ELi4ELi64ELc78ELc78EKfS1_fEEvlllT_PT11_llS4_llS2_PT12_llPT13_lli.kd
    .uniform_work_group_size: 1
    .uses_dynamic_stack: false
    .vgpr_count:     74
    .vgpr_spill_count: 0
    .wavefront_size: 64
  - .agpr_count:     0
    .args:
      - .offset:         0
        .size:           8
        .value_kind:     by_value
      - .offset:         8
        .size:           8
        .value_kind:     by_value
      - .offset:         16
        .size:           8
        .value_kind:     by_value
      - .offset:         24
        .size:           4
        .value_kind:     by_value
      - .address_space:  global
        .offset:         32
        .size:           8
        .value_kind:     global_buffer
      - .offset:         40
        .size:           8
        .value_kind:     by_value
      - .offset:         48
        .size:           8
        .value_kind:     by_value
      - .address_space:  global
        .offset:         56
        .size:           8
        .value_kind:     global_buffer
      - .offset:         64
        .size:           8
        .value_kind:     by_value
      - .offset:         72
        .size:           8
        .value_kind:     by_value
      - .offset:         80
        .size:           4
        .value_kind:     by_value
      - .address_space:  global
        .offset:         88
        .size:           8
        .value_kind:     global_buffer
      - .offset:         96
        .size:           8
        .value_kind:     by_value
      - .offset:         104
        .size:           8
        .value_kind:     by_value
      - .address_space:  global
        .offset:         112
        .size:           8
        .value_kind:     global_buffer
      - .offset:         120
        .size:           8
        .value_kind:     by_value
      - .offset:         128
        .size:           8
        .value_kind:     by_value
      - .offset:         136
        .size:           4
        .value_kind:     by_value
    .group_segment_fixed_size: 2048
    .kernarg_segment_align: 8
    .kernarg_segment_size: 140
    .language:       OpenCL C
    .language_version:
      - 2
      - 0
    .max_flat_workgroup_size: 256
    .name:           _ZN12_GLOBAL__N_127rocblas_gemm_batched_kernelIfLi16ELi16ELi64ELi64ELi4ELi64ELi4ELi4ELi64ELc84ELc78EKfS1_fEEvlllT_PT11_llS4_llS2_PT12_llPT13_lli
    .private_segment_fixed_size: 0
    .sgpr_count:     28
    .sgpr_spill_count: 0
    .symbol:         _ZN12_GLOBAL__N_127rocblas_gemm_batched_kernelIfLi16ELi16ELi64ELi64ELi4ELi64ELi4ELi4ELi64ELc84ELc78EKfS1_fEEvlllT_PT11_llS4_llS2_PT12_llPT13_lli.kd
    .uniform_work_group_size: 1
    .uses_dynamic_stack: false
    .vgpr_count:     72
    .vgpr_spill_count: 0
    .wavefront_size: 64
  - .agpr_count:     0
    .args:
      - .offset:         0
        .size:           8
        .value_kind:     by_value
      - .offset:         8
        .size:           8
        .value_kind:     by_value
      - .offset:         16
        .size:           8
        .value_kind:     by_value
      - .offset:         24
        .size:           4
        .value_kind:     by_value
      - .address_space:  global
        .offset:         32
        .size:           8
        .value_kind:     global_buffer
      - .offset:         40
        .size:           8
        .value_kind:     by_value
      - .offset:         48
        .size:           8
        .value_kind:     by_value
      - .address_space:  global
        .offset:         56
        .size:           8
        .value_kind:     global_buffer
      - .offset:         64
        .size:           8
        .value_kind:     by_value
      - .offset:         72
        .size:           8
        .value_kind:     by_value
      - .offset:         80
        .size:           4
        .value_kind:     by_value
      - .address_space:  global
        .offset:         88
        .size:           8
        .value_kind:     global_buffer
      - .offset:         96
        .size:           8
        .value_kind:     by_value
      - .offset:         104
        .size:           8
        .value_kind:     by_value
      - .address_space:  global
        .offset:         112
        .size:           8
        .value_kind:     global_buffer
      - .offset:         120
        .size:           8
        .value_kind:     by_value
      - .offset:         128
        .size:           8
        .value_kind:     by_value
      - .offset:         136
        .size:           4
        .value_kind:     by_value
    .group_segment_fixed_size: 2048
    .kernarg_segment_align: 8
    .kernarg_segment_size: 140
    .language:       OpenCL C
    .language_version:
      - 2
      - 0
    .max_flat_workgroup_size: 256
    .name:           _ZN12_GLOBAL__N_127rocblas_gemm_batched_kernelIfLi16ELi16ELi64ELi64ELi4ELi64ELi4ELi4ELi64ELc78ELc84EKfS1_fEEvlllT_PT11_llS4_llS2_PT12_llPT13_lli
    .private_segment_fixed_size: 0
    .sgpr_count:     28
    .sgpr_spill_count: 0
    .symbol:         _ZN12_GLOBAL__N_127rocblas_gemm_batched_kernelIfLi16ELi16ELi64ELi64ELi4ELi64ELi4ELi4ELi64ELc78ELc84EKfS1_fEEvlllT_PT11_llS4_llS2_PT12_llPT13_lli.kd
    .uniform_work_group_size: 1
    .uses_dynamic_stack: false
    .vgpr_count:     78
    .vgpr_spill_count: 0
    .wavefront_size: 64
  - .agpr_count:     0
    .args:
      - .offset:         0
        .size:           8
        .value_kind:     by_value
      - .offset:         8
        .size:           8
        .value_kind:     by_value
      - .offset:         16
        .size:           8
        .value_kind:     by_value
      - .offset:         24
        .size:           4
        .value_kind:     by_value
      - .address_space:  global
        .offset:         32
        .size:           8
        .value_kind:     global_buffer
      - .offset:         40
        .size:           8
        .value_kind:     by_value
      - .offset:         48
        .size:           8
        .value_kind:     by_value
      - .address_space:  global
        .offset:         56
        .size:           8
        .value_kind:     global_buffer
      - .offset:         64
        .size:           8
        .value_kind:     by_value
      - .offset:         72
        .size:           8
        .value_kind:     by_value
      - .offset:         80
        .size:           4
        .value_kind:     by_value
      - .address_space:  global
        .offset:         88
        .size:           8
        .value_kind:     global_buffer
      - .offset:         96
        .size:           8
        .value_kind:     by_value
      - .offset:         104
        .size:           8
        .value_kind:     by_value
      - .address_space:  global
        .offset:         112
        .size:           8
        .value_kind:     global_buffer
      - .offset:         120
        .size:           8
        .value_kind:     by_value
      - .offset:         128
        .size:           8
        .value_kind:     by_value
      - .offset:         136
        .size:           4
        .value_kind:     by_value
    .group_segment_fixed_size: 2048
    .kernarg_segment_align: 8
    .kernarg_segment_size: 140
    .language:       OpenCL C
    .language_version:
      - 2
      - 0
    .max_flat_workgroup_size: 256
    .name:           _ZN12_GLOBAL__N_127rocblas_gemm_batched_kernelIfLi16ELi16ELi64ELi64ELi4ELi64ELi4ELi4ELi64ELc84ELc84EKfS1_fEEvlllT_PT11_llS4_llS2_PT12_llPT13_lli
    .private_segment_fixed_size: 0
    .sgpr_count:     28
    .sgpr_spill_count: 0
    .symbol:         _ZN12_GLOBAL__N_127rocblas_gemm_batched_kernelIfLi16ELi16ELi64ELi64ELi4ELi64ELi4ELi4ELi64ELc84ELc84EKfS1_fEEvlllT_PT11_llS4_llS2_PT12_llPT13_lli.kd
    .uniform_work_group_size: 1
    .uses_dynamic_stack: false
    .vgpr_count:     74
    .vgpr_spill_count: 0
    .wavefront_size: 64
  - .agpr_count:     0
    .args:
      - .offset:         0
        .size:           8
        .value_kind:     by_value
      - .offset:         8
        .size:           8
        .value_kind:     by_value
      - .offset:         16
        .size:           8
        .value_kind:     by_value
      - .offset:         24
        .size:           4
        .value_kind:     by_value
      - .address_space:  global
        .offset:         32
        .size:           8
        .value_kind:     global_buffer
      - .offset:         40
        .size:           8
        .value_kind:     by_value
      - .offset:         48
        .size:           8
        .value_kind:     by_value
      - .address_space:  global
        .offset:         56
        .size:           8
        .value_kind:     global_buffer
      - .offset:         64
        .size:           8
        .value_kind:     by_value
      - .offset:         72
        .size:           8
        .value_kind:     by_value
      - .offset:         80
        .size:           4
        .value_kind:     by_value
      - .address_space:  global
        .offset:         88
        .size:           8
        .value_kind:     global_buffer
      - .offset:         96
        .size:           8
        .value_kind:     by_value
      - .offset:         104
        .size:           8
        .value_kind:     by_value
      - .address_space:  global
        .offset:         112
        .size:           8
        .value_kind:     global_buffer
      - .offset:         120
        .size:           8
        .value_kind:     by_value
      - .offset:         128
        .size:           8
        .value_kind:     by_value
      - .offset:         136
        .size:           4
        .value_kind:     by_value
    .group_segment_fixed_size: 2048
    .kernarg_segment_align: 8
    .kernarg_segment_size: 140
    .language:       OpenCL C
    .language_version:
      - 2
      - 0
    .max_flat_workgroup_size: 256
    .name:           _ZN12_GLOBAL__N_127rocblas_gemm_batched_kernelIfLi16ELi16ELi64ELi64ELi4ELi64ELi4ELi4ELi64ELc67ELc67EKfS1_fEEvlllT_PT11_llS4_llS2_PT12_llPT13_lli
    .private_segment_fixed_size: 0
    .sgpr_count:     28
    .sgpr_spill_count: 0
    .symbol:         _ZN12_GLOBAL__N_127rocblas_gemm_batched_kernelIfLi16ELi16ELi64ELi64ELi4ELi64ELi4ELi4ELi64ELc67ELc67EKfS1_fEEvlllT_PT11_llS4_llS2_PT12_llPT13_lli.kd
    .uniform_work_group_size: 1
    .uses_dynamic_stack: false
    .vgpr_count:     74
    .vgpr_spill_count: 0
    .wavefront_size: 64
  - .agpr_count:     0
    .args:
      - .offset:         0
        .size:           8
        .value_kind:     by_value
      - .offset:         8
        .size:           8
        .value_kind:     by_value
      - .offset:         16
        .size:           8
        .value_kind:     by_value
      - .offset:         24
        .size:           4
        .value_kind:     by_value
      - .address_space:  global
        .offset:         32
        .size:           8
        .value_kind:     global_buffer
      - .offset:         40
        .size:           8
        .value_kind:     by_value
      - .offset:         48
        .size:           8
        .value_kind:     by_value
      - .address_space:  global
        .offset:         56
        .size:           8
        .value_kind:     global_buffer
      - .offset:         64
        .size:           8
        .value_kind:     by_value
      - .offset:         72
        .size:           8
        .value_kind:     by_value
      - .offset:         80
        .size:           4
        .value_kind:     by_value
      - .address_space:  global
        .offset:         88
        .size:           8
        .value_kind:     global_buffer
      - .offset:         96
        .size:           8
        .value_kind:     by_value
      - .offset:         104
        .size:           8
        .value_kind:     by_value
      - .address_space:  global
        .offset:         112
        .size:           8
        .value_kind:     global_buffer
      - .offset:         120
        .size:           8
        .value_kind:     by_value
      - .offset:         128
        .size:           8
        .value_kind:     by_value
      - .offset:         136
        .size:           4
        .value_kind:     by_value
    .group_segment_fixed_size: 2048
    .kernarg_segment_align: 8
    .kernarg_segment_size: 140
    .language:       OpenCL C
    .language_version:
      - 2
      - 0
    .max_flat_workgroup_size: 256
    .name:           _ZN12_GLOBAL__N_127rocblas_gemm_batched_kernelIfLi16ELi16ELi64ELi64ELi4ELi64ELi4ELi4ELi64ELc67ELc78EKfS1_fEEvlllT_PT11_llS4_llS2_PT12_llPT13_lli
    .private_segment_fixed_size: 0
    .sgpr_count:     28
    .sgpr_spill_count: 0
    .symbol:         _ZN12_GLOBAL__N_127rocblas_gemm_batched_kernelIfLi16ELi16ELi64ELi64ELi4ELi64ELi4ELi4ELi64ELc67ELc78EKfS1_fEEvlllT_PT11_llS4_llS2_PT12_llPT13_lli.kd
    .uniform_work_group_size: 1
    .uses_dynamic_stack: false
    .vgpr_count:     72
    .vgpr_spill_count: 0
    .wavefront_size: 64
  - .agpr_count:     0
    .args:
      - .offset:         0
        .size:           8
        .value_kind:     by_value
      - .offset:         8
        .size:           8
        .value_kind:     by_value
      - .offset:         16
        .size:           8
        .value_kind:     by_value
      - .offset:         24
        .size:           4
        .value_kind:     by_value
      - .address_space:  global
        .offset:         32
        .size:           8
        .value_kind:     global_buffer
      - .offset:         40
        .size:           8
        .value_kind:     by_value
      - .offset:         48
        .size:           8
        .value_kind:     by_value
      - .address_space:  global
        .offset:         56
        .size:           8
        .value_kind:     global_buffer
      - .offset:         64
        .size:           8
        .value_kind:     by_value
      - .offset:         72
        .size:           8
        .value_kind:     by_value
      - .offset:         80
        .size:           4
        .value_kind:     by_value
      - .address_space:  global
        .offset:         88
        .size:           8
        .value_kind:     global_buffer
      - .offset:         96
        .size:           8
        .value_kind:     by_value
      - .offset:         104
        .size:           8
        .value_kind:     by_value
      - .address_space:  global
        .offset:         112
        .size:           8
        .value_kind:     global_buffer
      - .offset:         120
        .size:           8
        .value_kind:     by_value
      - .offset:         128
        .size:           8
        .value_kind:     by_value
      - .offset:         136
        .size:           4
        .value_kind:     by_value
    .group_segment_fixed_size: 2048
    .kernarg_segment_align: 8
    .kernarg_segment_size: 140
    .language:       OpenCL C
    .language_version:
      - 2
      - 0
    .max_flat_workgroup_size: 256
    .name:           _ZN12_GLOBAL__N_127rocblas_gemm_batched_kernelIfLi16ELi16ELi64ELi64ELi4ELi64ELi4ELi4ELi64ELc67ELc84EKfS1_fEEvlllT_PT11_llS4_llS2_PT12_llPT13_lli
    .private_segment_fixed_size: 0
    .sgpr_count:     28
    .sgpr_spill_count: 0
    .symbol:         _ZN12_GLOBAL__N_127rocblas_gemm_batched_kernelIfLi16ELi16ELi64ELi64ELi4ELi64ELi4ELi4ELi64ELc67ELc84EKfS1_fEEvlllT_PT11_llS4_llS2_PT12_llPT13_lli.kd
    .uniform_work_group_size: 1
    .uses_dynamic_stack: false
    .vgpr_count:     74
    .vgpr_spill_count: 0
    .wavefront_size: 64
  - .agpr_count:     0
    .args:
      - .offset:         0
        .size:           8
        .value_kind:     by_value
      - .offset:         8
        .size:           8
        .value_kind:     by_value
      - .offset:         16
        .size:           8
        .value_kind:     by_value
      - .offset:         24
        .size:           4
        .value_kind:     by_value
      - .address_space:  global
        .offset:         32
        .size:           8
        .value_kind:     global_buffer
      - .offset:         40
        .size:           8
        .value_kind:     by_value
      - .offset:         48
        .size:           8
        .value_kind:     by_value
      - .address_space:  global
        .offset:         56
        .size:           8
        .value_kind:     global_buffer
      - .offset:         64
        .size:           8
        .value_kind:     by_value
      - .offset:         72
        .size:           8
        .value_kind:     by_value
      - .offset:         80
        .size:           4
        .value_kind:     by_value
      - .address_space:  global
        .offset:         88
        .size:           8
        .value_kind:     global_buffer
      - .offset:         96
        .size:           8
        .value_kind:     by_value
      - .offset:         104
        .size:           8
        .value_kind:     by_value
      - .address_space:  global
        .offset:         112
        .size:           8
        .value_kind:     global_buffer
      - .offset:         120
        .size:           8
        .value_kind:     by_value
      - .offset:         128
        .size:           8
        .value_kind:     by_value
      - .offset:         136
        .size:           4
        .value_kind:     by_value
    .group_segment_fixed_size: 2048
    .kernarg_segment_align: 8
    .kernarg_segment_size: 140
    .language:       OpenCL C
    .language_version:
      - 2
      - 0
    .max_flat_workgroup_size: 256
    .name:           _ZN12_GLOBAL__N_127rocblas_gemm_batched_kernelIfLi16ELi16ELi64ELi64ELi4ELi64ELi4ELi4ELi64ELc78ELc67EKfS1_fEEvlllT_PT11_llS4_llS2_PT12_llPT13_lli
    .private_segment_fixed_size: 0
    .sgpr_count:     28
    .sgpr_spill_count: 0
    .symbol:         _ZN12_GLOBAL__N_127rocblas_gemm_batched_kernelIfLi16ELi16ELi64ELi64ELi4ELi64ELi4ELi4ELi64ELc78ELc67EKfS1_fEEvlllT_PT11_llS4_llS2_PT12_llPT13_lli.kd
    .uniform_work_group_size: 1
    .uses_dynamic_stack: false
    .vgpr_count:     78
    .vgpr_spill_count: 0
    .wavefront_size: 64
  - .agpr_count:     0
    .args:
      - .offset:         0
        .size:           8
        .value_kind:     by_value
      - .offset:         8
        .size:           8
        .value_kind:     by_value
      - .offset:         16
        .size:           8
        .value_kind:     by_value
      - .offset:         24
        .size:           4
        .value_kind:     by_value
      - .address_space:  global
        .offset:         32
        .size:           8
        .value_kind:     global_buffer
      - .offset:         40
        .size:           8
        .value_kind:     by_value
      - .offset:         48
        .size:           8
        .value_kind:     by_value
      - .address_space:  global
        .offset:         56
        .size:           8
        .value_kind:     global_buffer
      - .offset:         64
        .size:           8
        .value_kind:     by_value
      - .offset:         72
        .size:           8
        .value_kind:     by_value
      - .offset:         80
        .size:           4
        .value_kind:     by_value
      - .address_space:  global
        .offset:         88
        .size:           8
        .value_kind:     global_buffer
      - .offset:         96
        .size:           8
        .value_kind:     by_value
      - .offset:         104
        .size:           8
        .value_kind:     by_value
      - .address_space:  global
        .offset:         112
        .size:           8
        .value_kind:     global_buffer
      - .offset:         120
        .size:           8
        .value_kind:     by_value
      - .offset:         128
        .size:           8
        .value_kind:     by_value
      - .offset:         136
        .size:           4
        .value_kind:     by_value
    .group_segment_fixed_size: 2048
    .kernarg_segment_align: 8
    .kernarg_segment_size: 140
    .language:       OpenCL C
    .language_version:
      - 2
      - 0
    .max_flat_workgroup_size: 256
    .name:           _ZN12_GLOBAL__N_127rocblas_gemm_batched_kernelIfLi16ELi16ELi64ELi64ELi4ELi64ELi4ELi4ELi64ELc84ELc67EKfS1_fEEvlllT_PT11_llS4_llS2_PT12_llPT13_lli
    .private_segment_fixed_size: 0
    .sgpr_count:     28
    .sgpr_spill_count: 0
    .symbol:         _ZN12_GLOBAL__N_127rocblas_gemm_batched_kernelIfLi16ELi16ELi64ELi64ELi4ELi64ELi4ELi4ELi64ELc84ELc67EKfS1_fEEvlllT_PT11_llS4_llS2_PT12_llPT13_lli.kd
    .uniform_work_group_size: 1
    .uses_dynamic_stack: false
    .vgpr_count:     74
    .vgpr_spill_count: 0
    .wavefront_size: 64
  - .agpr_count:     0
    .args:
      - .offset:         0
        .size:           8
        .value_kind:     by_value
      - .offset:         8
        .size:           8
        .value_kind:     by_value
      - .offset:         16
        .size:           8
        .value_kind:     by_value
      - .offset:         24
        .size:           4
        .value_kind:     by_value
      - .address_space:  global
        .offset:         32
        .size:           8
        .value_kind:     global_buffer
      - .offset:         40
        .size:           8
        .value_kind:     by_value
      - .offset:         48
        .size:           8
        .value_kind:     by_value
      - .address_space:  global
        .offset:         56
        .size:           8
        .value_kind:     global_buffer
      - .offset:         64
        .size:           8
        .value_kind:     by_value
      - .offset:         72
        .size:           8
        .value_kind:     by_value
      - .offset:         80
        .size:           4
        .value_kind:     by_value
      - .address_space:  global
        .offset:         88
        .size:           8
        .value_kind:     global_buffer
      - .offset:         96
        .size:           8
        .value_kind:     by_value
      - .offset:         104
        .size:           8
        .value_kind:     by_value
      - .address_space:  global
        .offset:         112
        .size:           8
        .value_kind:     global_buffer
      - .offset:         120
        .size:           8
        .value_kind:     by_value
      - .offset:         128
        .size:           8
        .value_kind:     by_value
      - .offset:         136
        .size:           4
        .value_kind:     by_value
    .group_segment_fixed_size: 2048
    .kernarg_segment_align: 8
    .kernarg_segment_size: 140
    .language:       OpenCL C
    .language_version:
      - 2
      - 0
    .max_flat_workgroup_size: 256
    .name:           _ZN12_GLOBAL__N_127rocblas_gemm_batched_kernelIfLi16ELi16ELi32ELi32ELi8ELi32ELi8ELi8ELi32ELc78ELc78EKfS1_fEEvlllT_PT11_llS4_llS2_PT12_llPT13_lli
    .private_segment_fixed_size: 0
    .sgpr_count:     26
    .sgpr_spill_count: 0
    .symbol:         _ZN12_GLOBAL__N_127rocblas_gemm_batched_kernelIfLi16ELi16ELi32ELi32ELi8ELi32ELi8ELi8ELi32ELc78ELc78EKfS1_fEEvlllT_PT11_llS4_llS2_PT12_llPT13_lli.kd
    .uniform_work_group_size: 1
    .uses_dynamic_stack: false
    .vgpr_count:     70
    .vgpr_spill_count: 0
    .wavefront_size: 64
  - .agpr_count:     0
    .args:
      - .offset:         0
        .size:           8
        .value_kind:     by_value
      - .offset:         8
        .size:           8
        .value_kind:     by_value
      - .offset:         16
        .size:           8
        .value_kind:     by_value
      - .offset:         24
        .size:           4
        .value_kind:     by_value
      - .address_space:  global
        .offset:         32
        .size:           8
        .value_kind:     global_buffer
      - .offset:         40
        .size:           8
        .value_kind:     by_value
      - .offset:         48
        .size:           8
        .value_kind:     by_value
      - .address_space:  global
        .offset:         56
        .size:           8
        .value_kind:     global_buffer
      - .offset:         64
        .size:           8
        .value_kind:     by_value
      - .offset:         72
        .size:           8
        .value_kind:     by_value
      - .offset:         80
        .size:           4
        .value_kind:     by_value
      - .address_space:  global
        .offset:         88
        .size:           8
        .value_kind:     global_buffer
      - .offset:         96
        .size:           8
        .value_kind:     by_value
      - .offset:         104
        .size:           8
        .value_kind:     by_value
      - .address_space:  global
        .offset:         112
        .size:           8
        .value_kind:     global_buffer
      - .offset:         120
        .size:           8
        .value_kind:     by_value
      - .offset:         128
        .size:           8
        .value_kind:     by_value
      - .offset:         136
        .size:           4
        .value_kind:     by_value
    .group_segment_fixed_size: 2048
    .kernarg_segment_align: 8
    .kernarg_segment_size: 140
    .language:       OpenCL C
    .language_version:
      - 2
      - 0
    .max_flat_workgroup_size: 256
    .name:           _ZN12_GLOBAL__N_127rocblas_gemm_batched_kernelIfLi16ELi16ELi32ELi32ELi8ELi32ELi8ELi8ELi32ELc84ELc78EKfS1_fEEvlllT_PT11_llS4_llS2_PT12_llPT13_lli
    .private_segment_fixed_size: 0
    .sgpr_count:     28
    .sgpr_spill_count: 0
    .symbol:         _ZN12_GLOBAL__N_127rocblas_gemm_batched_kernelIfLi16ELi16ELi32ELi32ELi8ELi32ELi8ELi8ELi32ELc84ELc78EKfS1_fEEvlllT_PT11_llS4_llS2_PT12_llPT13_lli.kd
    .uniform_work_group_size: 1
    .uses_dynamic_stack: false
    .vgpr_count:     68
    .vgpr_spill_count: 0
    .wavefront_size: 64
  - .agpr_count:     0
    .args:
      - .offset:         0
        .size:           8
        .value_kind:     by_value
      - .offset:         8
        .size:           8
        .value_kind:     by_value
      - .offset:         16
        .size:           8
        .value_kind:     by_value
      - .offset:         24
        .size:           4
        .value_kind:     by_value
      - .address_space:  global
        .offset:         32
        .size:           8
        .value_kind:     global_buffer
      - .offset:         40
        .size:           8
        .value_kind:     by_value
      - .offset:         48
        .size:           8
        .value_kind:     by_value
      - .address_space:  global
        .offset:         56
        .size:           8
        .value_kind:     global_buffer
      - .offset:         64
        .size:           8
        .value_kind:     by_value
      - .offset:         72
        .size:           8
        .value_kind:     by_value
      - .offset:         80
        .size:           4
        .value_kind:     by_value
      - .address_space:  global
        .offset:         88
        .size:           8
        .value_kind:     global_buffer
      - .offset:         96
        .size:           8
        .value_kind:     by_value
      - .offset:         104
        .size:           8
        .value_kind:     by_value
      - .address_space:  global
        .offset:         112
        .size:           8
        .value_kind:     global_buffer
      - .offset:         120
        .size:           8
        .value_kind:     by_value
      - .offset:         128
        .size:           8
        .value_kind:     by_value
      - .offset:         136
        .size:           4
        .value_kind:     by_value
    .group_segment_fixed_size: 2048
    .kernarg_segment_align: 8
    .kernarg_segment_size: 140
    .language:       OpenCL C
    .language_version:
      - 2
      - 0
    .max_flat_workgroup_size: 256
    .name:           _ZN12_GLOBAL__N_127rocblas_gemm_batched_kernelIfLi16ELi16ELi32ELi32ELi8ELi32ELi8ELi8ELi32ELc78ELc84EKfS1_fEEvlllT_PT11_llS4_llS2_PT12_llPT13_lli
    .private_segment_fixed_size: 0
    .sgpr_count:     28
    .sgpr_spill_count: 0
    .symbol:         _ZN12_GLOBAL__N_127rocblas_gemm_batched_kernelIfLi16ELi16ELi32ELi32ELi8ELi32ELi8ELi8ELi32ELc78ELc84EKfS1_fEEvlllT_PT11_llS4_llS2_PT12_llPT13_lli.kd
    .uniform_work_group_size: 1
    .uses_dynamic_stack: false
    .vgpr_count:     70
    .vgpr_spill_count: 0
    .wavefront_size: 64
  - .agpr_count:     0
    .args:
      - .offset:         0
        .size:           8
        .value_kind:     by_value
      - .offset:         8
        .size:           8
        .value_kind:     by_value
      - .offset:         16
        .size:           8
        .value_kind:     by_value
      - .offset:         24
        .size:           4
        .value_kind:     by_value
      - .address_space:  global
        .offset:         32
        .size:           8
        .value_kind:     global_buffer
      - .offset:         40
        .size:           8
        .value_kind:     by_value
      - .offset:         48
        .size:           8
        .value_kind:     by_value
      - .address_space:  global
        .offset:         56
        .size:           8
        .value_kind:     global_buffer
      - .offset:         64
        .size:           8
        .value_kind:     by_value
      - .offset:         72
        .size:           8
        .value_kind:     by_value
      - .offset:         80
        .size:           4
        .value_kind:     by_value
      - .address_space:  global
        .offset:         88
        .size:           8
        .value_kind:     global_buffer
      - .offset:         96
        .size:           8
        .value_kind:     by_value
      - .offset:         104
        .size:           8
        .value_kind:     by_value
      - .address_space:  global
        .offset:         112
        .size:           8
        .value_kind:     global_buffer
      - .offset:         120
        .size:           8
        .value_kind:     by_value
      - .offset:         128
        .size:           8
        .value_kind:     by_value
      - .offset:         136
        .size:           4
        .value_kind:     by_value
    .group_segment_fixed_size: 2048
    .kernarg_segment_align: 8
    .kernarg_segment_size: 140
    .language:       OpenCL C
    .language_version:
      - 2
      - 0
    .max_flat_workgroup_size: 256
    .name:           _ZN12_GLOBAL__N_127rocblas_gemm_batched_kernelIfLi16ELi16ELi32ELi32ELi8ELi32ELi8ELi8ELi32ELc84ELc84EKfS1_fEEvlllT_PT11_llS4_llS2_PT12_llPT13_lli
    .private_segment_fixed_size: 0
    .sgpr_count:     28
    .sgpr_spill_count: 0
    .symbol:         _ZN12_GLOBAL__N_127rocblas_gemm_batched_kernelIfLi16ELi16ELi32ELi32ELi8ELi32ELi8ELi8ELi32ELc84ELc84EKfS1_fEEvlllT_PT11_llS4_llS2_PT12_llPT13_lli.kd
    .uniform_work_group_size: 1
    .uses_dynamic_stack: false
    .vgpr_count:     70
    .vgpr_spill_count: 0
    .wavefront_size: 64
  - .agpr_count:     0
    .args:
      - .offset:         0
        .size:           8
        .value_kind:     by_value
      - .offset:         8
        .size:           8
        .value_kind:     by_value
      - .offset:         16
        .size:           8
        .value_kind:     by_value
      - .offset:         24
        .size:           4
        .value_kind:     by_value
      - .address_space:  global
        .offset:         32
        .size:           8
        .value_kind:     global_buffer
      - .offset:         40
        .size:           8
        .value_kind:     by_value
      - .offset:         48
        .size:           8
        .value_kind:     by_value
      - .address_space:  global
        .offset:         56
        .size:           8
        .value_kind:     global_buffer
      - .offset:         64
        .size:           8
        .value_kind:     by_value
      - .offset:         72
        .size:           8
        .value_kind:     by_value
      - .offset:         80
        .size:           4
        .value_kind:     by_value
      - .address_space:  global
        .offset:         88
        .size:           8
        .value_kind:     global_buffer
      - .offset:         96
        .size:           8
        .value_kind:     by_value
      - .offset:         104
        .size:           8
        .value_kind:     by_value
      - .address_space:  global
        .offset:         112
        .size:           8
        .value_kind:     global_buffer
      - .offset:         120
        .size:           8
        .value_kind:     by_value
      - .offset:         128
        .size:           8
        .value_kind:     by_value
      - .offset:         136
        .size:           4
        .value_kind:     by_value
    .group_segment_fixed_size: 2048
    .kernarg_segment_align: 8
    .kernarg_segment_size: 140
    .language:       OpenCL C
    .language_version:
      - 2
      - 0
    .max_flat_workgroup_size: 256
    .name:           _ZN12_GLOBAL__N_127rocblas_gemm_batched_kernelIfLi16ELi16ELi32ELi32ELi8ELi32ELi8ELi8ELi32ELc67ELc67EKfS1_fEEvlllT_PT11_llS4_llS2_PT12_llPT13_lli
    .private_segment_fixed_size: 0
    .sgpr_count:     28
    .sgpr_spill_count: 0
    .symbol:         _ZN12_GLOBAL__N_127rocblas_gemm_batched_kernelIfLi16ELi16ELi32ELi32ELi8ELi32ELi8ELi8ELi32ELc67ELc67EKfS1_fEEvlllT_PT11_llS4_llS2_PT12_llPT13_lli.kd
    .uniform_work_group_size: 1
    .uses_dynamic_stack: false
    .vgpr_count:     70
    .vgpr_spill_count: 0
    .wavefront_size: 64
  - .agpr_count:     0
    .args:
      - .offset:         0
        .size:           8
        .value_kind:     by_value
      - .offset:         8
        .size:           8
        .value_kind:     by_value
      - .offset:         16
        .size:           8
        .value_kind:     by_value
      - .offset:         24
        .size:           4
        .value_kind:     by_value
      - .address_space:  global
        .offset:         32
        .size:           8
        .value_kind:     global_buffer
      - .offset:         40
        .size:           8
        .value_kind:     by_value
      - .offset:         48
        .size:           8
        .value_kind:     by_value
      - .address_space:  global
        .offset:         56
        .size:           8
        .value_kind:     global_buffer
      - .offset:         64
        .size:           8
        .value_kind:     by_value
      - .offset:         72
        .size:           8
        .value_kind:     by_value
      - .offset:         80
        .size:           4
        .value_kind:     by_value
      - .address_space:  global
        .offset:         88
        .size:           8
        .value_kind:     global_buffer
      - .offset:         96
        .size:           8
        .value_kind:     by_value
      - .offset:         104
        .size:           8
        .value_kind:     by_value
      - .address_space:  global
        .offset:         112
        .size:           8
        .value_kind:     global_buffer
      - .offset:         120
        .size:           8
        .value_kind:     by_value
      - .offset:         128
        .size:           8
        .value_kind:     by_value
      - .offset:         136
        .size:           4
        .value_kind:     by_value
    .group_segment_fixed_size: 2048
    .kernarg_segment_align: 8
    .kernarg_segment_size: 140
    .language:       OpenCL C
    .language_version:
      - 2
      - 0
    .max_flat_workgroup_size: 256
    .name:           _ZN12_GLOBAL__N_127rocblas_gemm_batched_kernelIfLi16ELi16ELi32ELi32ELi8ELi32ELi8ELi8ELi32ELc67ELc78EKfS1_fEEvlllT_PT11_llS4_llS2_PT12_llPT13_lli
    .private_segment_fixed_size: 0
    .sgpr_count:     28
    .sgpr_spill_count: 0
    .symbol:         _ZN12_GLOBAL__N_127rocblas_gemm_batched_kernelIfLi16ELi16ELi32ELi32ELi8ELi32ELi8ELi8ELi32ELc67ELc78EKfS1_fEEvlllT_PT11_llS4_llS2_PT12_llPT13_lli.kd
    .uniform_work_group_size: 1
    .uses_dynamic_stack: false
    .vgpr_count:     68
    .vgpr_spill_count: 0
    .wavefront_size: 64
  - .agpr_count:     0
    .args:
      - .offset:         0
        .size:           8
        .value_kind:     by_value
      - .offset:         8
        .size:           8
        .value_kind:     by_value
      - .offset:         16
        .size:           8
        .value_kind:     by_value
      - .offset:         24
        .size:           4
        .value_kind:     by_value
      - .address_space:  global
        .offset:         32
        .size:           8
        .value_kind:     global_buffer
      - .offset:         40
        .size:           8
        .value_kind:     by_value
      - .offset:         48
        .size:           8
        .value_kind:     by_value
      - .address_space:  global
        .offset:         56
        .size:           8
        .value_kind:     global_buffer
      - .offset:         64
        .size:           8
        .value_kind:     by_value
      - .offset:         72
        .size:           8
        .value_kind:     by_value
      - .offset:         80
        .size:           4
        .value_kind:     by_value
      - .address_space:  global
        .offset:         88
        .size:           8
        .value_kind:     global_buffer
      - .offset:         96
        .size:           8
        .value_kind:     by_value
      - .offset:         104
        .size:           8
        .value_kind:     by_value
      - .address_space:  global
        .offset:         112
        .size:           8
        .value_kind:     global_buffer
      - .offset:         120
        .size:           8
        .value_kind:     by_value
      - .offset:         128
        .size:           8
        .value_kind:     by_value
      - .offset:         136
        .size:           4
        .value_kind:     by_value
    .group_segment_fixed_size: 2048
    .kernarg_segment_align: 8
    .kernarg_segment_size: 140
    .language:       OpenCL C
    .language_version:
      - 2
      - 0
    .max_flat_workgroup_size: 256
    .name:           _ZN12_GLOBAL__N_127rocblas_gemm_batched_kernelIfLi16ELi16ELi32ELi32ELi8ELi32ELi8ELi8ELi32ELc67ELc84EKfS1_fEEvlllT_PT11_llS4_llS2_PT12_llPT13_lli
    .private_segment_fixed_size: 0
    .sgpr_count:     28
    .sgpr_spill_count: 0
    .symbol:         _ZN12_GLOBAL__N_127rocblas_gemm_batched_kernelIfLi16ELi16ELi32ELi32ELi8ELi32ELi8ELi8ELi32ELc67ELc84EKfS1_fEEvlllT_PT11_llS4_llS2_PT12_llPT13_lli.kd
    .uniform_work_group_size: 1
    .uses_dynamic_stack: false
    .vgpr_count:     70
    .vgpr_spill_count: 0
    .wavefront_size: 64
  - .agpr_count:     0
    .args:
      - .offset:         0
        .size:           8
        .value_kind:     by_value
      - .offset:         8
        .size:           8
        .value_kind:     by_value
      - .offset:         16
        .size:           8
        .value_kind:     by_value
      - .offset:         24
        .size:           4
        .value_kind:     by_value
      - .address_space:  global
        .offset:         32
        .size:           8
        .value_kind:     global_buffer
      - .offset:         40
        .size:           8
        .value_kind:     by_value
      - .offset:         48
        .size:           8
        .value_kind:     by_value
      - .address_space:  global
        .offset:         56
        .size:           8
        .value_kind:     global_buffer
      - .offset:         64
        .size:           8
        .value_kind:     by_value
      - .offset:         72
        .size:           8
        .value_kind:     by_value
      - .offset:         80
        .size:           4
        .value_kind:     by_value
      - .address_space:  global
        .offset:         88
        .size:           8
        .value_kind:     global_buffer
      - .offset:         96
        .size:           8
        .value_kind:     by_value
      - .offset:         104
        .size:           8
        .value_kind:     by_value
      - .address_space:  global
        .offset:         112
        .size:           8
        .value_kind:     global_buffer
      - .offset:         120
        .size:           8
        .value_kind:     by_value
      - .offset:         128
        .size:           8
        .value_kind:     by_value
      - .offset:         136
        .size:           4
        .value_kind:     by_value
    .group_segment_fixed_size: 2048
    .kernarg_segment_align: 8
    .kernarg_segment_size: 140
    .language:       OpenCL C
    .language_version:
      - 2
      - 0
    .max_flat_workgroup_size: 256
    .name:           _ZN12_GLOBAL__N_127rocblas_gemm_batched_kernelIfLi16ELi16ELi32ELi32ELi8ELi32ELi8ELi8ELi32ELc78ELc67EKfS1_fEEvlllT_PT11_llS4_llS2_PT12_llPT13_lli
    .private_segment_fixed_size: 0
    .sgpr_count:     28
    .sgpr_spill_count: 0
    .symbol:         _ZN12_GLOBAL__N_127rocblas_gemm_batched_kernelIfLi16ELi16ELi32ELi32ELi8ELi32ELi8ELi8ELi32ELc78ELc67EKfS1_fEEvlllT_PT11_llS4_llS2_PT12_llPT13_lli.kd
    .uniform_work_group_size: 1
    .uses_dynamic_stack: false
    .vgpr_count:     70
    .vgpr_spill_count: 0
    .wavefront_size: 64
  - .agpr_count:     0
    .args:
      - .offset:         0
        .size:           8
        .value_kind:     by_value
      - .offset:         8
        .size:           8
        .value_kind:     by_value
      - .offset:         16
        .size:           8
        .value_kind:     by_value
      - .offset:         24
        .size:           4
        .value_kind:     by_value
      - .address_space:  global
        .offset:         32
        .size:           8
        .value_kind:     global_buffer
      - .offset:         40
        .size:           8
        .value_kind:     by_value
      - .offset:         48
        .size:           8
        .value_kind:     by_value
      - .address_space:  global
        .offset:         56
        .size:           8
        .value_kind:     global_buffer
      - .offset:         64
        .size:           8
        .value_kind:     by_value
      - .offset:         72
        .size:           8
        .value_kind:     by_value
      - .offset:         80
        .size:           4
        .value_kind:     by_value
      - .address_space:  global
        .offset:         88
        .size:           8
        .value_kind:     global_buffer
      - .offset:         96
        .size:           8
        .value_kind:     by_value
      - .offset:         104
        .size:           8
        .value_kind:     by_value
      - .address_space:  global
        .offset:         112
        .size:           8
        .value_kind:     global_buffer
      - .offset:         120
        .size:           8
        .value_kind:     by_value
      - .offset:         128
        .size:           8
        .value_kind:     by_value
      - .offset:         136
        .size:           4
        .value_kind:     by_value
    .group_segment_fixed_size: 2048
    .kernarg_segment_align: 8
    .kernarg_segment_size: 140
    .language:       OpenCL C
    .language_version:
      - 2
      - 0
    .max_flat_workgroup_size: 256
    .name:           _ZN12_GLOBAL__N_127rocblas_gemm_batched_kernelIfLi16ELi16ELi32ELi32ELi8ELi32ELi8ELi8ELi32ELc84ELc67EKfS1_fEEvlllT_PT11_llS4_llS2_PT12_llPT13_lli
    .private_segment_fixed_size: 0
    .sgpr_count:     28
    .sgpr_spill_count: 0
    .symbol:         _ZN12_GLOBAL__N_127rocblas_gemm_batched_kernelIfLi16ELi16ELi32ELi32ELi8ELi32ELi8ELi8ELi32ELc84ELc67EKfS1_fEEvlllT_PT11_llS4_llS2_PT12_llPT13_lli.kd
    .uniform_work_group_size: 1
    .uses_dynamic_stack: false
    .vgpr_count:     70
    .vgpr_spill_count: 0
    .wavefront_size: 64
  - .agpr_count:     0
    .args:
      - .offset:         0
        .size:           8
        .value_kind:     by_value
      - .offset:         8
        .size:           8
        .value_kind:     by_value
      - .offset:         16
        .size:           8
        .value_kind:     by_value
      - .offset:         24
        .size:           4
        .value_kind:     by_value
      - .address_space:  global
        .offset:         32
        .size:           8
        .value_kind:     global_buffer
      - .offset:         40
        .size:           8
        .value_kind:     by_value
      - .offset:         48
        .size:           8
        .value_kind:     by_value
      - .address_space:  global
        .offset:         56
        .size:           8
        .value_kind:     global_buffer
      - .offset:         64
        .size:           8
        .value_kind:     by_value
      - .offset:         72
        .size:           8
        .value_kind:     by_value
      - .offset:         80
        .size:           4
        .value_kind:     by_value
      - .address_space:  global
        .offset:         88
        .size:           8
        .value_kind:     global_buffer
      - .offset:         96
        .size:           8
        .value_kind:     by_value
      - .offset:         104
        .size:           8
        .value_kind:     by_value
      - .address_space:  global
        .offset:         112
        .size:           8
        .value_kind:     global_buffer
      - .offset:         120
        .size:           8
        .value_kind:     by_value
      - .offset:         128
        .size:           8
        .value_kind:     by_value
      - .offset:         136
        .size:           4
        .value_kind:     by_value
    .group_segment_fixed_size: 2048
    .kernarg_segment_align: 8
    .kernarg_segment_size: 140
    .language:       OpenCL C
    .language_version:
      - 2
      - 0
    .max_flat_workgroup_size: 256
    .name:           _ZN12_GLOBAL__N_135rocblas_gemm_batched_general_kernelIfLi16ELi16ELi32ELi32ELi8ELi32ELi8ELi8ELi32ELc78ELc78EKfS1_fEEvlllT_PT11_llS4_llS2_PT12_llPT13_lli
    .private_segment_fixed_size: 0
    .sgpr_count:     44
    .sgpr_spill_count: 0
    .symbol:         _ZN12_GLOBAL__N_135rocblas_gemm_batched_general_kernelIfLi16ELi16ELi32ELi32ELi8ELi32ELi8ELi8ELi32ELc78ELc78EKfS1_fEEvlllT_PT11_llS4_llS2_PT12_llPT13_lli.kd
    .uniform_work_group_size: 1
    .uses_dynamic_stack: false
    .vgpr_count:     52
    .vgpr_spill_count: 0
    .wavefront_size: 64
  - .agpr_count:     0
    .args:
      - .offset:         0
        .size:           8
        .value_kind:     by_value
      - .offset:         8
        .size:           8
        .value_kind:     by_value
      - .offset:         16
        .size:           8
        .value_kind:     by_value
      - .offset:         24
        .size:           4
        .value_kind:     by_value
      - .address_space:  global
        .offset:         32
        .size:           8
        .value_kind:     global_buffer
      - .offset:         40
        .size:           8
        .value_kind:     by_value
      - .offset:         48
        .size:           8
        .value_kind:     by_value
      - .address_space:  global
        .offset:         56
        .size:           8
        .value_kind:     global_buffer
      - .offset:         64
        .size:           8
        .value_kind:     by_value
      - .offset:         72
        .size:           8
        .value_kind:     by_value
      - .offset:         80
        .size:           4
        .value_kind:     by_value
      - .address_space:  global
        .offset:         88
        .size:           8
        .value_kind:     global_buffer
      - .offset:         96
        .size:           8
        .value_kind:     by_value
      - .offset:         104
        .size:           8
        .value_kind:     by_value
      - .address_space:  global
        .offset:         112
        .size:           8
        .value_kind:     global_buffer
      - .offset:         120
        .size:           8
        .value_kind:     by_value
      - .offset:         128
        .size:           8
        .value_kind:     by_value
      - .offset:         136
        .size:           4
        .value_kind:     by_value
    .group_segment_fixed_size: 2048
    .kernarg_segment_align: 8
    .kernarg_segment_size: 140
    .language:       OpenCL C
    .language_version:
      - 2
      - 0
    .max_flat_workgroup_size: 256
    .name:           _ZN12_GLOBAL__N_135rocblas_gemm_batched_general_kernelIfLi16ELi16ELi32ELi32ELi8ELi32ELi8ELi8ELi32ELc84ELc78EKfS1_fEEvlllT_PT11_llS4_llS2_PT12_llPT13_lli
    .private_segment_fixed_size: 0
    .sgpr_count:     36
    .sgpr_spill_count: 0
    .symbol:         _ZN12_GLOBAL__N_135rocblas_gemm_batched_general_kernelIfLi16ELi16ELi32ELi32ELi8ELi32ELi8ELi8ELi32ELc84ELc78EKfS1_fEEvlllT_PT11_llS4_llS2_PT12_llPT13_lli.kd
    .uniform_work_group_size: 1
    .uses_dynamic_stack: false
    .vgpr_count:     50
    .vgpr_spill_count: 0
    .wavefront_size: 64
  - .agpr_count:     0
    .args:
      - .offset:         0
        .size:           8
        .value_kind:     by_value
      - .offset:         8
        .size:           8
        .value_kind:     by_value
      - .offset:         16
        .size:           8
        .value_kind:     by_value
      - .offset:         24
        .size:           4
        .value_kind:     by_value
      - .address_space:  global
        .offset:         32
        .size:           8
        .value_kind:     global_buffer
      - .offset:         40
        .size:           8
        .value_kind:     by_value
      - .offset:         48
        .size:           8
        .value_kind:     by_value
      - .address_space:  global
        .offset:         56
        .size:           8
        .value_kind:     global_buffer
      - .offset:         64
        .size:           8
        .value_kind:     by_value
      - .offset:         72
        .size:           8
        .value_kind:     by_value
      - .offset:         80
        .size:           4
        .value_kind:     by_value
      - .address_space:  global
        .offset:         88
        .size:           8
        .value_kind:     global_buffer
      - .offset:         96
        .size:           8
        .value_kind:     by_value
      - .offset:         104
        .size:           8
        .value_kind:     by_value
      - .address_space:  global
        .offset:         112
        .size:           8
        .value_kind:     global_buffer
      - .offset:         120
        .size:           8
        .value_kind:     by_value
      - .offset:         128
        .size:           8
        .value_kind:     by_value
      - .offset:         136
        .size:           4
        .value_kind:     by_value
    .group_segment_fixed_size: 2048
    .kernarg_segment_align: 8
    .kernarg_segment_size: 140
    .language:       OpenCL C
    .language_version:
      - 2
      - 0
    .max_flat_workgroup_size: 256
    .name:           _ZN12_GLOBAL__N_135rocblas_gemm_batched_general_kernelIfLi16ELi16ELi32ELi32ELi8ELi32ELi8ELi8ELi32ELc78ELc84EKfS1_fEEvlllT_PT11_llS4_llS2_PT12_llPT13_lli
    .private_segment_fixed_size: 0
    .sgpr_count:     42
    .sgpr_spill_count: 0
    .symbol:         _ZN12_GLOBAL__N_135rocblas_gemm_batched_general_kernelIfLi16ELi16ELi32ELi32ELi8ELi32ELi8ELi8ELi32ELc78ELc84EKfS1_fEEvlllT_PT11_llS4_llS2_PT12_llPT13_lli.kd
    .uniform_work_group_size: 1
    .uses_dynamic_stack: false
    .vgpr_count:     52
    .vgpr_spill_count: 0
    .wavefront_size: 64
  - .agpr_count:     0
    .args:
      - .offset:         0
        .size:           8
        .value_kind:     by_value
      - .offset:         8
        .size:           8
        .value_kind:     by_value
      - .offset:         16
        .size:           8
        .value_kind:     by_value
      - .offset:         24
        .size:           4
        .value_kind:     by_value
      - .address_space:  global
        .offset:         32
        .size:           8
        .value_kind:     global_buffer
      - .offset:         40
        .size:           8
        .value_kind:     by_value
      - .offset:         48
        .size:           8
        .value_kind:     by_value
      - .address_space:  global
        .offset:         56
        .size:           8
        .value_kind:     global_buffer
      - .offset:         64
        .size:           8
        .value_kind:     by_value
      - .offset:         72
        .size:           8
        .value_kind:     by_value
      - .offset:         80
        .size:           4
        .value_kind:     by_value
      - .address_space:  global
        .offset:         88
        .size:           8
        .value_kind:     global_buffer
      - .offset:         96
        .size:           8
        .value_kind:     by_value
      - .offset:         104
        .size:           8
        .value_kind:     by_value
      - .address_space:  global
        .offset:         112
        .size:           8
        .value_kind:     global_buffer
      - .offset:         120
        .size:           8
        .value_kind:     by_value
      - .offset:         128
        .size:           8
        .value_kind:     by_value
      - .offset:         136
        .size:           4
        .value_kind:     by_value
    .group_segment_fixed_size: 2048
    .kernarg_segment_align: 8
    .kernarg_segment_size: 140
    .language:       OpenCL C
    .language_version:
      - 2
      - 0
    .max_flat_workgroup_size: 256
    .name:           _ZN12_GLOBAL__N_135rocblas_gemm_batched_general_kernelIfLi16ELi16ELi32ELi32ELi8ELi32ELi8ELi8ELi32ELc84ELc84EKfS1_fEEvlllT_PT11_llS4_llS2_PT12_llPT13_lli
    .private_segment_fixed_size: 0
    .sgpr_count:     40
    .sgpr_spill_count: 0
    .symbol:         _ZN12_GLOBAL__N_135rocblas_gemm_batched_general_kernelIfLi16ELi16ELi32ELi32ELi8ELi32ELi8ELi8ELi32ELc84ELc84EKfS1_fEEvlllT_PT11_llS4_llS2_PT12_llPT13_lli.kd
    .uniform_work_group_size: 1
    .uses_dynamic_stack: false
    .vgpr_count:     52
    .vgpr_spill_count: 0
    .wavefront_size: 64
  - .agpr_count:     0
    .args:
      - .offset:         0
        .size:           8
        .value_kind:     by_value
      - .offset:         8
        .size:           8
        .value_kind:     by_value
      - .offset:         16
        .size:           8
        .value_kind:     by_value
      - .offset:         24
        .size:           4
        .value_kind:     by_value
      - .address_space:  global
        .offset:         32
        .size:           8
        .value_kind:     global_buffer
      - .offset:         40
        .size:           8
        .value_kind:     by_value
      - .offset:         48
        .size:           8
        .value_kind:     by_value
      - .address_space:  global
        .offset:         56
        .size:           8
        .value_kind:     global_buffer
      - .offset:         64
        .size:           8
        .value_kind:     by_value
      - .offset:         72
        .size:           8
        .value_kind:     by_value
      - .offset:         80
        .size:           4
        .value_kind:     by_value
      - .address_space:  global
        .offset:         88
        .size:           8
        .value_kind:     global_buffer
      - .offset:         96
        .size:           8
        .value_kind:     by_value
      - .offset:         104
        .size:           8
        .value_kind:     by_value
      - .address_space:  global
        .offset:         112
        .size:           8
        .value_kind:     global_buffer
      - .offset:         120
        .size:           8
        .value_kind:     by_value
      - .offset:         128
        .size:           8
        .value_kind:     by_value
      - .offset:         136
        .size:           4
        .value_kind:     by_value
    .group_segment_fixed_size: 2048
    .kernarg_segment_align: 8
    .kernarg_segment_size: 140
    .language:       OpenCL C
    .language_version:
      - 2
      - 0
    .max_flat_workgroup_size: 256
    .name:           _ZN12_GLOBAL__N_135rocblas_gemm_batched_general_kernelIfLi16ELi16ELi32ELi32ELi8ELi32ELi8ELi8ELi32ELc67ELc67EKfS1_fEEvlllT_PT11_llS4_llS2_PT12_llPT13_lli
    .private_segment_fixed_size: 0
    .sgpr_count:     40
    .sgpr_spill_count: 0
    .symbol:         _ZN12_GLOBAL__N_135rocblas_gemm_batched_general_kernelIfLi16ELi16ELi32ELi32ELi8ELi32ELi8ELi8ELi32ELc67ELc67EKfS1_fEEvlllT_PT11_llS4_llS2_PT12_llPT13_lli.kd
    .uniform_work_group_size: 1
    .uses_dynamic_stack: false
    .vgpr_count:     52
    .vgpr_spill_count: 0
    .wavefront_size: 64
  - .agpr_count:     0
    .args:
      - .offset:         0
        .size:           8
        .value_kind:     by_value
      - .offset:         8
        .size:           8
        .value_kind:     by_value
      - .offset:         16
        .size:           8
        .value_kind:     by_value
      - .offset:         24
        .size:           4
        .value_kind:     by_value
      - .address_space:  global
        .offset:         32
        .size:           8
        .value_kind:     global_buffer
      - .offset:         40
        .size:           8
        .value_kind:     by_value
      - .offset:         48
        .size:           8
        .value_kind:     by_value
      - .address_space:  global
        .offset:         56
        .size:           8
        .value_kind:     global_buffer
      - .offset:         64
        .size:           8
        .value_kind:     by_value
      - .offset:         72
        .size:           8
        .value_kind:     by_value
      - .offset:         80
        .size:           4
        .value_kind:     by_value
      - .address_space:  global
        .offset:         88
        .size:           8
        .value_kind:     global_buffer
      - .offset:         96
        .size:           8
        .value_kind:     by_value
      - .offset:         104
        .size:           8
        .value_kind:     by_value
      - .address_space:  global
        .offset:         112
        .size:           8
        .value_kind:     global_buffer
      - .offset:         120
        .size:           8
        .value_kind:     by_value
      - .offset:         128
        .size:           8
        .value_kind:     by_value
      - .offset:         136
        .size:           4
        .value_kind:     by_value
    .group_segment_fixed_size: 2048
    .kernarg_segment_align: 8
    .kernarg_segment_size: 140
    .language:       OpenCL C
    .language_version:
      - 2
      - 0
    .max_flat_workgroup_size: 256
    .name:           _ZN12_GLOBAL__N_135rocblas_gemm_batched_general_kernelIfLi16ELi16ELi32ELi32ELi8ELi32ELi8ELi8ELi32ELc67ELc78EKfS1_fEEvlllT_PT11_llS4_llS2_PT12_llPT13_lli
    .private_segment_fixed_size: 0
    .sgpr_count:     36
    .sgpr_spill_count: 0
    .symbol:         _ZN12_GLOBAL__N_135rocblas_gemm_batched_general_kernelIfLi16ELi16ELi32ELi32ELi8ELi32ELi8ELi8ELi32ELc67ELc78EKfS1_fEEvlllT_PT11_llS4_llS2_PT12_llPT13_lli.kd
    .uniform_work_group_size: 1
    .uses_dynamic_stack: false
    .vgpr_count:     50
    .vgpr_spill_count: 0
    .wavefront_size: 64
  - .agpr_count:     0
    .args:
      - .offset:         0
        .size:           8
        .value_kind:     by_value
      - .offset:         8
        .size:           8
        .value_kind:     by_value
      - .offset:         16
        .size:           8
        .value_kind:     by_value
      - .offset:         24
        .size:           4
        .value_kind:     by_value
      - .address_space:  global
        .offset:         32
        .size:           8
        .value_kind:     global_buffer
      - .offset:         40
        .size:           8
        .value_kind:     by_value
      - .offset:         48
        .size:           8
        .value_kind:     by_value
      - .address_space:  global
        .offset:         56
        .size:           8
        .value_kind:     global_buffer
      - .offset:         64
        .size:           8
        .value_kind:     by_value
      - .offset:         72
        .size:           8
        .value_kind:     by_value
      - .offset:         80
        .size:           4
        .value_kind:     by_value
      - .address_space:  global
        .offset:         88
        .size:           8
        .value_kind:     global_buffer
      - .offset:         96
        .size:           8
        .value_kind:     by_value
      - .offset:         104
        .size:           8
        .value_kind:     by_value
      - .address_space:  global
        .offset:         112
        .size:           8
        .value_kind:     global_buffer
      - .offset:         120
        .size:           8
        .value_kind:     by_value
      - .offset:         128
        .size:           8
        .value_kind:     by_value
      - .offset:         136
        .size:           4
        .value_kind:     by_value
    .group_segment_fixed_size: 2048
    .kernarg_segment_align: 8
    .kernarg_segment_size: 140
    .language:       OpenCL C
    .language_version:
      - 2
      - 0
    .max_flat_workgroup_size: 256
    .name:           _ZN12_GLOBAL__N_135rocblas_gemm_batched_general_kernelIfLi16ELi16ELi32ELi32ELi8ELi32ELi8ELi8ELi32ELc67ELc84EKfS1_fEEvlllT_PT11_llS4_llS2_PT12_llPT13_lli
    .private_segment_fixed_size: 0
    .sgpr_count:     40
    .sgpr_spill_count: 0
    .symbol:         _ZN12_GLOBAL__N_135rocblas_gemm_batched_general_kernelIfLi16ELi16ELi32ELi32ELi8ELi32ELi8ELi8ELi32ELc67ELc84EKfS1_fEEvlllT_PT11_llS4_llS2_PT12_llPT13_lli.kd
    .uniform_work_group_size: 1
    .uses_dynamic_stack: false
    .vgpr_count:     52
    .vgpr_spill_count: 0
    .wavefront_size: 64
  - .agpr_count:     0
    .args:
      - .offset:         0
        .size:           8
        .value_kind:     by_value
      - .offset:         8
        .size:           8
        .value_kind:     by_value
      - .offset:         16
        .size:           8
        .value_kind:     by_value
      - .offset:         24
        .size:           4
        .value_kind:     by_value
      - .address_space:  global
        .offset:         32
        .size:           8
        .value_kind:     global_buffer
      - .offset:         40
        .size:           8
        .value_kind:     by_value
      - .offset:         48
        .size:           8
        .value_kind:     by_value
      - .address_space:  global
        .offset:         56
        .size:           8
        .value_kind:     global_buffer
      - .offset:         64
        .size:           8
        .value_kind:     by_value
      - .offset:         72
        .size:           8
        .value_kind:     by_value
      - .offset:         80
        .size:           4
        .value_kind:     by_value
      - .address_space:  global
        .offset:         88
        .size:           8
        .value_kind:     global_buffer
      - .offset:         96
        .size:           8
        .value_kind:     by_value
      - .offset:         104
        .size:           8
        .value_kind:     by_value
      - .address_space:  global
        .offset:         112
        .size:           8
        .value_kind:     global_buffer
      - .offset:         120
        .size:           8
        .value_kind:     by_value
      - .offset:         128
        .size:           8
        .value_kind:     by_value
      - .offset:         136
        .size:           4
        .value_kind:     by_value
    .group_segment_fixed_size: 2048
    .kernarg_segment_align: 8
    .kernarg_segment_size: 140
    .language:       OpenCL C
    .language_version:
      - 2
      - 0
    .max_flat_workgroup_size: 256
    .name:           _ZN12_GLOBAL__N_135rocblas_gemm_batched_general_kernelIfLi16ELi16ELi32ELi32ELi8ELi32ELi8ELi8ELi32ELc78ELc67EKfS1_fEEvlllT_PT11_llS4_llS2_PT12_llPT13_lli
    .private_segment_fixed_size: 0
    .sgpr_count:     42
    .sgpr_spill_count: 0
    .symbol:         _ZN12_GLOBAL__N_135rocblas_gemm_batched_general_kernelIfLi16ELi16ELi32ELi32ELi8ELi32ELi8ELi8ELi32ELc78ELc67EKfS1_fEEvlllT_PT11_llS4_llS2_PT12_llPT13_lli.kd
    .uniform_work_group_size: 1
    .uses_dynamic_stack: false
    .vgpr_count:     52
    .vgpr_spill_count: 0
    .wavefront_size: 64
  - .agpr_count:     0
    .args:
      - .offset:         0
        .size:           8
        .value_kind:     by_value
      - .offset:         8
        .size:           8
        .value_kind:     by_value
      - .offset:         16
        .size:           8
        .value_kind:     by_value
      - .offset:         24
        .size:           4
        .value_kind:     by_value
      - .address_space:  global
        .offset:         32
        .size:           8
        .value_kind:     global_buffer
      - .offset:         40
        .size:           8
        .value_kind:     by_value
      - .offset:         48
        .size:           8
        .value_kind:     by_value
      - .address_space:  global
        .offset:         56
        .size:           8
        .value_kind:     global_buffer
      - .offset:         64
        .size:           8
        .value_kind:     by_value
      - .offset:         72
        .size:           8
        .value_kind:     by_value
      - .offset:         80
        .size:           4
        .value_kind:     by_value
      - .address_space:  global
        .offset:         88
        .size:           8
        .value_kind:     global_buffer
      - .offset:         96
        .size:           8
        .value_kind:     by_value
      - .offset:         104
        .size:           8
        .value_kind:     by_value
      - .address_space:  global
        .offset:         112
        .size:           8
        .value_kind:     global_buffer
      - .offset:         120
        .size:           8
        .value_kind:     by_value
      - .offset:         128
        .size:           8
        .value_kind:     by_value
      - .offset:         136
        .size:           4
        .value_kind:     by_value
    .group_segment_fixed_size: 2048
    .kernarg_segment_align: 8
    .kernarg_segment_size: 140
    .language:       OpenCL C
    .language_version:
      - 2
      - 0
    .max_flat_workgroup_size: 256
    .name:           _ZN12_GLOBAL__N_135rocblas_gemm_batched_general_kernelIfLi16ELi16ELi32ELi32ELi8ELi32ELi8ELi8ELi32ELc84ELc67EKfS1_fEEvlllT_PT11_llS4_llS2_PT12_llPT13_lli
    .private_segment_fixed_size: 0
    .sgpr_count:     40
    .sgpr_spill_count: 0
    .symbol:         _ZN12_GLOBAL__N_135rocblas_gemm_batched_general_kernelIfLi16ELi16ELi32ELi32ELi8ELi32ELi8ELi8ELi32ELc84ELc67EKfS1_fEEvlllT_PT11_llS4_llS2_PT12_llPT13_lli.kd
    .uniform_work_group_size: 1
    .uses_dynamic_stack: false
    .vgpr_count:     52
    .vgpr_spill_count: 0
    .wavefront_size: 64
  - .agpr_count:     0
    .args:
      - .offset:         0
        .size:           4
        .value_kind:     by_value
      - .offset:         4
        .size:           4
        .value_kind:     by_value
      - .offset:         8
        .size:           8
        .value_kind:     by_value
      - .address_space:  global
        .offset:         16
        .size:           8
        .value_kind:     global_buffer
      - .offset:         24
        .size:           8
        .value_kind:     by_value
      - .offset:         32
        .size:           8
        .value_kind:     by_value
      - .offset:         40
        .size:           8
        .value_kind:     by_value
      - .offset:         48
        .size:           4
        .value_kind:     by_value
    .group_segment_fixed_size: 0
    .kernarg_segment_align: 8
    .kernarg_segment_size: 52
    .language:       OpenCL C
    .language_version:
      - 2
      - 0
    .max_flat_workgroup_size: 1024
    .name:           _ZN12_GLOBAL__N_125rocblas_gemm_scale_kernelILi32ELi32EdPdEEviiT1_T2_llli
    .private_segment_fixed_size: 0
    .sgpr_count:     24
    .sgpr_spill_count: 0
    .symbol:         _ZN12_GLOBAL__N_125rocblas_gemm_scale_kernelILi32ELi32EdPdEEviiT1_T2_llli.kd
    .uniform_work_group_size: 1
    .uses_dynamic_stack: false
    .vgpr_count:     8
    .vgpr_spill_count: 0
    .wavefront_size: 64
  - .agpr_count:     0
    .args:
      - .offset:         0
        .size:           4
        .value_kind:     by_value
      - .offset:         4
        .size:           4
        .value_kind:     by_value
      - .offset:         8
        .size:           8
        .value_kind:     by_value
      - .address_space:  global
        .offset:         16
        .size:           8
        .value_kind:     global_buffer
      - .offset:         24
        .size:           8
        .value_kind:     by_value
      - .offset:         32
        .size:           8
        .value_kind:     by_value
      - .offset:         40
        .size:           8
        .value_kind:     by_value
      - .address_space:  global
        .offset:         48
        .size:           8
        .value_kind:     global_buffer
      - .offset:         56
        .size:           8
        .value_kind:     by_value
      - .offset:         64
        .size:           8
        .value_kind:     by_value
      - .offset:         72
        .size:           8
        .value_kind:     by_value
      - .offset:         80
        .size:           4
        .value_kind:     by_value
    .group_segment_fixed_size: 0
    .kernarg_segment_align: 8
    .kernarg_segment_size: 84
    .language:       OpenCL C
    .language_version:
      - 2
      - 0
    .max_flat_workgroup_size: 1024
    .name:           _ZN12_GLOBAL__N_120gemm_ex_scale_kernelILi32ELi32EdPKdPdEEviiT1_T2_lllT3_llli
    .private_segment_fixed_size: 0
    .sgpr_count:     32
    .sgpr_spill_count: 0
    .symbol:         _ZN12_GLOBAL__N_120gemm_ex_scale_kernelILi32ELi32EdPKdPdEEviiT1_T2_lllT3_llli.kd
    .uniform_work_group_size: 1
    .uses_dynamic_stack: false
    .vgpr_count:     10
    .vgpr_spill_count: 0
    .wavefront_size: 64
  - .agpr_count:     0
    .args:
      - .offset:         0
        .size:           8
        .value_kind:     by_value
      - .offset:         8
        .size:           8
        .value_kind:     by_value
      - .offset:         16
        .size:           8
        .value_kind:     by_value
      - .offset:         24
        .size:           8
        .value_kind:     by_value
      - .address_space:  global
        .offset:         32
        .size:           8
        .value_kind:     global_buffer
      - .offset:         40
        .size:           8
        .value_kind:     by_value
      - .offset:         48
        .size:           8
        .value_kind:     by_value
      - .address_space:  global
        .offset:         56
        .size:           8
        .value_kind:     global_buffer
      - .offset:         64
        .size:           8
        .value_kind:     by_value
      - .offset:         72
        .size:           8
        .value_kind:     by_value
      - .offset:         80
        .size:           8
        .value_kind:     by_value
      - .address_space:  global
        .offset:         88
        .size:           8
        .value_kind:     global_buffer
      - .offset:         96
        .size:           8
        .value_kind:     by_value
      - .offset:         104
        .size:           8
        .value_kind:     by_value
      - .address_space:  global
        .offset:         112
        .size:           8
        .value_kind:     global_buffer
      - .offset:         120
        .size:           8
        .value_kind:     by_value
      - .offset:         128
        .size:           8
        .value_kind:     by_value
      - .offset:         136
        .size:           4
        .value_kind:     by_value
    .group_segment_fixed_size: 4096
    .kernarg_segment_align: 8
    .kernarg_segment_size: 140
    .language:       OpenCL C
    .language_version:
      - 2
      - 0
    .max_flat_workgroup_size: 256
    .name:           _ZN12_GLOBAL__N_127rocblas_gemm_batched_kernelIdLi16ELi16ELi64ELi64ELi4ELi64ELi4ELi4ELi64ELc78ELc78EKdS1_dEEvlllT_PT11_llS4_llS2_PT12_llPT13_lli
    .private_segment_fixed_size: 0
    .sgpr_count:     36
    .sgpr_spill_count: 0
    .symbol:         _ZN12_GLOBAL__N_127rocblas_gemm_batched_kernelIdLi16ELi16ELi64ELi64ELi4ELi64ELi4ELi4ELi64ELc78ELc78EKdS1_dEEvlllT_PT11_llS4_llS2_PT12_llPT13_lli.kd
    .uniform_work_group_size: 1
    .uses_dynamic_stack: false
    .vgpr_count:     86
    .vgpr_spill_count: 0
    .wavefront_size: 64
  - .agpr_count:     0
    .args:
      - .offset:         0
        .size:           8
        .value_kind:     by_value
      - .offset:         8
        .size:           8
        .value_kind:     by_value
      - .offset:         16
        .size:           8
        .value_kind:     by_value
      - .offset:         24
        .size:           8
        .value_kind:     by_value
      - .address_space:  global
        .offset:         32
        .size:           8
        .value_kind:     global_buffer
      - .offset:         40
        .size:           8
        .value_kind:     by_value
      - .offset:         48
        .size:           8
        .value_kind:     by_value
      - .address_space:  global
        .offset:         56
        .size:           8
        .value_kind:     global_buffer
      - .offset:         64
        .size:           8
        .value_kind:     by_value
      - .offset:         72
        .size:           8
        .value_kind:     by_value
      - .offset:         80
        .size:           8
        .value_kind:     by_value
      - .address_space:  global
        .offset:         88
        .size:           8
        .value_kind:     global_buffer
      - .offset:         96
        .size:           8
        .value_kind:     by_value
      - .offset:         104
        .size:           8
        .value_kind:     by_value
      - .address_space:  global
        .offset:         112
        .size:           8
        .value_kind:     global_buffer
      - .offset:         120
        .size:           8
        .value_kind:     by_value
      - .offset:         128
        .size:           8
        .value_kind:     by_value
      - .offset:         136
        .size:           4
        .value_kind:     by_value
    .group_segment_fixed_size: 4096
    .kernarg_segment_align: 8
    .kernarg_segment_size: 140
    .language:       OpenCL C
    .language_version:
      - 2
      - 0
    .max_flat_workgroup_size: 256
    .name:           _ZN12_GLOBAL__N_127rocblas_gemm_batched_kernelIdLi16ELi16ELi64ELi64ELi4ELi64ELi4ELi4ELi64ELc84ELc78EKdS1_dEEvlllT_PT11_llS4_llS2_PT12_llPT13_lli
    .private_segment_fixed_size: 0
    .sgpr_count:     36
    .sgpr_spill_count: 0
    .symbol:         _ZN12_GLOBAL__N_127rocblas_gemm_batched_kernelIdLi16ELi16ELi64ELi64ELi4ELi64ELi4ELi4ELi64ELc84ELc78EKdS1_dEEvlllT_PT11_llS4_llS2_PT12_llPT13_lli.kd
    .uniform_work_group_size: 1
    .uses_dynamic_stack: false
    .vgpr_count:     84
    .vgpr_spill_count: 0
    .wavefront_size: 64
  - .agpr_count:     0
    .args:
      - .offset:         0
        .size:           8
        .value_kind:     by_value
      - .offset:         8
        .size:           8
        .value_kind:     by_value
      - .offset:         16
        .size:           8
        .value_kind:     by_value
      - .offset:         24
        .size:           8
        .value_kind:     by_value
      - .address_space:  global
        .offset:         32
        .size:           8
        .value_kind:     global_buffer
      - .offset:         40
        .size:           8
        .value_kind:     by_value
      - .offset:         48
        .size:           8
        .value_kind:     by_value
      - .address_space:  global
        .offset:         56
        .size:           8
        .value_kind:     global_buffer
      - .offset:         64
        .size:           8
        .value_kind:     by_value
      - .offset:         72
        .size:           8
        .value_kind:     by_value
      - .offset:         80
        .size:           8
        .value_kind:     by_value
      - .address_space:  global
        .offset:         88
        .size:           8
        .value_kind:     global_buffer
      - .offset:         96
        .size:           8
        .value_kind:     by_value
      - .offset:         104
        .size:           8
        .value_kind:     by_value
      - .address_space:  global
        .offset:         112
        .size:           8
        .value_kind:     global_buffer
      - .offset:         120
        .size:           8
        .value_kind:     by_value
      - .offset:         128
        .size:           8
        .value_kind:     by_value
      - .offset:         136
        .size:           4
        .value_kind:     by_value
    .group_segment_fixed_size: 4096
    .kernarg_segment_align: 8
    .kernarg_segment_size: 140
    .language:       OpenCL C
    .language_version:
      - 2
      - 0
    .max_flat_workgroup_size: 256
    .name:           _ZN12_GLOBAL__N_127rocblas_gemm_batched_kernelIdLi16ELi16ELi64ELi64ELi4ELi64ELi4ELi4ELi64ELc78ELc84EKdS1_dEEvlllT_PT11_llS4_llS2_PT12_llPT13_lli
    .private_segment_fixed_size: 0
    .sgpr_count:     36
    .sgpr_spill_count: 0
    .symbol:         _ZN12_GLOBAL__N_127rocblas_gemm_batched_kernelIdLi16ELi16ELi64ELi64ELi4ELi64ELi4ELi4ELi64ELc78ELc84EKdS1_dEEvlllT_PT11_llS4_llS2_PT12_llPT13_lli.kd
    .uniform_work_group_size: 1
    .uses_dynamic_stack: false
    .vgpr_count:     86
    .vgpr_spill_count: 0
    .wavefront_size: 64
  - .agpr_count:     0
    .args:
      - .offset:         0
        .size:           8
        .value_kind:     by_value
      - .offset:         8
        .size:           8
        .value_kind:     by_value
      - .offset:         16
        .size:           8
        .value_kind:     by_value
      - .offset:         24
        .size:           8
        .value_kind:     by_value
      - .address_space:  global
        .offset:         32
        .size:           8
        .value_kind:     global_buffer
      - .offset:         40
        .size:           8
        .value_kind:     by_value
      - .offset:         48
        .size:           8
        .value_kind:     by_value
      - .address_space:  global
        .offset:         56
        .size:           8
        .value_kind:     global_buffer
      - .offset:         64
        .size:           8
        .value_kind:     by_value
      - .offset:         72
        .size:           8
        .value_kind:     by_value
      - .offset:         80
        .size:           8
        .value_kind:     by_value
      - .address_space:  global
        .offset:         88
        .size:           8
        .value_kind:     global_buffer
      - .offset:         96
        .size:           8
        .value_kind:     by_value
      - .offset:         104
        .size:           8
        .value_kind:     by_value
      - .address_space:  global
        .offset:         112
        .size:           8
        .value_kind:     global_buffer
      - .offset:         120
        .size:           8
        .value_kind:     by_value
      - .offset:         128
        .size:           8
        .value_kind:     by_value
      - .offset:         136
        .size:           4
        .value_kind:     by_value
    .group_segment_fixed_size: 4096
    .kernarg_segment_align: 8
    .kernarg_segment_size: 140
    .language:       OpenCL C
    .language_version:
      - 2
      - 0
    .max_flat_workgroup_size: 256
    .name:           _ZN12_GLOBAL__N_127rocblas_gemm_batched_kernelIdLi16ELi16ELi64ELi64ELi4ELi64ELi4ELi4ELi64ELc84ELc84EKdS1_dEEvlllT_PT11_llS4_llS2_PT12_llPT13_lli
    .private_segment_fixed_size: 0
    .sgpr_count:     36
    .sgpr_spill_count: 0
    .symbol:         _ZN12_GLOBAL__N_127rocblas_gemm_batched_kernelIdLi16ELi16ELi64ELi64ELi4ELi64ELi4ELi4ELi64ELc84ELc84EKdS1_dEEvlllT_PT11_llS4_llS2_PT12_llPT13_lli.kd
    .uniform_work_group_size: 1
    .uses_dynamic_stack: false
    .vgpr_count:     86
    .vgpr_spill_count: 0
    .wavefront_size: 64
  - .agpr_count:     0
    .args:
      - .offset:         0
        .size:           8
        .value_kind:     by_value
      - .offset:         8
        .size:           8
        .value_kind:     by_value
      - .offset:         16
        .size:           8
        .value_kind:     by_value
      - .offset:         24
        .size:           8
        .value_kind:     by_value
      - .address_space:  global
        .offset:         32
        .size:           8
        .value_kind:     global_buffer
      - .offset:         40
        .size:           8
        .value_kind:     by_value
      - .offset:         48
        .size:           8
        .value_kind:     by_value
      - .address_space:  global
        .offset:         56
        .size:           8
        .value_kind:     global_buffer
      - .offset:         64
        .size:           8
        .value_kind:     by_value
      - .offset:         72
        .size:           8
        .value_kind:     by_value
      - .offset:         80
        .size:           8
        .value_kind:     by_value
      - .address_space:  global
        .offset:         88
        .size:           8
        .value_kind:     global_buffer
      - .offset:         96
        .size:           8
        .value_kind:     by_value
      - .offset:         104
        .size:           8
        .value_kind:     by_value
      - .address_space:  global
        .offset:         112
        .size:           8
        .value_kind:     global_buffer
      - .offset:         120
        .size:           8
        .value_kind:     by_value
      - .offset:         128
        .size:           8
        .value_kind:     by_value
      - .offset:         136
        .size:           4
        .value_kind:     by_value
    .group_segment_fixed_size: 4096
    .kernarg_segment_align: 8
    .kernarg_segment_size: 140
    .language:       OpenCL C
    .language_version:
      - 2
      - 0
    .max_flat_workgroup_size: 256
    .name:           _ZN12_GLOBAL__N_127rocblas_gemm_batched_kernelIdLi16ELi16ELi64ELi64ELi4ELi64ELi4ELi4ELi64ELc67ELc67EKdS1_dEEvlllT_PT11_llS4_llS2_PT12_llPT13_lli
    .private_segment_fixed_size: 0
    .sgpr_count:     36
    .sgpr_spill_count: 0
    .symbol:         _ZN12_GLOBAL__N_127rocblas_gemm_batched_kernelIdLi16ELi16ELi64ELi64ELi4ELi64ELi4ELi4ELi64ELc67ELc67EKdS1_dEEvlllT_PT11_llS4_llS2_PT12_llPT13_lli.kd
    .uniform_work_group_size: 1
    .uses_dynamic_stack: false
    .vgpr_count:     86
    .vgpr_spill_count: 0
    .wavefront_size: 64
  - .agpr_count:     0
    .args:
      - .offset:         0
        .size:           8
        .value_kind:     by_value
      - .offset:         8
        .size:           8
        .value_kind:     by_value
      - .offset:         16
        .size:           8
        .value_kind:     by_value
      - .offset:         24
        .size:           8
        .value_kind:     by_value
      - .address_space:  global
        .offset:         32
        .size:           8
        .value_kind:     global_buffer
      - .offset:         40
        .size:           8
        .value_kind:     by_value
      - .offset:         48
        .size:           8
        .value_kind:     by_value
      - .address_space:  global
        .offset:         56
        .size:           8
        .value_kind:     global_buffer
      - .offset:         64
        .size:           8
        .value_kind:     by_value
      - .offset:         72
        .size:           8
        .value_kind:     by_value
      - .offset:         80
        .size:           8
        .value_kind:     by_value
      - .address_space:  global
        .offset:         88
        .size:           8
        .value_kind:     global_buffer
      - .offset:         96
        .size:           8
        .value_kind:     by_value
      - .offset:         104
        .size:           8
        .value_kind:     by_value
      - .address_space:  global
        .offset:         112
        .size:           8
        .value_kind:     global_buffer
      - .offset:         120
        .size:           8
        .value_kind:     by_value
      - .offset:         128
        .size:           8
        .value_kind:     by_value
      - .offset:         136
        .size:           4
        .value_kind:     by_value
    .group_segment_fixed_size: 4096
    .kernarg_segment_align: 8
    .kernarg_segment_size: 140
    .language:       OpenCL C
    .language_version:
      - 2
      - 0
    .max_flat_workgroup_size: 256
    .name:           _ZN12_GLOBAL__N_127rocblas_gemm_batched_kernelIdLi16ELi16ELi64ELi64ELi4ELi64ELi4ELi4ELi64ELc67ELc78EKdS1_dEEvlllT_PT11_llS4_llS2_PT12_llPT13_lli
    .private_segment_fixed_size: 0
    .sgpr_count:     36
    .sgpr_spill_count: 0
    .symbol:         _ZN12_GLOBAL__N_127rocblas_gemm_batched_kernelIdLi16ELi16ELi64ELi64ELi4ELi64ELi4ELi4ELi64ELc67ELc78EKdS1_dEEvlllT_PT11_llS4_llS2_PT12_llPT13_lli.kd
    .uniform_work_group_size: 1
    .uses_dynamic_stack: false
    .vgpr_count:     84
    .vgpr_spill_count: 0
    .wavefront_size: 64
  - .agpr_count:     0
    .args:
      - .offset:         0
        .size:           8
        .value_kind:     by_value
      - .offset:         8
        .size:           8
        .value_kind:     by_value
      - .offset:         16
        .size:           8
        .value_kind:     by_value
      - .offset:         24
        .size:           8
        .value_kind:     by_value
      - .address_space:  global
        .offset:         32
        .size:           8
        .value_kind:     global_buffer
      - .offset:         40
        .size:           8
        .value_kind:     by_value
      - .offset:         48
        .size:           8
        .value_kind:     by_value
      - .address_space:  global
        .offset:         56
        .size:           8
        .value_kind:     global_buffer
      - .offset:         64
        .size:           8
        .value_kind:     by_value
      - .offset:         72
        .size:           8
        .value_kind:     by_value
      - .offset:         80
        .size:           8
        .value_kind:     by_value
      - .address_space:  global
        .offset:         88
        .size:           8
        .value_kind:     global_buffer
      - .offset:         96
        .size:           8
        .value_kind:     by_value
      - .offset:         104
        .size:           8
        .value_kind:     by_value
      - .address_space:  global
        .offset:         112
        .size:           8
        .value_kind:     global_buffer
      - .offset:         120
        .size:           8
        .value_kind:     by_value
      - .offset:         128
        .size:           8
        .value_kind:     by_value
      - .offset:         136
        .size:           4
        .value_kind:     by_value
    .group_segment_fixed_size: 4096
    .kernarg_segment_align: 8
    .kernarg_segment_size: 140
    .language:       OpenCL C
    .language_version:
      - 2
      - 0
    .max_flat_workgroup_size: 256
    .name:           _ZN12_GLOBAL__N_127rocblas_gemm_batched_kernelIdLi16ELi16ELi64ELi64ELi4ELi64ELi4ELi4ELi64ELc67ELc84EKdS1_dEEvlllT_PT11_llS4_llS2_PT12_llPT13_lli
    .private_segment_fixed_size: 0
    .sgpr_count:     36
    .sgpr_spill_count: 0
    .symbol:         _ZN12_GLOBAL__N_127rocblas_gemm_batched_kernelIdLi16ELi16ELi64ELi64ELi4ELi64ELi4ELi4ELi64ELc67ELc84EKdS1_dEEvlllT_PT11_llS4_llS2_PT12_llPT13_lli.kd
    .uniform_work_group_size: 1
    .uses_dynamic_stack: false
    .vgpr_count:     86
    .vgpr_spill_count: 0
    .wavefront_size: 64
  - .agpr_count:     0
    .args:
      - .offset:         0
        .size:           8
        .value_kind:     by_value
      - .offset:         8
        .size:           8
        .value_kind:     by_value
      - .offset:         16
        .size:           8
        .value_kind:     by_value
      - .offset:         24
        .size:           8
        .value_kind:     by_value
      - .address_space:  global
        .offset:         32
        .size:           8
        .value_kind:     global_buffer
      - .offset:         40
        .size:           8
        .value_kind:     by_value
      - .offset:         48
        .size:           8
        .value_kind:     by_value
      - .address_space:  global
        .offset:         56
        .size:           8
        .value_kind:     global_buffer
      - .offset:         64
        .size:           8
        .value_kind:     by_value
      - .offset:         72
        .size:           8
        .value_kind:     by_value
      - .offset:         80
        .size:           8
        .value_kind:     by_value
      - .address_space:  global
        .offset:         88
        .size:           8
        .value_kind:     global_buffer
      - .offset:         96
        .size:           8
        .value_kind:     by_value
      - .offset:         104
        .size:           8
        .value_kind:     by_value
      - .address_space:  global
        .offset:         112
        .size:           8
        .value_kind:     global_buffer
      - .offset:         120
        .size:           8
        .value_kind:     by_value
      - .offset:         128
        .size:           8
        .value_kind:     by_value
      - .offset:         136
        .size:           4
        .value_kind:     by_value
    .group_segment_fixed_size: 4096
    .kernarg_segment_align: 8
    .kernarg_segment_size: 140
    .language:       OpenCL C
    .language_version:
      - 2
      - 0
    .max_flat_workgroup_size: 256
    .name:           _ZN12_GLOBAL__N_127rocblas_gemm_batched_kernelIdLi16ELi16ELi64ELi64ELi4ELi64ELi4ELi4ELi64ELc78ELc67EKdS1_dEEvlllT_PT11_llS4_llS2_PT12_llPT13_lli
    .private_segment_fixed_size: 0
    .sgpr_count:     36
    .sgpr_spill_count: 0
    .symbol:         _ZN12_GLOBAL__N_127rocblas_gemm_batched_kernelIdLi16ELi16ELi64ELi64ELi4ELi64ELi4ELi4ELi64ELc78ELc67EKdS1_dEEvlllT_PT11_llS4_llS2_PT12_llPT13_lli.kd
    .uniform_work_group_size: 1
    .uses_dynamic_stack: false
    .vgpr_count:     86
    .vgpr_spill_count: 0
    .wavefront_size: 64
  - .agpr_count:     0
    .args:
      - .offset:         0
        .size:           8
        .value_kind:     by_value
      - .offset:         8
        .size:           8
        .value_kind:     by_value
      - .offset:         16
        .size:           8
        .value_kind:     by_value
      - .offset:         24
        .size:           8
        .value_kind:     by_value
      - .address_space:  global
        .offset:         32
        .size:           8
        .value_kind:     global_buffer
      - .offset:         40
        .size:           8
        .value_kind:     by_value
      - .offset:         48
        .size:           8
        .value_kind:     by_value
      - .address_space:  global
        .offset:         56
        .size:           8
        .value_kind:     global_buffer
      - .offset:         64
        .size:           8
        .value_kind:     by_value
      - .offset:         72
        .size:           8
        .value_kind:     by_value
      - .offset:         80
        .size:           8
        .value_kind:     by_value
      - .address_space:  global
        .offset:         88
        .size:           8
        .value_kind:     global_buffer
      - .offset:         96
        .size:           8
        .value_kind:     by_value
      - .offset:         104
        .size:           8
        .value_kind:     by_value
      - .address_space:  global
        .offset:         112
        .size:           8
        .value_kind:     global_buffer
      - .offset:         120
        .size:           8
        .value_kind:     by_value
      - .offset:         128
        .size:           8
        .value_kind:     by_value
      - .offset:         136
        .size:           4
        .value_kind:     by_value
    .group_segment_fixed_size: 4096
    .kernarg_segment_align: 8
    .kernarg_segment_size: 140
    .language:       OpenCL C
    .language_version:
      - 2
      - 0
    .max_flat_workgroup_size: 256
    .name:           _ZN12_GLOBAL__N_127rocblas_gemm_batched_kernelIdLi16ELi16ELi64ELi64ELi4ELi64ELi4ELi4ELi64ELc84ELc67EKdS1_dEEvlllT_PT11_llS4_llS2_PT12_llPT13_lli
    .private_segment_fixed_size: 0
    .sgpr_count:     36
    .sgpr_spill_count: 0
    .symbol:         _ZN12_GLOBAL__N_127rocblas_gemm_batched_kernelIdLi16ELi16ELi64ELi64ELi4ELi64ELi4ELi4ELi64ELc84ELc67EKdS1_dEEvlllT_PT11_llS4_llS2_PT12_llPT13_lli.kd
    .uniform_work_group_size: 1
    .uses_dynamic_stack: false
    .vgpr_count:     86
    .vgpr_spill_count: 0
    .wavefront_size: 64
  - .agpr_count:     0
    .args:
      - .offset:         0
        .size:           8
        .value_kind:     by_value
      - .offset:         8
        .size:           8
        .value_kind:     by_value
      - .offset:         16
        .size:           8
        .value_kind:     by_value
      - .offset:         24
        .size:           8
        .value_kind:     by_value
      - .address_space:  global
        .offset:         32
        .size:           8
        .value_kind:     global_buffer
      - .offset:         40
        .size:           8
        .value_kind:     by_value
      - .offset:         48
        .size:           8
        .value_kind:     by_value
      - .address_space:  global
        .offset:         56
        .size:           8
        .value_kind:     global_buffer
      - .offset:         64
        .size:           8
        .value_kind:     by_value
      - .offset:         72
        .size:           8
        .value_kind:     by_value
      - .offset:         80
        .size:           8
        .value_kind:     by_value
      - .address_space:  global
        .offset:         88
        .size:           8
        .value_kind:     global_buffer
      - .offset:         96
        .size:           8
        .value_kind:     by_value
      - .offset:         104
        .size:           8
        .value_kind:     by_value
      - .address_space:  global
        .offset:         112
        .size:           8
        .value_kind:     global_buffer
      - .offset:         120
        .size:           8
        .value_kind:     by_value
      - .offset:         128
        .size:           8
        .value_kind:     by_value
      - .offset:         136
        .size:           4
        .value_kind:     by_value
    .group_segment_fixed_size: 4096
    .kernarg_segment_align: 8
    .kernarg_segment_size: 140
    .language:       OpenCL C
    .language_version:
      - 2
      - 0
    .max_flat_workgroup_size: 256
    .name:           _ZN12_GLOBAL__N_127rocblas_gemm_batched_kernelIdLi16ELi16ELi32ELi32ELi8ELi32ELi8ELi8ELi32ELc78ELc78EKdS1_dEEvlllT_PT11_llS4_llS2_PT12_llPT13_lli
    .private_segment_fixed_size: 0
    .sgpr_count:     36
    .sgpr_spill_count: 0
    .symbol:         _ZN12_GLOBAL__N_127rocblas_gemm_batched_kernelIdLi16ELi16ELi32ELi32ELi8ELi32ELi8ELi8ELi32ELc78ELc78EKdS1_dEEvlllT_PT11_llS4_llS2_PT12_llPT13_lli.kd
    .uniform_work_group_size: 1
    .uses_dynamic_stack: false
    .vgpr_count:     62
    .vgpr_spill_count: 0
    .wavefront_size: 64
  - .agpr_count:     0
    .args:
      - .offset:         0
        .size:           8
        .value_kind:     by_value
      - .offset:         8
        .size:           8
        .value_kind:     by_value
      - .offset:         16
        .size:           8
        .value_kind:     by_value
      - .offset:         24
        .size:           8
        .value_kind:     by_value
      - .address_space:  global
        .offset:         32
        .size:           8
        .value_kind:     global_buffer
      - .offset:         40
        .size:           8
        .value_kind:     by_value
      - .offset:         48
        .size:           8
        .value_kind:     by_value
      - .address_space:  global
        .offset:         56
        .size:           8
        .value_kind:     global_buffer
      - .offset:         64
        .size:           8
        .value_kind:     by_value
      - .offset:         72
        .size:           8
        .value_kind:     by_value
      - .offset:         80
        .size:           8
        .value_kind:     by_value
      - .address_space:  global
        .offset:         88
        .size:           8
        .value_kind:     global_buffer
      - .offset:         96
        .size:           8
        .value_kind:     by_value
      - .offset:         104
        .size:           8
        .value_kind:     by_value
      - .address_space:  global
        .offset:         112
        .size:           8
        .value_kind:     global_buffer
      - .offset:         120
        .size:           8
        .value_kind:     by_value
      - .offset:         128
        .size:           8
        .value_kind:     by_value
      - .offset:         136
        .size:           4
        .value_kind:     by_value
    .group_segment_fixed_size: 4096
    .kernarg_segment_align: 8
    .kernarg_segment_size: 140
    .language:       OpenCL C
    .language_version:
      - 2
      - 0
    .max_flat_workgroup_size: 256
    .name:           _ZN12_GLOBAL__N_127rocblas_gemm_batched_kernelIdLi16ELi16ELi32ELi32ELi8ELi32ELi8ELi8ELi32ELc84ELc78EKdS1_dEEvlllT_PT11_llS4_llS2_PT12_llPT13_lli
    .private_segment_fixed_size: 0
    .sgpr_count:     36
    .sgpr_spill_count: 0
    .symbol:         _ZN12_GLOBAL__N_127rocblas_gemm_batched_kernelIdLi16ELi16ELi32ELi32ELi8ELi32ELi8ELi8ELi32ELc84ELc78EKdS1_dEEvlllT_PT11_llS4_llS2_PT12_llPT13_lli.kd
    .uniform_work_group_size: 1
    .uses_dynamic_stack: false
    .vgpr_count:     60
    .vgpr_spill_count: 0
    .wavefront_size: 64
  - .agpr_count:     0
    .args:
      - .offset:         0
        .size:           8
        .value_kind:     by_value
      - .offset:         8
        .size:           8
        .value_kind:     by_value
      - .offset:         16
        .size:           8
        .value_kind:     by_value
      - .offset:         24
        .size:           8
        .value_kind:     by_value
      - .address_space:  global
        .offset:         32
        .size:           8
        .value_kind:     global_buffer
      - .offset:         40
        .size:           8
        .value_kind:     by_value
      - .offset:         48
        .size:           8
        .value_kind:     by_value
      - .address_space:  global
        .offset:         56
        .size:           8
        .value_kind:     global_buffer
      - .offset:         64
        .size:           8
        .value_kind:     by_value
      - .offset:         72
        .size:           8
        .value_kind:     by_value
      - .offset:         80
        .size:           8
        .value_kind:     by_value
      - .address_space:  global
        .offset:         88
        .size:           8
        .value_kind:     global_buffer
      - .offset:         96
        .size:           8
        .value_kind:     by_value
      - .offset:         104
        .size:           8
        .value_kind:     by_value
      - .address_space:  global
        .offset:         112
        .size:           8
        .value_kind:     global_buffer
      - .offset:         120
        .size:           8
        .value_kind:     by_value
      - .offset:         128
        .size:           8
        .value_kind:     by_value
      - .offset:         136
        .size:           4
        .value_kind:     by_value
    .group_segment_fixed_size: 4096
    .kernarg_segment_align: 8
    .kernarg_segment_size: 140
    .language:       OpenCL C
    .language_version:
      - 2
      - 0
    .max_flat_workgroup_size: 256
    .name:           _ZN12_GLOBAL__N_127rocblas_gemm_batched_kernelIdLi16ELi16ELi32ELi32ELi8ELi32ELi8ELi8ELi32ELc78ELc84EKdS1_dEEvlllT_PT11_llS4_llS2_PT12_llPT13_lli
    .private_segment_fixed_size: 0
    .sgpr_count:     36
    .sgpr_spill_count: 0
    .symbol:         _ZN12_GLOBAL__N_127rocblas_gemm_batched_kernelIdLi16ELi16ELi32ELi32ELi8ELi32ELi8ELi8ELi32ELc78ELc84EKdS1_dEEvlllT_PT11_llS4_llS2_PT12_llPT13_lli.kd
    .uniform_work_group_size: 1
    .uses_dynamic_stack: false
    .vgpr_count:     62
    .vgpr_spill_count: 0
    .wavefront_size: 64
  - .agpr_count:     0
    .args:
      - .offset:         0
        .size:           8
        .value_kind:     by_value
      - .offset:         8
        .size:           8
        .value_kind:     by_value
      - .offset:         16
        .size:           8
        .value_kind:     by_value
      - .offset:         24
        .size:           8
        .value_kind:     by_value
      - .address_space:  global
        .offset:         32
        .size:           8
        .value_kind:     global_buffer
      - .offset:         40
        .size:           8
        .value_kind:     by_value
      - .offset:         48
        .size:           8
        .value_kind:     by_value
      - .address_space:  global
        .offset:         56
        .size:           8
        .value_kind:     global_buffer
      - .offset:         64
        .size:           8
        .value_kind:     by_value
      - .offset:         72
        .size:           8
        .value_kind:     by_value
      - .offset:         80
        .size:           8
        .value_kind:     by_value
      - .address_space:  global
        .offset:         88
        .size:           8
        .value_kind:     global_buffer
      - .offset:         96
        .size:           8
        .value_kind:     by_value
      - .offset:         104
        .size:           8
        .value_kind:     by_value
      - .address_space:  global
        .offset:         112
        .size:           8
        .value_kind:     global_buffer
      - .offset:         120
        .size:           8
        .value_kind:     by_value
      - .offset:         128
        .size:           8
        .value_kind:     by_value
      - .offset:         136
        .size:           4
        .value_kind:     by_value
    .group_segment_fixed_size: 4096
    .kernarg_segment_align: 8
    .kernarg_segment_size: 140
    .language:       OpenCL C
    .language_version:
      - 2
      - 0
    .max_flat_workgroup_size: 256
    .name:           _ZN12_GLOBAL__N_127rocblas_gemm_batched_kernelIdLi16ELi16ELi32ELi32ELi8ELi32ELi8ELi8ELi32ELc84ELc84EKdS1_dEEvlllT_PT11_llS4_llS2_PT12_llPT13_lli
    .private_segment_fixed_size: 0
    .sgpr_count:     36
    .sgpr_spill_count: 0
    .symbol:         _ZN12_GLOBAL__N_127rocblas_gemm_batched_kernelIdLi16ELi16ELi32ELi32ELi8ELi32ELi8ELi8ELi32ELc84ELc84EKdS1_dEEvlllT_PT11_llS4_llS2_PT12_llPT13_lli.kd
    .uniform_work_group_size: 1
    .uses_dynamic_stack: false
    .vgpr_count:     62
    .vgpr_spill_count: 0
    .wavefront_size: 64
  - .agpr_count:     0
    .args:
      - .offset:         0
        .size:           8
        .value_kind:     by_value
      - .offset:         8
        .size:           8
        .value_kind:     by_value
      - .offset:         16
        .size:           8
        .value_kind:     by_value
      - .offset:         24
        .size:           8
        .value_kind:     by_value
      - .address_space:  global
        .offset:         32
        .size:           8
        .value_kind:     global_buffer
      - .offset:         40
        .size:           8
        .value_kind:     by_value
      - .offset:         48
        .size:           8
        .value_kind:     by_value
      - .address_space:  global
        .offset:         56
        .size:           8
        .value_kind:     global_buffer
      - .offset:         64
        .size:           8
        .value_kind:     by_value
      - .offset:         72
        .size:           8
        .value_kind:     by_value
      - .offset:         80
        .size:           8
        .value_kind:     by_value
      - .address_space:  global
        .offset:         88
        .size:           8
        .value_kind:     global_buffer
      - .offset:         96
        .size:           8
        .value_kind:     by_value
      - .offset:         104
        .size:           8
        .value_kind:     by_value
      - .address_space:  global
        .offset:         112
        .size:           8
        .value_kind:     global_buffer
      - .offset:         120
        .size:           8
        .value_kind:     by_value
      - .offset:         128
        .size:           8
        .value_kind:     by_value
      - .offset:         136
        .size:           4
        .value_kind:     by_value
    .group_segment_fixed_size: 4096
    .kernarg_segment_align: 8
    .kernarg_segment_size: 140
    .language:       OpenCL C
    .language_version:
      - 2
      - 0
    .max_flat_workgroup_size: 256
    .name:           _ZN12_GLOBAL__N_127rocblas_gemm_batched_kernelIdLi16ELi16ELi32ELi32ELi8ELi32ELi8ELi8ELi32ELc67ELc67EKdS1_dEEvlllT_PT11_llS4_llS2_PT12_llPT13_lli
    .private_segment_fixed_size: 0
    .sgpr_count:     36
    .sgpr_spill_count: 0
    .symbol:         _ZN12_GLOBAL__N_127rocblas_gemm_batched_kernelIdLi16ELi16ELi32ELi32ELi8ELi32ELi8ELi8ELi32ELc67ELc67EKdS1_dEEvlllT_PT11_llS4_llS2_PT12_llPT13_lli.kd
    .uniform_work_group_size: 1
    .uses_dynamic_stack: false
    .vgpr_count:     62
    .vgpr_spill_count: 0
    .wavefront_size: 64
  - .agpr_count:     0
    .args:
      - .offset:         0
        .size:           8
        .value_kind:     by_value
      - .offset:         8
        .size:           8
        .value_kind:     by_value
      - .offset:         16
        .size:           8
        .value_kind:     by_value
      - .offset:         24
        .size:           8
        .value_kind:     by_value
      - .address_space:  global
        .offset:         32
        .size:           8
        .value_kind:     global_buffer
      - .offset:         40
        .size:           8
        .value_kind:     by_value
      - .offset:         48
        .size:           8
        .value_kind:     by_value
      - .address_space:  global
        .offset:         56
        .size:           8
        .value_kind:     global_buffer
      - .offset:         64
        .size:           8
        .value_kind:     by_value
      - .offset:         72
        .size:           8
        .value_kind:     by_value
      - .offset:         80
        .size:           8
        .value_kind:     by_value
      - .address_space:  global
        .offset:         88
        .size:           8
        .value_kind:     global_buffer
      - .offset:         96
        .size:           8
        .value_kind:     by_value
      - .offset:         104
        .size:           8
        .value_kind:     by_value
      - .address_space:  global
        .offset:         112
        .size:           8
        .value_kind:     global_buffer
      - .offset:         120
        .size:           8
        .value_kind:     by_value
      - .offset:         128
        .size:           8
        .value_kind:     by_value
      - .offset:         136
        .size:           4
        .value_kind:     by_value
    .group_segment_fixed_size: 4096
    .kernarg_segment_align: 8
    .kernarg_segment_size: 140
    .language:       OpenCL C
    .language_version:
      - 2
      - 0
    .max_flat_workgroup_size: 256
    .name:           _ZN12_GLOBAL__N_127rocblas_gemm_batched_kernelIdLi16ELi16ELi32ELi32ELi8ELi32ELi8ELi8ELi32ELc67ELc78EKdS1_dEEvlllT_PT11_llS4_llS2_PT12_llPT13_lli
    .private_segment_fixed_size: 0
    .sgpr_count:     36
    .sgpr_spill_count: 0
    .symbol:         _ZN12_GLOBAL__N_127rocblas_gemm_batched_kernelIdLi16ELi16ELi32ELi32ELi8ELi32ELi8ELi8ELi32ELc67ELc78EKdS1_dEEvlllT_PT11_llS4_llS2_PT12_llPT13_lli.kd
    .uniform_work_group_size: 1
    .uses_dynamic_stack: false
    .vgpr_count:     60
    .vgpr_spill_count: 0
    .wavefront_size: 64
  - .agpr_count:     0
    .args:
      - .offset:         0
        .size:           8
        .value_kind:     by_value
      - .offset:         8
        .size:           8
        .value_kind:     by_value
      - .offset:         16
        .size:           8
        .value_kind:     by_value
      - .offset:         24
        .size:           8
        .value_kind:     by_value
      - .address_space:  global
        .offset:         32
        .size:           8
        .value_kind:     global_buffer
      - .offset:         40
        .size:           8
        .value_kind:     by_value
      - .offset:         48
        .size:           8
        .value_kind:     by_value
      - .address_space:  global
        .offset:         56
        .size:           8
        .value_kind:     global_buffer
      - .offset:         64
        .size:           8
        .value_kind:     by_value
      - .offset:         72
        .size:           8
        .value_kind:     by_value
      - .offset:         80
        .size:           8
        .value_kind:     by_value
      - .address_space:  global
        .offset:         88
        .size:           8
        .value_kind:     global_buffer
      - .offset:         96
        .size:           8
        .value_kind:     by_value
      - .offset:         104
        .size:           8
        .value_kind:     by_value
      - .address_space:  global
        .offset:         112
        .size:           8
        .value_kind:     global_buffer
      - .offset:         120
        .size:           8
        .value_kind:     by_value
      - .offset:         128
        .size:           8
        .value_kind:     by_value
      - .offset:         136
        .size:           4
        .value_kind:     by_value
    .group_segment_fixed_size: 4096
    .kernarg_segment_align: 8
    .kernarg_segment_size: 140
    .language:       OpenCL C
    .language_version:
      - 2
      - 0
    .max_flat_workgroup_size: 256
    .name:           _ZN12_GLOBAL__N_127rocblas_gemm_batched_kernelIdLi16ELi16ELi32ELi32ELi8ELi32ELi8ELi8ELi32ELc67ELc84EKdS1_dEEvlllT_PT11_llS4_llS2_PT12_llPT13_lli
    .private_segment_fixed_size: 0
    .sgpr_count:     36
    .sgpr_spill_count: 0
    .symbol:         _ZN12_GLOBAL__N_127rocblas_gemm_batched_kernelIdLi16ELi16ELi32ELi32ELi8ELi32ELi8ELi8ELi32ELc67ELc84EKdS1_dEEvlllT_PT11_llS4_llS2_PT12_llPT13_lli.kd
    .uniform_work_group_size: 1
    .uses_dynamic_stack: false
    .vgpr_count:     62
    .vgpr_spill_count: 0
    .wavefront_size: 64
  - .agpr_count:     0
    .args:
      - .offset:         0
        .size:           8
        .value_kind:     by_value
      - .offset:         8
        .size:           8
        .value_kind:     by_value
      - .offset:         16
        .size:           8
        .value_kind:     by_value
      - .offset:         24
        .size:           8
        .value_kind:     by_value
      - .address_space:  global
        .offset:         32
        .size:           8
        .value_kind:     global_buffer
      - .offset:         40
        .size:           8
        .value_kind:     by_value
      - .offset:         48
        .size:           8
        .value_kind:     by_value
      - .address_space:  global
        .offset:         56
        .size:           8
        .value_kind:     global_buffer
      - .offset:         64
        .size:           8
        .value_kind:     by_value
      - .offset:         72
        .size:           8
        .value_kind:     by_value
      - .offset:         80
        .size:           8
        .value_kind:     by_value
      - .address_space:  global
        .offset:         88
        .size:           8
        .value_kind:     global_buffer
      - .offset:         96
        .size:           8
        .value_kind:     by_value
      - .offset:         104
        .size:           8
        .value_kind:     by_value
      - .address_space:  global
        .offset:         112
        .size:           8
        .value_kind:     global_buffer
      - .offset:         120
        .size:           8
        .value_kind:     by_value
      - .offset:         128
        .size:           8
        .value_kind:     by_value
      - .offset:         136
        .size:           4
        .value_kind:     by_value
    .group_segment_fixed_size: 4096
    .kernarg_segment_align: 8
    .kernarg_segment_size: 140
    .language:       OpenCL C
    .language_version:
      - 2
      - 0
    .max_flat_workgroup_size: 256
    .name:           _ZN12_GLOBAL__N_127rocblas_gemm_batched_kernelIdLi16ELi16ELi32ELi32ELi8ELi32ELi8ELi8ELi32ELc78ELc67EKdS1_dEEvlllT_PT11_llS4_llS2_PT12_llPT13_lli
    .private_segment_fixed_size: 0
    .sgpr_count:     36
    .sgpr_spill_count: 0
    .symbol:         _ZN12_GLOBAL__N_127rocblas_gemm_batched_kernelIdLi16ELi16ELi32ELi32ELi8ELi32ELi8ELi8ELi32ELc78ELc67EKdS1_dEEvlllT_PT11_llS4_llS2_PT12_llPT13_lli.kd
    .uniform_work_group_size: 1
    .uses_dynamic_stack: false
    .vgpr_count:     62
    .vgpr_spill_count: 0
    .wavefront_size: 64
  - .agpr_count:     0
    .args:
      - .offset:         0
        .size:           8
        .value_kind:     by_value
      - .offset:         8
        .size:           8
        .value_kind:     by_value
      - .offset:         16
        .size:           8
        .value_kind:     by_value
      - .offset:         24
        .size:           8
        .value_kind:     by_value
      - .address_space:  global
        .offset:         32
        .size:           8
        .value_kind:     global_buffer
      - .offset:         40
        .size:           8
        .value_kind:     by_value
      - .offset:         48
        .size:           8
        .value_kind:     by_value
      - .address_space:  global
        .offset:         56
        .size:           8
        .value_kind:     global_buffer
      - .offset:         64
        .size:           8
        .value_kind:     by_value
      - .offset:         72
        .size:           8
        .value_kind:     by_value
      - .offset:         80
        .size:           8
        .value_kind:     by_value
      - .address_space:  global
        .offset:         88
        .size:           8
        .value_kind:     global_buffer
      - .offset:         96
        .size:           8
        .value_kind:     by_value
      - .offset:         104
        .size:           8
        .value_kind:     by_value
      - .address_space:  global
        .offset:         112
        .size:           8
        .value_kind:     global_buffer
      - .offset:         120
        .size:           8
        .value_kind:     by_value
      - .offset:         128
        .size:           8
        .value_kind:     by_value
      - .offset:         136
        .size:           4
        .value_kind:     by_value
    .group_segment_fixed_size: 4096
    .kernarg_segment_align: 8
    .kernarg_segment_size: 140
    .language:       OpenCL C
    .language_version:
      - 2
      - 0
    .max_flat_workgroup_size: 256
    .name:           _ZN12_GLOBAL__N_127rocblas_gemm_batched_kernelIdLi16ELi16ELi32ELi32ELi8ELi32ELi8ELi8ELi32ELc84ELc67EKdS1_dEEvlllT_PT11_llS4_llS2_PT12_llPT13_lli
    .private_segment_fixed_size: 0
    .sgpr_count:     36
    .sgpr_spill_count: 0
    .symbol:         _ZN12_GLOBAL__N_127rocblas_gemm_batched_kernelIdLi16ELi16ELi32ELi32ELi8ELi32ELi8ELi8ELi32ELc84ELc67EKdS1_dEEvlllT_PT11_llS4_llS2_PT12_llPT13_lli.kd
    .uniform_work_group_size: 1
    .uses_dynamic_stack: false
    .vgpr_count:     62
    .vgpr_spill_count: 0
    .wavefront_size: 64
  - .agpr_count:     0
    .args:
      - .offset:         0
        .size:           8
        .value_kind:     by_value
      - .offset:         8
        .size:           8
        .value_kind:     by_value
      - .offset:         16
        .size:           8
        .value_kind:     by_value
      - .offset:         24
        .size:           8
        .value_kind:     by_value
      - .address_space:  global
        .offset:         32
        .size:           8
        .value_kind:     global_buffer
      - .offset:         40
        .size:           8
        .value_kind:     by_value
      - .offset:         48
        .size:           8
        .value_kind:     by_value
      - .address_space:  global
        .offset:         56
        .size:           8
        .value_kind:     global_buffer
      - .offset:         64
        .size:           8
        .value_kind:     by_value
      - .offset:         72
        .size:           8
        .value_kind:     by_value
      - .offset:         80
        .size:           8
        .value_kind:     by_value
      - .address_space:  global
        .offset:         88
        .size:           8
        .value_kind:     global_buffer
      - .offset:         96
        .size:           8
        .value_kind:     by_value
      - .offset:         104
        .size:           8
        .value_kind:     by_value
      - .address_space:  global
        .offset:         112
        .size:           8
        .value_kind:     global_buffer
      - .offset:         120
        .size:           8
        .value_kind:     by_value
      - .offset:         128
        .size:           8
        .value_kind:     by_value
      - .offset:         136
        .size:           4
        .value_kind:     by_value
    .group_segment_fixed_size: 4096
    .kernarg_segment_align: 8
    .kernarg_segment_size: 140
    .language:       OpenCL C
    .language_version:
      - 2
      - 0
    .max_flat_workgroup_size: 256
    .name:           _ZN12_GLOBAL__N_135rocblas_gemm_batched_general_kernelIdLi16ELi16ELi32ELi32ELi8ELi32ELi8ELi8ELi32ELc78ELc78EKdS1_dEEvlllT_PT11_llS4_llS2_PT12_llPT13_lli
    .private_segment_fixed_size: 0
    .sgpr_count:     56
    .sgpr_spill_count: 0
    .symbol:         _ZN12_GLOBAL__N_135rocblas_gemm_batched_general_kernelIdLi16ELi16ELi32ELi32ELi8ELi32ELi8ELi8ELi32ELc78ELc78EKdS1_dEEvlllT_PT11_llS4_llS2_PT12_llPT13_lli.kd
    .uniform_work_group_size: 1
    .uses_dynamic_stack: false
    .vgpr_count:     56
    .vgpr_spill_count: 0
    .wavefront_size: 64
  - .agpr_count:     0
    .args:
      - .offset:         0
        .size:           8
        .value_kind:     by_value
      - .offset:         8
        .size:           8
        .value_kind:     by_value
      - .offset:         16
        .size:           8
        .value_kind:     by_value
      - .offset:         24
        .size:           8
        .value_kind:     by_value
      - .address_space:  global
        .offset:         32
        .size:           8
        .value_kind:     global_buffer
      - .offset:         40
        .size:           8
        .value_kind:     by_value
      - .offset:         48
        .size:           8
        .value_kind:     by_value
      - .address_space:  global
        .offset:         56
        .size:           8
        .value_kind:     global_buffer
      - .offset:         64
        .size:           8
        .value_kind:     by_value
      - .offset:         72
        .size:           8
        .value_kind:     by_value
      - .offset:         80
        .size:           8
        .value_kind:     by_value
      - .address_space:  global
        .offset:         88
        .size:           8
        .value_kind:     global_buffer
      - .offset:         96
        .size:           8
        .value_kind:     by_value
      - .offset:         104
        .size:           8
        .value_kind:     by_value
      - .address_space:  global
        .offset:         112
        .size:           8
        .value_kind:     global_buffer
      - .offset:         120
        .size:           8
        .value_kind:     by_value
      - .offset:         128
        .size:           8
        .value_kind:     by_value
      - .offset:         136
        .size:           4
        .value_kind:     by_value
    .group_segment_fixed_size: 4096
    .kernarg_segment_align: 8
    .kernarg_segment_size: 140
    .language:       OpenCL C
    .language_version:
      - 2
      - 0
    .max_flat_workgroup_size: 256
    .name:           _ZN12_GLOBAL__N_135rocblas_gemm_batched_general_kernelIdLi16ELi16ELi32ELi32ELi8ELi32ELi8ELi8ELi32ELc84ELc78EKdS1_dEEvlllT_PT11_llS4_llS2_PT12_llPT13_lli
    .private_segment_fixed_size: 0
    .sgpr_count:     56
    .sgpr_spill_count: 0
    .symbol:         _ZN12_GLOBAL__N_135rocblas_gemm_batched_general_kernelIdLi16ELi16ELi32ELi32ELi8ELi32ELi8ELi8ELi32ELc84ELc78EKdS1_dEEvlllT_PT11_llS4_llS2_PT12_llPT13_lli.kd
    .uniform_work_group_size: 1
    .uses_dynamic_stack: false
    .vgpr_count:     58
    .vgpr_spill_count: 0
    .wavefront_size: 64
  - .agpr_count:     0
    .args:
      - .offset:         0
        .size:           8
        .value_kind:     by_value
      - .offset:         8
        .size:           8
        .value_kind:     by_value
      - .offset:         16
        .size:           8
        .value_kind:     by_value
      - .offset:         24
        .size:           8
        .value_kind:     by_value
      - .address_space:  global
        .offset:         32
        .size:           8
        .value_kind:     global_buffer
      - .offset:         40
        .size:           8
        .value_kind:     by_value
      - .offset:         48
        .size:           8
        .value_kind:     by_value
      - .address_space:  global
        .offset:         56
        .size:           8
        .value_kind:     global_buffer
      - .offset:         64
        .size:           8
        .value_kind:     by_value
      - .offset:         72
        .size:           8
        .value_kind:     by_value
      - .offset:         80
        .size:           8
        .value_kind:     by_value
      - .address_space:  global
        .offset:         88
        .size:           8
        .value_kind:     global_buffer
      - .offset:         96
        .size:           8
        .value_kind:     by_value
      - .offset:         104
        .size:           8
        .value_kind:     by_value
      - .address_space:  global
        .offset:         112
        .size:           8
        .value_kind:     global_buffer
      - .offset:         120
        .size:           8
        .value_kind:     by_value
      - .offset:         128
        .size:           8
        .value_kind:     by_value
      - .offset:         136
        .size:           4
        .value_kind:     by_value
    .group_segment_fixed_size: 4096
    .kernarg_segment_align: 8
    .kernarg_segment_size: 140
    .language:       OpenCL C
    .language_version:
      - 2
      - 0
    .max_flat_workgroup_size: 256
    .name:           _ZN12_GLOBAL__N_135rocblas_gemm_batched_general_kernelIdLi16ELi16ELi32ELi32ELi8ELi32ELi8ELi8ELi32ELc78ELc84EKdS1_dEEvlllT_PT11_llS4_llS2_PT12_llPT13_lli
    .private_segment_fixed_size: 0
    .sgpr_count:     58
    .sgpr_spill_count: 0
    .symbol:         _ZN12_GLOBAL__N_135rocblas_gemm_batched_general_kernelIdLi16ELi16ELi32ELi32ELi8ELi32ELi8ELi8ELi32ELc78ELc84EKdS1_dEEvlllT_PT11_llS4_llS2_PT12_llPT13_lli.kd
    .uniform_work_group_size: 1
    .uses_dynamic_stack: false
    .vgpr_count:     56
    .vgpr_spill_count: 0
    .wavefront_size: 64
  - .agpr_count:     0
    .args:
      - .offset:         0
        .size:           8
        .value_kind:     by_value
      - .offset:         8
        .size:           8
        .value_kind:     by_value
      - .offset:         16
        .size:           8
        .value_kind:     by_value
      - .offset:         24
        .size:           8
        .value_kind:     by_value
      - .address_space:  global
        .offset:         32
        .size:           8
        .value_kind:     global_buffer
      - .offset:         40
        .size:           8
        .value_kind:     by_value
      - .offset:         48
        .size:           8
        .value_kind:     by_value
      - .address_space:  global
        .offset:         56
        .size:           8
        .value_kind:     global_buffer
      - .offset:         64
        .size:           8
        .value_kind:     by_value
      - .offset:         72
        .size:           8
        .value_kind:     by_value
      - .offset:         80
        .size:           8
        .value_kind:     by_value
      - .address_space:  global
        .offset:         88
        .size:           8
        .value_kind:     global_buffer
      - .offset:         96
        .size:           8
        .value_kind:     by_value
      - .offset:         104
        .size:           8
        .value_kind:     by_value
      - .address_space:  global
        .offset:         112
        .size:           8
        .value_kind:     global_buffer
      - .offset:         120
        .size:           8
        .value_kind:     by_value
      - .offset:         128
        .size:           8
        .value_kind:     by_value
      - .offset:         136
        .size:           4
        .value_kind:     by_value
    .group_segment_fixed_size: 4096
    .kernarg_segment_align: 8
    .kernarg_segment_size: 140
    .language:       OpenCL C
    .language_version:
      - 2
      - 0
    .max_flat_workgroup_size: 256
    .name:           _ZN12_GLOBAL__N_135rocblas_gemm_batched_general_kernelIdLi16ELi16ELi32ELi32ELi8ELi32ELi8ELi8ELi32ELc84ELc84EKdS1_dEEvlllT_PT11_llS4_llS2_PT12_llPT13_lli
    .private_segment_fixed_size: 0
    .sgpr_count:     56
    .sgpr_spill_count: 0
    .symbol:         _ZN12_GLOBAL__N_135rocblas_gemm_batched_general_kernelIdLi16ELi16ELi32ELi32ELi8ELi32ELi8ELi8ELi32ELc84ELc84EKdS1_dEEvlllT_PT11_llS4_llS2_PT12_llPT13_lli.kd
    .uniform_work_group_size: 1
    .uses_dynamic_stack: false
    .vgpr_count:     58
    .vgpr_spill_count: 0
    .wavefront_size: 64
  - .agpr_count:     0
    .args:
      - .offset:         0
        .size:           8
        .value_kind:     by_value
      - .offset:         8
        .size:           8
        .value_kind:     by_value
      - .offset:         16
        .size:           8
        .value_kind:     by_value
      - .offset:         24
        .size:           8
        .value_kind:     by_value
      - .address_space:  global
        .offset:         32
        .size:           8
        .value_kind:     global_buffer
      - .offset:         40
        .size:           8
        .value_kind:     by_value
      - .offset:         48
        .size:           8
        .value_kind:     by_value
      - .address_space:  global
        .offset:         56
        .size:           8
        .value_kind:     global_buffer
      - .offset:         64
        .size:           8
        .value_kind:     by_value
      - .offset:         72
        .size:           8
        .value_kind:     by_value
      - .offset:         80
        .size:           8
        .value_kind:     by_value
      - .address_space:  global
        .offset:         88
        .size:           8
        .value_kind:     global_buffer
      - .offset:         96
        .size:           8
        .value_kind:     by_value
      - .offset:         104
        .size:           8
        .value_kind:     by_value
      - .address_space:  global
        .offset:         112
        .size:           8
        .value_kind:     global_buffer
      - .offset:         120
        .size:           8
        .value_kind:     by_value
      - .offset:         128
        .size:           8
        .value_kind:     by_value
      - .offset:         136
        .size:           4
        .value_kind:     by_value
    .group_segment_fixed_size: 4096
    .kernarg_segment_align: 8
    .kernarg_segment_size: 140
    .language:       OpenCL C
    .language_version:
      - 2
      - 0
    .max_flat_workgroup_size: 256
    .name:           _ZN12_GLOBAL__N_135rocblas_gemm_batched_general_kernelIdLi16ELi16ELi32ELi32ELi8ELi32ELi8ELi8ELi32ELc67ELc67EKdS1_dEEvlllT_PT11_llS4_llS2_PT12_llPT13_lli
    .private_segment_fixed_size: 0
    .sgpr_count:     56
    .sgpr_spill_count: 0
    .symbol:         _ZN12_GLOBAL__N_135rocblas_gemm_batched_general_kernelIdLi16ELi16ELi32ELi32ELi8ELi32ELi8ELi8ELi32ELc67ELc67EKdS1_dEEvlllT_PT11_llS4_llS2_PT12_llPT13_lli.kd
    .uniform_work_group_size: 1
    .uses_dynamic_stack: false
    .vgpr_count:     58
    .vgpr_spill_count: 0
    .wavefront_size: 64
  - .agpr_count:     0
    .args:
      - .offset:         0
        .size:           8
        .value_kind:     by_value
      - .offset:         8
        .size:           8
        .value_kind:     by_value
      - .offset:         16
        .size:           8
        .value_kind:     by_value
      - .offset:         24
        .size:           8
        .value_kind:     by_value
      - .address_space:  global
        .offset:         32
        .size:           8
        .value_kind:     global_buffer
      - .offset:         40
        .size:           8
        .value_kind:     by_value
      - .offset:         48
        .size:           8
        .value_kind:     by_value
      - .address_space:  global
        .offset:         56
        .size:           8
        .value_kind:     global_buffer
      - .offset:         64
        .size:           8
        .value_kind:     by_value
      - .offset:         72
        .size:           8
        .value_kind:     by_value
      - .offset:         80
        .size:           8
        .value_kind:     by_value
      - .address_space:  global
        .offset:         88
        .size:           8
        .value_kind:     global_buffer
      - .offset:         96
        .size:           8
        .value_kind:     by_value
      - .offset:         104
        .size:           8
        .value_kind:     by_value
      - .address_space:  global
        .offset:         112
        .size:           8
        .value_kind:     global_buffer
      - .offset:         120
        .size:           8
        .value_kind:     by_value
      - .offset:         128
        .size:           8
        .value_kind:     by_value
      - .offset:         136
        .size:           4
        .value_kind:     by_value
    .group_segment_fixed_size: 4096
    .kernarg_segment_align: 8
    .kernarg_segment_size: 140
    .language:       OpenCL C
    .language_version:
      - 2
      - 0
    .max_flat_workgroup_size: 256
    .name:           _ZN12_GLOBAL__N_135rocblas_gemm_batched_general_kernelIdLi16ELi16ELi32ELi32ELi8ELi32ELi8ELi8ELi32ELc67ELc78EKdS1_dEEvlllT_PT11_llS4_llS2_PT12_llPT13_lli
    .private_segment_fixed_size: 0
    .sgpr_count:     56
    .sgpr_spill_count: 0
    .symbol:         _ZN12_GLOBAL__N_135rocblas_gemm_batched_general_kernelIdLi16ELi16ELi32ELi32ELi8ELi32ELi8ELi8ELi32ELc67ELc78EKdS1_dEEvlllT_PT11_llS4_llS2_PT12_llPT13_lli.kd
    .uniform_work_group_size: 1
    .uses_dynamic_stack: false
    .vgpr_count:     58
    .vgpr_spill_count: 0
    .wavefront_size: 64
  - .agpr_count:     0
    .args:
      - .offset:         0
        .size:           8
        .value_kind:     by_value
      - .offset:         8
        .size:           8
        .value_kind:     by_value
      - .offset:         16
        .size:           8
        .value_kind:     by_value
      - .offset:         24
        .size:           8
        .value_kind:     by_value
      - .address_space:  global
        .offset:         32
        .size:           8
        .value_kind:     global_buffer
      - .offset:         40
        .size:           8
        .value_kind:     by_value
      - .offset:         48
        .size:           8
        .value_kind:     by_value
      - .address_space:  global
        .offset:         56
        .size:           8
        .value_kind:     global_buffer
      - .offset:         64
        .size:           8
        .value_kind:     by_value
      - .offset:         72
        .size:           8
        .value_kind:     by_value
      - .offset:         80
        .size:           8
        .value_kind:     by_value
      - .address_space:  global
        .offset:         88
        .size:           8
        .value_kind:     global_buffer
      - .offset:         96
        .size:           8
        .value_kind:     by_value
      - .offset:         104
        .size:           8
        .value_kind:     by_value
      - .address_space:  global
        .offset:         112
        .size:           8
        .value_kind:     global_buffer
      - .offset:         120
        .size:           8
        .value_kind:     by_value
      - .offset:         128
        .size:           8
        .value_kind:     by_value
      - .offset:         136
        .size:           4
        .value_kind:     by_value
    .group_segment_fixed_size: 4096
    .kernarg_segment_align: 8
    .kernarg_segment_size: 140
    .language:       OpenCL C
    .language_version:
      - 2
      - 0
    .max_flat_workgroup_size: 256
    .name:           _ZN12_GLOBAL__N_135rocblas_gemm_batched_general_kernelIdLi16ELi16ELi32ELi32ELi8ELi32ELi8ELi8ELi32ELc67ELc84EKdS1_dEEvlllT_PT11_llS4_llS2_PT12_llPT13_lli
    .private_segment_fixed_size: 0
    .sgpr_count:     56
    .sgpr_spill_count: 0
    .symbol:         _ZN12_GLOBAL__N_135rocblas_gemm_batched_general_kernelIdLi16ELi16ELi32ELi32ELi8ELi32ELi8ELi8ELi32ELc67ELc84EKdS1_dEEvlllT_PT11_llS4_llS2_PT12_llPT13_lli.kd
    .uniform_work_group_size: 1
    .uses_dynamic_stack: false
    .vgpr_count:     58
    .vgpr_spill_count: 0
    .wavefront_size: 64
  - .agpr_count:     0
    .args:
      - .offset:         0
        .size:           8
        .value_kind:     by_value
      - .offset:         8
        .size:           8
        .value_kind:     by_value
      - .offset:         16
        .size:           8
        .value_kind:     by_value
      - .offset:         24
        .size:           8
        .value_kind:     by_value
      - .address_space:  global
        .offset:         32
        .size:           8
        .value_kind:     global_buffer
      - .offset:         40
        .size:           8
        .value_kind:     by_value
      - .offset:         48
        .size:           8
        .value_kind:     by_value
      - .address_space:  global
        .offset:         56
        .size:           8
        .value_kind:     global_buffer
      - .offset:         64
        .size:           8
        .value_kind:     by_value
      - .offset:         72
        .size:           8
        .value_kind:     by_value
      - .offset:         80
        .size:           8
        .value_kind:     by_value
      - .address_space:  global
        .offset:         88
        .size:           8
        .value_kind:     global_buffer
      - .offset:         96
        .size:           8
        .value_kind:     by_value
      - .offset:         104
        .size:           8
        .value_kind:     by_value
      - .address_space:  global
        .offset:         112
        .size:           8
        .value_kind:     global_buffer
      - .offset:         120
        .size:           8
        .value_kind:     by_value
      - .offset:         128
        .size:           8
        .value_kind:     by_value
      - .offset:         136
        .size:           4
        .value_kind:     by_value
    .group_segment_fixed_size: 4096
    .kernarg_segment_align: 8
    .kernarg_segment_size: 140
    .language:       OpenCL C
    .language_version:
      - 2
      - 0
    .max_flat_workgroup_size: 256
    .name:           _ZN12_GLOBAL__N_135rocblas_gemm_batched_general_kernelIdLi16ELi16ELi32ELi32ELi8ELi32ELi8ELi8ELi32ELc78ELc67EKdS1_dEEvlllT_PT11_llS4_llS2_PT12_llPT13_lli
    .private_segment_fixed_size: 0
    .sgpr_count:     58
    .sgpr_spill_count: 0
    .symbol:         _ZN12_GLOBAL__N_135rocblas_gemm_batched_general_kernelIdLi16ELi16ELi32ELi32ELi8ELi32ELi8ELi8ELi32ELc78ELc67EKdS1_dEEvlllT_PT11_llS4_llS2_PT12_llPT13_lli.kd
    .uniform_work_group_size: 1
    .uses_dynamic_stack: false
    .vgpr_count:     56
    .vgpr_spill_count: 0
    .wavefront_size: 64
  - .agpr_count:     0
    .args:
      - .offset:         0
        .size:           8
        .value_kind:     by_value
      - .offset:         8
        .size:           8
        .value_kind:     by_value
      - .offset:         16
        .size:           8
        .value_kind:     by_value
      - .offset:         24
        .size:           8
        .value_kind:     by_value
      - .address_space:  global
        .offset:         32
        .size:           8
        .value_kind:     global_buffer
      - .offset:         40
        .size:           8
        .value_kind:     by_value
      - .offset:         48
        .size:           8
        .value_kind:     by_value
      - .address_space:  global
        .offset:         56
        .size:           8
        .value_kind:     global_buffer
      - .offset:         64
        .size:           8
        .value_kind:     by_value
      - .offset:         72
        .size:           8
        .value_kind:     by_value
      - .offset:         80
        .size:           8
        .value_kind:     by_value
      - .address_space:  global
        .offset:         88
        .size:           8
        .value_kind:     global_buffer
      - .offset:         96
        .size:           8
        .value_kind:     by_value
      - .offset:         104
        .size:           8
        .value_kind:     by_value
      - .address_space:  global
        .offset:         112
        .size:           8
        .value_kind:     global_buffer
      - .offset:         120
        .size:           8
        .value_kind:     by_value
      - .offset:         128
        .size:           8
        .value_kind:     by_value
      - .offset:         136
        .size:           4
        .value_kind:     by_value
    .group_segment_fixed_size: 4096
    .kernarg_segment_align: 8
    .kernarg_segment_size: 140
    .language:       OpenCL C
    .language_version:
      - 2
      - 0
    .max_flat_workgroup_size: 256
    .name:           _ZN12_GLOBAL__N_135rocblas_gemm_batched_general_kernelIdLi16ELi16ELi32ELi32ELi8ELi32ELi8ELi8ELi32ELc84ELc67EKdS1_dEEvlllT_PT11_llS4_llS2_PT12_llPT13_lli
    .private_segment_fixed_size: 0
    .sgpr_count:     56
    .sgpr_spill_count: 0
    .symbol:         _ZN12_GLOBAL__N_135rocblas_gemm_batched_general_kernelIdLi16ELi16ELi32ELi32ELi8ELi32ELi8ELi8ELi32ELc84ELc67EKdS1_dEEvlllT_PT11_llS4_llS2_PT12_llPT13_lli.kd
    .uniform_work_group_size: 1
    .uses_dynamic_stack: false
    .vgpr_count:     58
    .vgpr_spill_count: 0
    .wavefront_size: 64
  - .agpr_count:     0
    .args:
      - .offset:         0
        .size:           4
        .value_kind:     by_value
      - .offset:         4
        .size:           4
        .value_kind:     by_value
      - .offset:         8
        .size:           8
        .value_kind:     by_value
      - .address_space:  global
        .offset:         16
        .size:           8
        .value_kind:     global_buffer
      - .offset:         24
        .size:           8
        .value_kind:     by_value
      - .offset:         32
        .size:           8
        .value_kind:     by_value
      - .offset:         40
        .size:           8
        .value_kind:     by_value
      - .offset:         48
        .size:           4
        .value_kind:     by_value
    .group_segment_fixed_size: 0
    .kernarg_segment_align: 8
    .kernarg_segment_size: 52
    .language:       OpenCL C
    .language_version:
      - 2
      - 0
    .max_flat_workgroup_size: 1024
    .name:           _ZN12_GLOBAL__N_125rocblas_gemm_scale_kernelILi32ELi32E19rocblas_complex_numIfEPS2_EEviiT1_T2_llli
    .private_segment_fixed_size: 0
    .sgpr_count:     24
    .sgpr_spill_count: 0
    .symbol:         _ZN12_GLOBAL__N_125rocblas_gemm_scale_kernelILi32ELi32E19rocblas_complex_numIfEPS2_EEviiT1_T2_llli.kd
    .uniform_work_group_size: 1
    .uses_dynamic_stack: false
    .vgpr_count:     10
    .vgpr_spill_count: 0
    .wavefront_size: 64
  - .agpr_count:     0
    .args:
      - .offset:         0
        .size:           4
        .value_kind:     by_value
      - .offset:         4
        .size:           4
        .value_kind:     by_value
      - .offset:         8
        .size:           8
        .value_kind:     by_value
      - .address_space:  global
        .offset:         16
        .size:           8
        .value_kind:     global_buffer
      - .offset:         24
        .size:           8
        .value_kind:     by_value
      - .offset:         32
        .size:           8
        .value_kind:     by_value
      - .offset:         40
        .size:           8
        .value_kind:     by_value
      - .address_space:  global
        .offset:         48
        .size:           8
        .value_kind:     global_buffer
      - .offset:         56
        .size:           8
        .value_kind:     by_value
      - .offset:         64
        .size:           8
        .value_kind:     by_value
      - .offset:         72
        .size:           8
        .value_kind:     by_value
      - .offset:         80
        .size:           4
        .value_kind:     by_value
    .group_segment_fixed_size: 0
    .kernarg_segment_align: 8
    .kernarg_segment_size: 84
    .language:       OpenCL C
    .language_version:
      - 2
      - 0
    .max_flat_workgroup_size: 1024
    .name:           _ZN12_GLOBAL__N_120gemm_ex_scale_kernelILi32ELi32E19rocblas_complex_numIfEPKS2_PS2_EEviiT1_T2_lllT3_llli
    .private_segment_fixed_size: 0
    .sgpr_count:     32
    .sgpr_spill_count: 0
    .symbol:         _ZN12_GLOBAL__N_120gemm_ex_scale_kernelILi32ELi32E19rocblas_complex_numIfEPKS2_PS2_EEviiT1_T2_lllT3_llli.kd
    .uniform_work_group_size: 1
    .uses_dynamic_stack: false
    .vgpr_count:     10
    .vgpr_spill_count: 0
    .wavefront_size: 64
  - .agpr_count:     0
    .args:
      - .offset:         0
        .size:           8
        .value_kind:     by_value
      - .offset:         8
        .size:           8
        .value_kind:     by_value
      - .offset:         16
        .size:           8
        .value_kind:     by_value
      - .offset:         24
        .size:           8
        .value_kind:     by_value
      - .address_space:  global
        .offset:         32
        .size:           8
        .value_kind:     global_buffer
      - .offset:         40
        .size:           8
        .value_kind:     by_value
      - .offset:         48
        .size:           8
        .value_kind:     by_value
      - .address_space:  global
        .offset:         56
        .size:           8
        .value_kind:     global_buffer
      - .offset:         64
        .size:           8
        .value_kind:     by_value
      - .offset:         72
        .size:           8
        .value_kind:     by_value
      - .offset:         80
        .size:           8
        .value_kind:     by_value
      - .address_space:  global
        .offset:         88
        .size:           8
        .value_kind:     global_buffer
      - .offset:         96
        .size:           8
        .value_kind:     by_value
      - .offset:         104
        .size:           8
        .value_kind:     by_value
      - .address_space:  global
        .offset:         112
        .size:           8
        .value_kind:     global_buffer
      - .offset:         120
        .size:           8
        .value_kind:     by_value
      - .offset:         128
        .size:           8
        .value_kind:     by_value
      - .offset:         136
        .size:           4
        .value_kind:     by_value
    .group_segment_fixed_size: 4096
    .kernarg_segment_align: 8
    .kernarg_segment_size: 140
    .language:       OpenCL C
    .language_version:
      - 2
      - 0
    .max_flat_workgroup_size: 256
    .name:           _ZN12_GLOBAL__N_127rocblas_gemm_batched_kernelI19rocblas_complex_numIfELi16ELi16ELi64ELi64ELi4ELi64ELi4ELi4ELi64ELc78ELc78EKS2_S3_S2_EEvlllT_PT11_llS6_llS4_PT12_llPT13_lli
    .private_segment_fixed_size: 0
    .sgpr_count:     34
    .sgpr_spill_count: 0
    .symbol:         _ZN12_GLOBAL__N_127rocblas_gemm_batched_kernelI19rocblas_complex_numIfELi16ELi16ELi64ELi64ELi4ELi64ELi4ELi4ELi64ELc78ELc78EKS2_S3_S2_EEvlllT_PT11_llS6_llS4_PT12_llPT13_lli.kd
    .uniform_work_group_size: 1
    .uses_dynamic_stack: false
    .vgpr_count:     90
    .vgpr_spill_count: 0
    .wavefront_size: 64
  - .agpr_count:     0
    .args:
      - .offset:         0
        .size:           8
        .value_kind:     by_value
      - .offset:         8
        .size:           8
        .value_kind:     by_value
      - .offset:         16
        .size:           8
        .value_kind:     by_value
      - .offset:         24
        .size:           8
        .value_kind:     by_value
      - .address_space:  global
        .offset:         32
        .size:           8
        .value_kind:     global_buffer
      - .offset:         40
        .size:           8
        .value_kind:     by_value
      - .offset:         48
        .size:           8
        .value_kind:     by_value
      - .address_space:  global
        .offset:         56
        .size:           8
        .value_kind:     global_buffer
      - .offset:         64
        .size:           8
        .value_kind:     by_value
      - .offset:         72
        .size:           8
        .value_kind:     by_value
      - .offset:         80
        .size:           8
        .value_kind:     by_value
      - .address_space:  global
        .offset:         88
        .size:           8
        .value_kind:     global_buffer
      - .offset:         96
        .size:           8
        .value_kind:     by_value
      - .offset:         104
        .size:           8
        .value_kind:     by_value
      - .address_space:  global
        .offset:         112
        .size:           8
        .value_kind:     global_buffer
      - .offset:         120
        .size:           8
        .value_kind:     by_value
      - .offset:         128
        .size:           8
        .value_kind:     by_value
      - .offset:         136
        .size:           4
        .value_kind:     by_value
    .group_segment_fixed_size: 4096
    .kernarg_segment_align: 8
    .kernarg_segment_size: 140
    .language:       OpenCL C
    .language_version:
      - 2
      - 0
    .max_flat_workgroup_size: 256
    .name:           _ZN12_GLOBAL__N_127rocblas_gemm_batched_kernelI19rocblas_complex_numIfELi16ELi16ELi64ELi64ELi4ELi64ELi4ELi4ELi64ELc84ELc78EKS2_S3_S2_EEvlllT_PT11_llS6_llS4_PT12_llPT13_lli
    .private_segment_fixed_size: 0
    .sgpr_count:     34
    .sgpr_spill_count: 0
    .symbol:         _ZN12_GLOBAL__N_127rocblas_gemm_batched_kernelI19rocblas_complex_numIfELi16ELi16ELi64ELi64ELi4ELi64ELi4ELi4ELi64ELc84ELc78EKS2_S3_S2_EEvlllT_PT11_llS6_llS4_PT12_llPT13_lli.kd
    .uniform_work_group_size: 1
    .uses_dynamic_stack: false
    .vgpr_count:     88
    .vgpr_spill_count: 0
    .wavefront_size: 64
  - .agpr_count:     0
    .args:
      - .offset:         0
        .size:           8
        .value_kind:     by_value
      - .offset:         8
        .size:           8
        .value_kind:     by_value
      - .offset:         16
        .size:           8
        .value_kind:     by_value
      - .offset:         24
        .size:           8
        .value_kind:     by_value
      - .address_space:  global
        .offset:         32
        .size:           8
        .value_kind:     global_buffer
      - .offset:         40
        .size:           8
        .value_kind:     by_value
      - .offset:         48
        .size:           8
        .value_kind:     by_value
      - .address_space:  global
        .offset:         56
        .size:           8
        .value_kind:     global_buffer
      - .offset:         64
        .size:           8
        .value_kind:     by_value
      - .offset:         72
        .size:           8
        .value_kind:     by_value
      - .offset:         80
        .size:           8
        .value_kind:     by_value
      - .address_space:  global
        .offset:         88
        .size:           8
        .value_kind:     global_buffer
      - .offset:         96
        .size:           8
        .value_kind:     by_value
      - .offset:         104
        .size:           8
        .value_kind:     by_value
      - .address_space:  global
        .offset:         112
        .size:           8
        .value_kind:     global_buffer
      - .offset:         120
        .size:           8
        .value_kind:     by_value
      - .offset:         128
        .size:           8
        .value_kind:     by_value
      - .offset:         136
        .size:           4
        .value_kind:     by_value
    .group_segment_fixed_size: 4096
    .kernarg_segment_align: 8
    .kernarg_segment_size: 140
    .language:       OpenCL C
    .language_version:
      - 2
      - 0
    .max_flat_workgroup_size: 256
    .name:           _ZN12_GLOBAL__N_127rocblas_gemm_batched_kernelI19rocblas_complex_numIfELi16ELi16ELi64ELi64ELi4ELi64ELi4ELi4ELi64ELc78ELc84EKS2_S3_S2_EEvlllT_PT11_llS6_llS4_PT12_llPT13_lli
    .private_segment_fixed_size: 0
    .sgpr_count:     34
    .sgpr_spill_count: 0
    .symbol:         _ZN12_GLOBAL__N_127rocblas_gemm_batched_kernelI19rocblas_complex_numIfELi16ELi16ELi64ELi64ELi4ELi64ELi4ELi4ELi64ELc78ELc84EKS2_S3_S2_EEvlllT_PT11_llS6_llS4_PT12_llPT13_lli.kd
    .uniform_work_group_size: 1
    .uses_dynamic_stack: false
    .vgpr_count:     90
    .vgpr_spill_count: 0
    .wavefront_size: 64
  - .agpr_count:     0
    .args:
      - .offset:         0
        .size:           8
        .value_kind:     by_value
      - .offset:         8
        .size:           8
        .value_kind:     by_value
      - .offset:         16
        .size:           8
        .value_kind:     by_value
      - .offset:         24
        .size:           8
        .value_kind:     by_value
      - .address_space:  global
        .offset:         32
        .size:           8
        .value_kind:     global_buffer
      - .offset:         40
        .size:           8
        .value_kind:     by_value
      - .offset:         48
        .size:           8
        .value_kind:     by_value
      - .address_space:  global
        .offset:         56
        .size:           8
        .value_kind:     global_buffer
      - .offset:         64
        .size:           8
        .value_kind:     by_value
      - .offset:         72
        .size:           8
        .value_kind:     by_value
      - .offset:         80
        .size:           8
        .value_kind:     by_value
      - .address_space:  global
        .offset:         88
        .size:           8
        .value_kind:     global_buffer
      - .offset:         96
        .size:           8
        .value_kind:     by_value
      - .offset:         104
        .size:           8
        .value_kind:     by_value
      - .address_space:  global
        .offset:         112
        .size:           8
        .value_kind:     global_buffer
      - .offset:         120
        .size:           8
        .value_kind:     by_value
      - .offset:         128
        .size:           8
        .value_kind:     by_value
      - .offset:         136
        .size:           4
        .value_kind:     by_value
    .group_segment_fixed_size: 4096
    .kernarg_segment_align: 8
    .kernarg_segment_size: 140
    .language:       OpenCL C
    .language_version:
      - 2
      - 0
    .max_flat_workgroup_size: 256
    .name:           _ZN12_GLOBAL__N_127rocblas_gemm_batched_kernelI19rocblas_complex_numIfELi16ELi16ELi64ELi64ELi4ELi64ELi4ELi4ELi64ELc84ELc84EKS2_S3_S2_EEvlllT_PT11_llS6_llS4_PT12_llPT13_lli
    .private_segment_fixed_size: 0
    .sgpr_count:     34
    .sgpr_spill_count: 0
    .symbol:         _ZN12_GLOBAL__N_127rocblas_gemm_batched_kernelI19rocblas_complex_numIfELi16ELi16ELi64ELi64ELi4ELi64ELi4ELi4ELi64ELc84ELc84EKS2_S3_S2_EEvlllT_PT11_llS6_llS4_PT12_llPT13_lli.kd
    .uniform_work_group_size: 1
    .uses_dynamic_stack: false
    .vgpr_count:     90
    .vgpr_spill_count: 0
    .wavefront_size: 64
  - .agpr_count:     0
    .args:
      - .offset:         0
        .size:           8
        .value_kind:     by_value
      - .offset:         8
        .size:           8
        .value_kind:     by_value
      - .offset:         16
        .size:           8
        .value_kind:     by_value
      - .offset:         24
        .size:           8
        .value_kind:     by_value
      - .address_space:  global
        .offset:         32
        .size:           8
        .value_kind:     global_buffer
      - .offset:         40
        .size:           8
        .value_kind:     by_value
      - .offset:         48
        .size:           8
        .value_kind:     by_value
      - .address_space:  global
        .offset:         56
        .size:           8
        .value_kind:     global_buffer
      - .offset:         64
        .size:           8
        .value_kind:     by_value
      - .offset:         72
        .size:           8
        .value_kind:     by_value
      - .offset:         80
        .size:           8
        .value_kind:     by_value
      - .address_space:  global
        .offset:         88
        .size:           8
        .value_kind:     global_buffer
      - .offset:         96
        .size:           8
        .value_kind:     by_value
      - .offset:         104
        .size:           8
        .value_kind:     by_value
      - .address_space:  global
        .offset:         112
        .size:           8
        .value_kind:     global_buffer
      - .offset:         120
        .size:           8
        .value_kind:     by_value
      - .offset:         128
        .size:           8
        .value_kind:     by_value
      - .offset:         136
        .size:           4
        .value_kind:     by_value
    .group_segment_fixed_size: 4096
    .kernarg_segment_align: 8
    .kernarg_segment_size: 140
    .language:       OpenCL C
    .language_version:
      - 2
      - 0
    .max_flat_workgroup_size: 256
    .name:           _ZN12_GLOBAL__N_127rocblas_gemm_batched_kernelI19rocblas_complex_numIfELi16ELi16ELi64ELi64ELi4ELi64ELi4ELi4ELi64ELc67ELc67EKS2_S3_S2_EEvlllT_PT11_llS6_llS4_PT12_llPT13_lli
    .private_segment_fixed_size: 0
    .sgpr_count:     34
    .sgpr_spill_count: 0
    .symbol:         _ZN12_GLOBAL__N_127rocblas_gemm_batched_kernelI19rocblas_complex_numIfELi16ELi16ELi64ELi64ELi4ELi64ELi4ELi4ELi64ELc67ELc67EKS2_S3_S2_EEvlllT_PT11_llS6_llS4_PT12_llPT13_lli.kd
    .uniform_work_group_size: 1
    .uses_dynamic_stack: false
    .vgpr_count:     90
    .vgpr_spill_count: 0
    .wavefront_size: 64
  - .agpr_count:     0
    .args:
      - .offset:         0
        .size:           8
        .value_kind:     by_value
      - .offset:         8
        .size:           8
        .value_kind:     by_value
      - .offset:         16
        .size:           8
        .value_kind:     by_value
      - .offset:         24
        .size:           8
        .value_kind:     by_value
      - .address_space:  global
        .offset:         32
        .size:           8
        .value_kind:     global_buffer
      - .offset:         40
        .size:           8
        .value_kind:     by_value
      - .offset:         48
        .size:           8
        .value_kind:     by_value
      - .address_space:  global
        .offset:         56
        .size:           8
        .value_kind:     global_buffer
      - .offset:         64
        .size:           8
        .value_kind:     by_value
      - .offset:         72
        .size:           8
        .value_kind:     by_value
      - .offset:         80
        .size:           8
        .value_kind:     by_value
      - .address_space:  global
        .offset:         88
        .size:           8
        .value_kind:     global_buffer
      - .offset:         96
        .size:           8
        .value_kind:     by_value
      - .offset:         104
        .size:           8
        .value_kind:     by_value
      - .address_space:  global
        .offset:         112
        .size:           8
        .value_kind:     global_buffer
      - .offset:         120
        .size:           8
        .value_kind:     by_value
      - .offset:         128
        .size:           8
        .value_kind:     by_value
      - .offset:         136
        .size:           4
        .value_kind:     by_value
    .group_segment_fixed_size: 4096
    .kernarg_segment_align: 8
    .kernarg_segment_size: 140
    .language:       OpenCL C
    .language_version:
      - 2
      - 0
    .max_flat_workgroup_size: 256
    .name:           _ZN12_GLOBAL__N_127rocblas_gemm_batched_kernelI19rocblas_complex_numIfELi16ELi16ELi64ELi64ELi4ELi64ELi4ELi4ELi64ELc67ELc78EKS2_S3_S2_EEvlllT_PT11_llS6_llS4_PT12_llPT13_lli
    .private_segment_fixed_size: 0
    .sgpr_count:     34
    .sgpr_spill_count: 0
    .symbol:         _ZN12_GLOBAL__N_127rocblas_gemm_batched_kernelI19rocblas_complex_numIfELi16ELi16ELi64ELi64ELi4ELi64ELi4ELi4ELi64ELc67ELc78EKS2_S3_S2_EEvlllT_PT11_llS6_llS4_PT12_llPT13_lli.kd
    .uniform_work_group_size: 1
    .uses_dynamic_stack: false
    .vgpr_count:     88
    .vgpr_spill_count: 0
    .wavefront_size: 64
  - .agpr_count:     0
    .args:
      - .offset:         0
        .size:           8
        .value_kind:     by_value
      - .offset:         8
        .size:           8
        .value_kind:     by_value
      - .offset:         16
        .size:           8
        .value_kind:     by_value
      - .offset:         24
        .size:           8
        .value_kind:     by_value
      - .address_space:  global
        .offset:         32
        .size:           8
        .value_kind:     global_buffer
      - .offset:         40
        .size:           8
        .value_kind:     by_value
      - .offset:         48
        .size:           8
        .value_kind:     by_value
      - .address_space:  global
        .offset:         56
        .size:           8
        .value_kind:     global_buffer
      - .offset:         64
        .size:           8
        .value_kind:     by_value
      - .offset:         72
        .size:           8
        .value_kind:     by_value
      - .offset:         80
        .size:           8
        .value_kind:     by_value
      - .address_space:  global
        .offset:         88
        .size:           8
        .value_kind:     global_buffer
      - .offset:         96
        .size:           8
        .value_kind:     by_value
      - .offset:         104
        .size:           8
        .value_kind:     by_value
      - .address_space:  global
        .offset:         112
        .size:           8
        .value_kind:     global_buffer
      - .offset:         120
        .size:           8
        .value_kind:     by_value
      - .offset:         128
        .size:           8
        .value_kind:     by_value
      - .offset:         136
        .size:           4
        .value_kind:     by_value
    .group_segment_fixed_size: 4096
    .kernarg_segment_align: 8
    .kernarg_segment_size: 140
    .language:       OpenCL C
    .language_version:
      - 2
      - 0
    .max_flat_workgroup_size: 256
    .name:           _ZN12_GLOBAL__N_127rocblas_gemm_batched_kernelI19rocblas_complex_numIfELi16ELi16ELi64ELi64ELi4ELi64ELi4ELi4ELi64ELc67ELc84EKS2_S3_S2_EEvlllT_PT11_llS6_llS4_PT12_llPT13_lli
    .private_segment_fixed_size: 0
    .sgpr_count:     34
    .sgpr_spill_count: 0
    .symbol:         _ZN12_GLOBAL__N_127rocblas_gemm_batched_kernelI19rocblas_complex_numIfELi16ELi16ELi64ELi64ELi4ELi64ELi4ELi4ELi64ELc67ELc84EKS2_S3_S2_EEvlllT_PT11_llS6_llS4_PT12_llPT13_lli.kd
    .uniform_work_group_size: 1
    .uses_dynamic_stack: false
    .vgpr_count:     90
    .vgpr_spill_count: 0
    .wavefront_size: 64
  - .agpr_count:     0
    .args:
      - .offset:         0
        .size:           8
        .value_kind:     by_value
      - .offset:         8
        .size:           8
        .value_kind:     by_value
      - .offset:         16
        .size:           8
        .value_kind:     by_value
      - .offset:         24
        .size:           8
        .value_kind:     by_value
      - .address_space:  global
        .offset:         32
        .size:           8
        .value_kind:     global_buffer
      - .offset:         40
        .size:           8
        .value_kind:     by_value
      - .offset:         48
        .size:           8
        .value_kind:     by_value
      - .address_space:  global
        .offset:         56
        .size:           8
        .value_kind:     global_buffer
      - .offset:         64
        .size:           8
        .value_kind:     by_value
      - .offset:         72
        .size:           8
        .value_kind:     by_value
      - .offset:         80
        .size:           8
        .value_kind:     by_value
      - .address_space:  global
        .offset:         88
        .size:           8
        .value_kind:     global_buffer
      - .offset:         96
        .size:           8
        .value_kind:     by_value
      - .offset:         104
        .size:           8
        .value_kind:     by_value
      - .address_space:  global
        .offset:         112
        .size:           8
        .value_kind:     global_buffer
      - .offset:         120
        .size:           8
        .value_kind:     by_value
      - .offset:         128
        .size:           8
        .value_kind:     by_value
      - .offset:         136
        .size:           4
        .value_kind:     by_value
    .group_segment_fixed_size: 4096
    .kernarg_segment_align: 8
    .kernarg_segment_size: 140
    .language:       OpenCL C
    .language_version:
      - 2
      - 0
    .max_flat_workgroup_size: 256
    .name:           _ZN12_GLOBAL__N_127rocblas_gemm_batched_kernelI19rocblas_complex_numIfELi16ELi16ELi64ELi64ELi4ELi64ELi4ELi4ELi64ELc78ELc67EKS2_S3_S2_EEvlllT_PT11_llS6_llS4_PT12_llPT13_lli
    .private_segment_fixed_size: 0
    .sgpr_count:     34
    .sgpr_spill_count: 0
    .symbol:         _ZN12_GLOBAL__N_127rocblas_gemm_batched_kernelI19rocblas_complex_numIfELi16ELi16ELi64ELi64ELi4ELi64ELi4ELi4ELi64ELc78ELc67EKS2_S3_S2_EEvlllT_PT11_llS6_llS4_PT12_llPT13_lli.kd
    .uniform_work_group_size: 1
    .uses_dynamic_stack: false
    .vgpr_count:     90
    .vgpr_spill_count: 0
    .wavefront_size: 64
  - .agpr_count:     0
    .args:
      - .offset:         0
        .size:           8
        .value_kind:     by_value
      - .offset:         8
        .size:           8
        .value_kind:     by_value
      - .offset:         16
        .size:           8
        .value_kind:     by_value
      - .offset:         24
        .size:           8
        .value_kind:     by_value
      - .address_space:  global
        .offset:         32
        .size:           8
        .value_kind:     global_buffer
      - .offset:         40
        .size:           8
        .value_kind:     by_value
      - .offset:         48
        .size:           8
        .value_kind:     by_value
      - .address_space:  global
        .offset:         56
        .size:           8
        .value_kind:     global_buffer
      - .offset:         64
        .size:           8
        .value_kind:     by_value
      - .offset:         72
        .size:           8
        .value_kind:     by_value
      - .offset:         80
        .size:           8
        .value_kind:     by_value
      - .address_space:  global
        .offset:         88
        .size:           8
        .value_kind:     global_buffer
      - .offset:         96
        .size:           8
        .value_kind:     by_value
      - .offset:         104
        .size:           8
        .value_kind:     by_value
      - .address_space:  global
        .offset:         112
        .size:           8
        .value_kind:     global_buffer
      - .offset:         120
        .size:           8
        .value_kind:     by_value
      - .offset:         128
        .size:           8
        .value_kind:     by_value
      - .offset:         136
        .size:           4
        .value_kind:     by_value
    .group_segment_fixed_size: 4096
    .kernarg_segment_align: 8
    .kernarg_segment_size: 140
    .language:       OpenCL C
    .language_version:
      - 2
      - 0
    .max_flat_workgroup_size: 256
    .name:           _ZN12_GLOBAL__N_127rocblas_gemm_batched_kernelI19rocblas_complex_numIfELi16ELi16ELi64ELi64ELi4ELi64ELi4ELi4ELi64ELc84ELc67EKS2_S3_S2_EEvlllT_PT11_llS6_llS4_PT12_llPT13_lli
    .private_segment_fixed_size: 0
    .sgpr_count:     34
    .sgpr_spill_count: 0
    .symbol:         _ZN12_GLOBAL__N_127rocblas_gemm_batched_kernelI19rocblas_complex_numIfELi16ELi16ELi64ELi64ELi4ELi64ELi4ELi4ELi64ELc84ELc67EKS2_S3_S2_EEvlllT_PT11_llS6_llS4_PT12_llPT13_lli.kd
    .uniform_work_group_size: 1
    .uses_dynamic_stack: false
    .vgpr_count:     90
    .vgpr_spill_count: 0
    .wavefront_size: 64
  - .agpr_count:     0
    .args:
      - .offset:         0
        .size:           8
        .value_kind:     by_value
      - .offset:         8
        .size:           8
        .value_kind:     by_value
      - .offset:         16
        .size:           8
        .value_kind:     by_value
      - .offset:         24
        .size:           8
        .value_kind:     by_value
      - .address_space:  global
        .offset:         32
        .size:           8
        .value_kind:     global_buffer
      - .offset:         40
        .size:           8
        .value_kind:     by_value
      - .offset:         48
        .size:           8
        .value_kind:     by_value
      - .address_space:  global
        .offset:         56
        .size:           8
        .value_kind:     global_buffer
      - .offset:         64
        .size:           8
        .value_kind:     by_value
      - .offset:         72
        .size:           8
        .value_kind:     by_value
      - .offset:         80
        .size:           8
        .value_kind:     by_value
      - .address_space:  global
        .offset:         88
        .size:           8
        .value_kind:     global_buffer
      - .offset:         96
        .size:           8
        .value_kind:     by_value
      - .offset:         104
        .size:           8
        .value_kind:     by_value
      - .address_space:  global
        .offset:         112
        .size:           8
        .value_kind:     global_buffer
      - .offset:         120
        .size:           8
        .value_kind:     by_value
      - .offset:         128
        .size:           8
        .value_kind:     by_value
      - .offset:         136
        .size:           4
        .value_kind:     by_value
    .group_segment_fixed_size: 4096
    .kernarg_segment_align: 8
    .kernarg_segment_size: 140
    .language:       OpenCL C
    .language_version:
      - 2
      - 0
    .max_flat_workgroup_size: 256
    .name:           _ZN12_GLOBAL__N_127rocblas_gemm_batched_kernelI19rocblas_complex_numIfELi16ELi16ELi32ELi32ELi8ELi32ELi8ELi8ELi32ELc78ELc78EKS2_S3_S2_EEvlllT_PT11_llS6_llS4_PT12_llPT13_lli
    .private_segment_fixed_size: 0
    .sgpr_count:     34
    .sgpr_spill_count: 0
    .symbol:         _ZN12_GLOBAL__N_127rocblas_gemm_batched_kernelI19rocblas_complex_numIfELi16ELi16ELi32ELi32ELi8ELi32ELi8ELi8ELi32ELc78ELc78EKS2_S3_S2_EEvlllT_PT11_llS6_llS4_PT12_llPT13_lli.kd
    .uniform_work_group_size: 1
    .uses_dynamic_stack: false
    .vgpr_count:     91
    .vgpr_spill_count: 0
    .wavefront_size: 64
  - .agpr_count:     0
    .args:
      - .offset:         0
        .size:           8
        .value_kind:     by_value
      - .offset:         8
        .size:           8
        .value_kind:     by_value
      - .offset:         16
        .size:           8
        .value_kind:     by_value
      - .offset:         24
        .size:           8
        .value_kind:     by_value
      - .address_space:  global
        .offset:         32
        .size:           8
        .value_kind:     global_buffer
      - .offset:         40
        .size:           8
        .value_kind:     by_value
      - .offset:         48
        .size:           8
        .value_kind:     by_value
      - .address_space:  global
        .offset:         56
        .size:           8
        .value_kind:     global_buffer
      - .offset:         64
        .size:           8
        .value_kind:     by_value
      - .offset:         72
        .size:           8
        .value_kind:     by_value
      - .offset:         80
        .size:           8
        .value_kind:     by_value
      - .address_space:  global
        .offset:         88
        .size:           8
        .value_kind:     global_buffer
      - .offset:         96
        .size:           8
        .value_kind:     by_value
      - .offset:         104
        .size:           8
        .value_kind:     by_value
      - .address_space:  global
        .offset:         112
        .size:           8
        .value_kind:     global_buffer
      - .offset:         120
        .size:           8
        .value_kind:     by_value
      - .offset:         128
        .size:           8
        .value_kind:     by_value
      - .offset:         136
        .size:           4
        .value_kind:     by_value
    .group_segment_fixed_size: 4096
    .kernarg_segment_align: 8
    .kernarg_segment_size: 140
    .language:       OpenCL C
    .language_version:
      - 2
      - 0
    .max_flat_workgroup_size: 256
    .name:           _ZN12_GLOBAL__N_127rocblas_gemm_batched_kernelI19rocblas_complex_numIfELi16ELi16ELi32ELi32ELi8ELi32ELi8ELi8ELi32ELc84ELc78EKS2_S3_S2_EEvlllT_PT11_llS6_llS4_PT12_llPT13_lli
    .private_segment_fixed_size: 0
    .sgpr_count:     34
    .sgpr_spill_count: 0
    .symbol:         _ZN12_GLOBAL__N_127rocblas_gemm_batched_kernelI19rocblas_complex_numIfELi16ELi16ELi32ELi32ELi8ELi32ELi8ELi8ELi32ELc84ELc78EKS2_S3_S2_EEvlllT_PT11_llS6_llS4_PT12_llPT13_lli.kd
    .uniform_work_group_size: 1
    .uses_dynamic_stack: false
    .vgpr_count:     90
    .vgpr_spill_count: 0
    .wavefront_size: 64
  - .agpr_count:     0
    .args:
      - .offset:         0
        .size:           8
        .value_kind:     by_value
      - .offset:         8
        .size:           8
        .value_kind:     by_value
      - .offset:         16
        .size:           8
        .value_kind:     by_value
      - .offset:         24
        .size:           8
        .value_kind:     by_value
      - .address_space:  global
        .offset:         32
        .size:           8
        .value_kind:     global_buffer
      - .offset:         40
        .size:           8
        .value_kind:     by_value
      - .offset:         48
        .size:           8
        .value_kind:     by_value
      - .address_space:  global
        .offset:         56
        .size:           8
        .value_kind:     global_buffer
      - .offset:         64
        .size:           8
        .value_kind:     by_value
      - .offset:         72
        .size:           8
        .value_kind:     by_value
      - .offset:         80
        .size:           8
        .value_kind:     by_value
      - .address_space:  global
        .offset:         88
        .size:           8
        .value_kind:     global_buffer
      - .offset:         96
        .size:           8
        .value_kind:     by_value
      - .offset:         104
        .size:           8
        .value_kind:     by_value
      - .address_space:  global
        .offset:         112
        .size:           8
        .value_kind:     global_buffer
      - .offset:         120
        .size:           8
        .value_kind:     by_value
      - .offset:         128
        .size:           8
        .value_kind:     by_value
      - .offset:         136
        .size:           4
        .value_kind:     by_value
    .group_segment_fixed_size: 4096
    .kernarg_segment_align: 8
    .kernarg_segment_size: 140
    .language:       OpenCL C
    .language_version:
      - 2
      - 0
    .max_flat_workgroup_size: 256
    .name:           _ZN12_GLOBAL__N_127rocblas_gemm_batched_kernelI19rocblas_complex_numIfELi16ELi16ELi32ELi32ELi8ELi32ELi8ELi8ELi32ELc78ELc84EKS2_S3_S2_EEvlllT_PT11_llS6_llS4_PT12_llPT13_lli
    .private_segment_fixed_size: 0
    .sgpr_count:     34
    .sgpr_spill_count: 0
    .symbol:         _ZN12_GLOBAL__N_127rocblas_gemm_batched_kernelI19rocblas_complex_numIfELi16ELi16ELi32ELi32ELi8ELi32ELi8ELi8ELi32ELc78ELc84EKS2_S3_S2_EEvlllT_PT11_llS6_llS4_PT12_llPT13_lli.kd
    .uniform_work_group_size: 1
    .uses_dynamic_stack: false
    .vgpr_count:     91
    .vgpr_spill_count: 0
    .wavefront_size: 64
  - .agpr_count:     0
    .args:
      - .offset:         0
        .size:           8
        .value_kind:     by_value
      - .offset:         8
        .size:           8
        .value_kind:     by_value
      - .offset:         16
        .size:           8
        .value_kind:     by_value
      - .offset:         24
        .size:           8
        .value_kind:     by_value
      - .address_space:  global
        .offset:         32
        .size:           8
        .value_kind:     global_buffer
      - .offset:         40
        .size:           8
        .value_kind:     by_value
      - .offset:         48
        .size:           8
        .value_kind:     by_value
      - .address_space:  global
        .offset:         56
        .size:           8
        .value_kind:     global_buffer
      - .offset:         64
        .size:           8
        .value_kind:     by_value
      - .offset:         72
        .size:           8
        .value_kind:     by_value
      - .offset:         80
        .size:           8
        .value_kind:     by_value
      - .address_space:  global
        .offset:         88
        .size:           8
        .value_kind:     global_buffer
      - .offset:         96
        .size:           8
        .value_kind:     by_value
      - .offset:         104
        .size:           8
        .value_kind:     by_value
      - .address_space:  global
        .offset:         112
        .size:           8
        .value_kind:     global_buffer
      - .offset:         120
        .size:           8
        .value_kind:     by_value
      - .offset:         128
        .size:           8
        .value_kind:     by_value
      - .offset:         136
        .size:           4
        .value_kind:     by_value
    .group_segment_fixed_size: 4096
    .kernarg_segment_align: 8
    .kernarg_segment_size: 140
    .language:       OpenCL C
    .language_version:
      - 2
      - 0
    .max_flat_workgroup_size: 256
    .name:           _ZN12_GLOBAL__N_127rocblas_gemm_batched_kernelI19rocblas_complex_numIfELi16ELi16ELi32ELi32ELi8ELi32ELi8ELi8ELi32ELc84ELc84EKS2_S3_S2_EEvlllT_PT11_llS6_llS4_PT12_llPT13_lli
    .private_segment_fixed_size: 0
    .sgpr_count:     34
    .sgpr_spill_count: 0
    .symbol:         _ZN12_GLOBAL__N_127rocblas_gemm_batched_kernelI19rocblas_complex_numIfELi16ELi16ELi32ELi32ELi8ELi32ELi8ELi8ELi32ELc84ELc84EKS2_S3_S2_EEvlllT_PT11_llS6_llS4_PT12_llPT13_lli.kd
    .uniform_work_group_size: 1
    .uses_dynamic_stack: false
    .vgpr_count:     91
    .vgpr_spill_count: 0
    .wavefront_size: 64
  - .agpr_count:     0
    .args:
      - .offset:         0
        .size:           8
        .value_kind:     by_value
      - .offset:         8
        .size:           8
        .value_kind:     by_value
      - .offset:         16
        .size:           8
        .value_kind:     by_value
      - .offset:         24
        .size:           8
        .value_kind:     by_value
      - .address_space:  global
        .offset:         32
        .size:           8
        .value_kind:     global_buffer
      - .offset:         40
        .size:           8
        .value_kind:     by_value
      - .offset:         48
        .size:           8
        .value_kind:     by_value
      - .address_space:  global
        .offset:         56
        .size:           8
        .value_kind:     global_buffer
      - .offset:         64
        .size:           8
        .value_kind:     by_value
      - .offset:         72
        .size:           8
        .value_kind:     by_value
      - .offset:         80
        .size:           8
        .value_kind:     by_value
      - .address_space:  global
        .offset:         88
        .size:           8
        .value_kind:     global_buffer
      - .offset:         96
        .size:           8
        .value_kind:     by_value
      - .offset:         104
        .size:           8
        .value_kind:     by_value
      - .address_space:  global
        .offset:         112
        .size:           8
        .value_kind:     global_buffer
      - .offset:         120
        .size:           8
        .value_kind:     by_value
      - .offset:         128
        .size:           8
        .value_kind:     by_value
      - .offset:         136
        .size:           4
        .value_kind:     by_value
    .group_segment_fixed_size: 4096
    .kernarg_segment_align: 8
    .kernarg_segment_size: 140
    .language:       OpenCL C
    .language_version:
      - 2
      - 0
    .max_flat_workgroup_size: 256
    .name:           _ZN12_GLOBAL__N_127rocblas_gemm_batched_kernelI19rocblas_complex_numIfELi16ELi16ELi32ELi32ELi8ELi32ELi8ELi8ELi32ELc67ELc67EKS2_S3_S2_EEvlllT_PT11_llS6_llS4_PT12_llPT13_lli
    .private_segment_fixed_size: 0
    .sgpr_count:     34
    .sgpr_spill_count: 0
    .symbol:         _ZN12_GLOBAL__N_127rocblas_gemm_batched_kernelI19rocblas_complex_numIfELi16ELi16ELi32ELi32ELi8ELi32ELi8ELi8ELi32ELc67ELc67EKS2_S3_S2_EEvlllT_PT11_llS6_llS4_PT12_llPT13_lli.kd
    .uniform_work_group_size: 1
    .uses_dynamic_stack: false
    .vgpr_count:     91
    .vgpr_spill_count: 0
    .wavefront_size: 64
  - .agpr_count:     0
    .args:
      - .offset:         0
        .size:           8
        .value_kind:     by_value
      - .offset:         8
        .size:           8
        .value_kind:     by_value
      - .offset:         16
        .size:           8
        .value_kind:     by_value
      - .offset:         24
        .size:           8
        .value_kind:     by_value
      - .address_space:  global
        .offset:         32
        .size:           8
        .value_kind:     global_buffer
      - .offset:         40
        .size:           8
        .value_kind:     by_value
      - .offset:         48
        .size:           8
        .value_kind:     by_value
      - .address_space:  global
        .offset:         56
        .size:           8
        .value_kind:     global_buffer
      - .offset:         64
        .size:           8
        .value_kind:     by_value
      - .offset:         72
        .size:           8
        .value_kind:     by_value
      - .offset:         80
        .size:           8
        .value_kind:     by_value
      - .address_space:  global
        .offset:         88
        .size:           8
        .value_kind:     global_buffer
      - .offset:         96
        .size:           8
        .value_kind:     by_value
      - .offset:         104
        .size:           8
        .value_kind:     by_value
      - .address_space:  global
        .offset:         112
        .size:           8
        .value_kind:     global_buffer
      - .offset:         120
        .size:           8
        .value_kind:     by_value
      - .offset:         128
        .size:           8
        .value_kind:     by_value
      - .offset:         136
        .size:           4
        .value_kind:     by_value
    .group_segment_fixed_size: 4096
    .kernarg_segment_align: 8
    .kernarg_segment_size: 140
    .language:       OpenCL C
    .language_version:
      - 2
      - 0
    .max_flat_workgroup_size: 256
    .name:           _ZN12_GLOBAL__N_127rocblas_gemm_batched_kernelI19rocblas_complex_numIfELi16ELi16ELi32ELi32ELi8ELi32ELi8ELi8ELi32ELc67ELc78EKS2_S3_S2_EEvlllT_PT11_llS6_llS4_PT12_llPT13_lli
    .private_segment_fixed_size: 0
    .sgpr_count:     34
    .sgpr_spill_count: 0
    .symbol:         _ZN12_GLOBAL__N_127rocblas_gemm_batched_kernelI19rocblas_complex_numIfELi16ELi16ELi32ELi32ELi8ELi32ELi8ELi8ELi32ELc67ELc78EKS2_S3_S2_EEvlllT_PT11_llS6_llS4_PT12_llPT13_lli.kd
    .uniform_work_group_size: 1
    .uses_dynamic_stack: false
    .vgpr_count:     90
    .vgpr_spill_count: 0
    .wavefront_size: 64
  - .agpr_count:     0
    .args:
      - .offset:         0
        .size:           8
        .value_kind:     by_value
      - .offset:         8
        .size:           8
        .value_kind:     by_value
      - .offset:         16
        .size:           8
        .value_kind:     by_value
      - .offset:         24
        .size:           8
        .value_kind:     by_value
      - .address_space:  global
        .offset:         32
        .size:           8
        .value_kind:     global_buffer
      - .offset:         40
        .size:           8
        .value_kind:     by_value
      - .offset:         48
        .size:           8
        .value_kind:     by_value
      - .address_space:  global
        .offset:         56
        .size:           8
        .value_kind:     global_buffer
      - .offset:         64
        .size:           8
        .value_kind:     by_value
      - .offset:         72
        .size:           8
        .value_kind:     by_value
      - .offset:         80
        .size:           8
        .value_kind:     by_value
      - .address_space:  global
        .offset:         88
        .size:           8
        .value_kind:     global_buffer
      - .offset:         96
        .size:           8
        .value_kind:     by_value
      - .offset:         104
        .size:           8
        .value_kind:     by_value
      - .address_space:  global
        .offset:         112
        .size:           8
        .value_kind:     global_buffer
      - .offset:         120
        .size:           8
        .value_kind:     by_value
      - .offset:         128
        .size:           8
        .value_kind:     by_value
      - .offset:         136
        .size:           4
        .value_kind:     by_value
    .group_segment_fixed_size: 4096
    .kernarg_segment_align: 8
    .kernarg_segment_size: 140
    .language:       OpenCL C
    .language_version:
      - 2
      - 0
    .max_flat_workgroup_size: 256
    .name:           _ZN12_GLOBAL__N_127rocblas_gemm_batched_kernelI19rocblas_complex_numIfELi16ELi16ELi32ELi32ELi8ELi32ELi8ELi8ELi32ELc67ELc84EKS2_S3_S2_EEvlllT_PT11_llS6_llS4_PT12_llPT13_lli
    .private_segment_fixed_size: 0
    .sgpr_count:     34
    .sgpr_spill_count: 0
    .symbol:         _ZN12_GLOBAL__N_127rocblas_gemm_batched_kernelI19rocblas_complex_numIfELi16ELi16ELi32ELi32ELi8ELi32ELi8ELi8ELi32ELc67ELc84EKS2_S3_S2_EEvlllT_PT11_llS6_llS4_PT12_llPT13_lli.kd
    .uniform_work_group_size: 1
    .uses_dynamic_stack: false
    .vgpr_count:     91
    .vgpr_spill_count: 0
    .wavefront_size: 64
  - .agpr_count:     0
    .args:
      - .offset:         0
        .size:           8
        .value_kind:     by_value
      - .offset:         8
        .size:           8
        .value_kind:     by_value
      - .offset:         16
        .size:           8
        .value_kind:     by_value
      - .offset:         24
        .size:           8
        .value_kind:     by_value
      - .address_space:  global
        .offset:         32
        .size:           8
        .value_kind:     global_buffer
      - .offset:         40
        .size:           8
        .value_kind:     by_value
      - .offset:         48
        .size:           8
        .value_kind:     by_value
      - .address_space:  global
        .offset:         56
        .size:           8
        .value_kind:     global_buffer
      - .offset:         64
        .size:           8
        .value_kind:     by_value
      - .offset:         72
        .size:           8
        .value_kind:     by_value
      - .offset:         80
        .size:           8
        .value_kind:     by_value
      - .address_space:  global
        .offset:         88
        .size:           8
        .value_kind:     global_buffer
      - .offset:         96
        .size:           8
        .value_kind:     by_value
      - .offset:         104
        .size:           8
        .value_kind:     by_value
      - .address_space:  global
        .offset:         112
        .size:           8
        .value_kind:     global_buffer
      - .offset:         120
        .size:           8
        .value_kind:     by_value
      - .offset:         128
        .size:           8
        .value_kind:     by_value
      - .offset:         136
        .size:           4
        .value_kind:     by_value
    .group_segment_fixed_size: 4096
    .kernarg_segment_align: 8
    .kernarg_segment_size: 140
    .language:       OpenCL C
    .language_version:
      - 2
      - 0
    .max_flat_workgroup_size: 256
    .name:           _ZN12_GLOBAL__N_127rocblas_gemm_batched_kernelI19rocblas_complex_numIfELi16ELi16ELi32ELi32ELi8ELi32ELi8ELi8ELi32ELc78ELc67EKS2_S3_S2_EEvlllT_PT11_llS6_llS4_PT12_llPT13_lli
    .private_segment_fixed_size: 0
    .sgpr_count:     34
    .sgpr_spill_count: 0
    .symbol:         _ZN12_GLOBAL__N_127rocblas_gemm_batched_kernelI19rocblas_complex_numIfELi16ELi16ELi32ELi32ELi8ELi32ELi8ELi8ELi32ELc78ELc67EKS2_S3_S2_EEvlllT_PT11_llS6_llS4_PT12_llPT13_lli.kd
    .uniform_work_group_size: 1
    .uses_dynamic_stack: false
    .vgpr_count:     91
    .vgpr_spill_count: 0
    .wavefront_size: 64
  - .agpr_count:     0
    .args:
      - .offset:         0
        .size:           8
        .value_kind:     by_value
      - .offset:         8
        .size:           8
        .value_kind:     by_value
      - .offset:         16
        .size:           8
        .value_kind:     by_value
      - .offset:         24
        .size:           8
        .value_kind:     by_value
      - .address_space:  global
        .offset:         32
        .size:           8
        .value_kind:     global_buffer
      - .offset:         40
        .size:           8
        .value_kind:     by_value
      - .offset:         48
        .size:           8
        .value_kind:     by_value
      - .address_space:  global
        .offset:         56
        .size:           8
        .value_kind:     global_buffer
      - .offset:         64
        .size:           8
        .value_kind:     by_value
      - .offset:         72
        .size:           8
        .value_kind:     by_value
      - .offset:         80
        .size:           8
        .value_kind:     by_value
      - .address_space:  global
        .offset:         88
        .size:           8
        .value_kind:     global_buffer
      - .offset:         96
        .size:           8
        .value_kind:     by_value
      - .offset:         104
        .size:           8
        .value_kind:     by_value
      - .address_space:  global
        .offset:         112
        .size:           8
        .value_kind:     global_buffer
      - .offset:         120
        .size:           8
        .value_kind:     by_value
      - .offset:         128
        .size:           8
        .value_kind:     by_value
      - .offset:         136
        .size:           4
        .value_kind:     by_value
    .group_segment_fixed_size: 4096
    .kernarg_segment_align: 8
    .kernarg_segment_size: 140
    .language:       OpenCL C
    .language_version:
      - 2
      - 0
    .max_flat_workgroup_size: 256
    .name:           _ZN12_GLOBAL__N_127rocblas_gemm_batched_kernelI19rocblas_complex_numIfELi16ELi16ELi32ELi32ELi8ELi32ELi8ELi8ELi32ELc84ELc67EKS2_S3_S2_EEvlllT_PT11_llS6_llS4_PT12_llPT13_lli
    .private_segment_fixed_size: 0
    .sgpr_count:     34
    .sgpr_spill_count: 0
    .symbol:         _ZN12_GLOBAL__N_127rocblas_gemm_batched_kernelI19rocblas_complex_numIfELi16ELi16ELi32ELi32ELi8ELi32ELi8ELi8ELi32ELc84ELc67EKS2_S3_S2_EEvlllT_PT11_llS6_llS4_PT12_llPT13_lli.kd
    .uniform_work_group_size: 1
    .uses_dynamic_stack: false
    .vgpr_count:     91
    .vgpr_spill_count: 0
    .wavefront_size: 64
  - .agpr_count:     0
    .args:
      - .offset:         0
        .size:           8
        .value_kind:     by_value
      - .offset:         8
        .size:           8
        .value_kind:     by_value
      - .offset:         16
        .size:           8
        .value_kind:     by_value
      - .offset:         24
        .size:           8
        .value_kind:     by_value
      - .address_space:  global
        .offset:         32
        .size:           8
        .value_kind:     global_buffer
      - .offset:         40
        .size:           8
        .value_kind:     by_value
      - .offset:         48
        .size:           8
        .value_kind:     by_value
      - .address_space:  global
        .offset:         56
        .size:           8
        .value_kind:     global_buffer
      - .offset:         64
        .size:           8
        .value_kind:     by_value
      - .offset:         72
        .size:           8
        .value_kind:     by_value
      - .offset:         80
        .size:           8
        .value_kind:     by_value
      - .address_space:  global
        .offset:         88
        .size:           8
        .value_kind:     global_buffer
      - .offset:         96
        .size:           8
        .value_kind:     by_value
      - .offset:         104
        .size:           8
        .value_kind:     by_value
      - .address_space:  global
        .offset:         112
        .size:           8
        .value_kind:     global_buffer
      - .offset:         120
        .size:           8
        .value_kind:     by_value
      - .offset:         128
        .size:           8
        .value_kind:     by_value
      - .offset:         136
        .size:           4
        .value_kind:     by_value
    .group_segment_fixed_size: 4096
    .kernarg_segment_align: 8
    .kernarg_segment_size: 140
    .language:       OpenCL C
    .language_version:
      - 2
      - 0
    .max_flat_workgroup_size: 256
    .name:           _ZN12_GLOBAL__N_135rocblas_gemm_batched_general_kernelI19rocblas_complex_numIfELi16ELi16ELi32ELi32ELi8ELi32ELi8ELi8ELi32ELc78ELc78EKS2_S3_S2_EEvlllT_PT11_llS6_llS4_PT12_llPT13_lli
    .private_segment_fixed_size: 32
    .sgpr_count:     48
    .sgpr_spill_count: 0
    .symbol:         _ZN12_GLOBAL__N_135rocblas_gemm_batched_general_kernelI19rocblas_complex_numIfELi16ELi16ELi32ELi32ELi8ELi32ELi8ELi8ELi32ELc78ELc78EKS2_S3_S2_EEvlllT_PT11_llS6_llS4_PT12_llPT13_lli.kd
    .uniform_work_group_size: 1
    .uses_dynamic_stack: false
    .vgpr_count:     127
    .vgpr_spill_count: 0
    .wavefront_size: 64
  - .agpr_count:     0
    .args:
      - .offset:         0
        .size:           8
        .value_kind:     by_value
      - .offset:         8
        .size:           8
        .value_kind:     by_value
      - .offset:         16
        .size:           8
        .value_kind:     by_value
      - .offset:         24
        .size:           8
        .value_kind:     by_value
      - .address_space:  global
        .offset:         32
        .size:           8
        .value_kind:     global_buffer
      - .offset:         40
        .size:           8
        .value_kind:     by_value
      - .offset:         48
        .size:           8
        .value_kind:     by_value
      - .address_space:  global
        .offset:         56
        .size:           8
        .value_kind:     global_buffer
      - .offset:         64
        .size:           8
        .value_kind:     by_value
      - .offset:         72
        .size:           8
        .value_kind:     by_value
      - .offset:         80
        .size:           8
        .value_kind:     by_value
      - .address_space:  global
        .offset:         88
        .size:           8
        .value_kind:     global_buffer
      - .offset:         96
        .size:           8
        .value_kind:     by_value
      - .offset:         104
        .size:           8
        .value_kind:     by_value
      - .address_space:  global
        .offset:         112
        .size:           8
        .value_kind:     global_buffer
      - .offset:         120
        .size:           8
        .value_kind:     by_value
      - .offset:         128
        .size:           8
        .value_kind:     by_value
      - .offset:         136
        .size:           4
        .value_kind:     by_value
    .group_segment_fixed_size: 4096
    .kernarg_segment_align: 8
    .kernarg_segment_size: 140
    .language:       OpenCL C
    .language_version:
      - 2
      - 0
    .max_flat_workgroup_size: 256
    .name:           _ZN12_GLOBAL__N_135rocblas_gemm_batched_general_kernelI19rocblas_complex_numIfELi16ELi16ELi32ELi32ELi8ELi32ELi8ELi8ELi32ELc84ELc78EKS2_S3_S2_EEvlllT_PT11_llS6_llS4_PT12_llPT13_lli
    .private_segment_fixed_size: 32
    .sgpr_count:     44
    .sgpr_spill_count: 0
    .symbol:         _ZN12_GLOBAL__N_135rocblas_gemm_batched_general_kernelI19rocblas_complex_numIfELi16ELi16ELi32ELi32ELi8ELi32ELi8ELi8ELi32ELc84ELc78EKS2_S3_S2_EEvlllT_PT11_llS6_llS4_PT12_llPT13_lli.kd
    .uniform_work_group_size: 1
    .uses_dynamic_stack: false
    .vgpr_count:     127
    .vgpr_spill_count: 0
    .wavefront_size: 64
  - .agpr_count:     0
    .args:
      - .offset:         0
        .size:           8
        .value_kind:     by_value
      - .offset:         8
        .size:           8
        .value_kind:     by_value
      - .offset:         16
        .size:           8
        .value_kind:     by_value
      - .offset:         24
        .size:           8
        .value_kind:     by_value
      - .address_space:  global
        .offset:         32
        .size:           8
        .value_kind:     global_buffer
      - .offset:         40
        .size:           8
        .value_kind:     by_value
      - .offset:         48
        .size:           8
        .value_kind:     by_value
      - .address_space:  global
        .offset:         56
        .size:           8
        .value_kind:     global_buffer
      - .offset:         64
        .size:           8
        .value_kind:     by_value
      - .offset:         72
        .size:           8
        .value_kind:     by_value
      - .offset:         80
        .size:           8
        .value_kind:     by_value
      - .address_space:  global
        .offset:         88
        .size:           8
        .value_kind:     global_buffer
      - .offset:         96
        .size:           8
        .value_kind:     by_value
      - .offset:         104
        .size:           8
        .value_kind:     by_value
      - .address_space:  global
        .offset:         112
        .size:           8
        .value_kind:     global_buffer
      - .offset:         120
        .size:           8
        .value_kind:     by_value
      - .offset:         128
        .size:           8
        .value_kind:     by_value
      - .offset:         136
        .size:           4
        .value_kind:     by_value
    .group_segment_fixed_size: 4096
    .kernarg_segment_align: 8
    .kernarg_segment_size: 140
    .language:       OpenCL C
    .language_version:
      - 2
      - 0
    .max_flat_workgroup_size: 256
    .name:           _ZN12_GLOBAL__N_135rocblas_gemm_batched_general_kernelI19rocblas_complex_numIfELi16ELi16ELi32ELi32ELi8ELi32ELi8ELi8ELi32ELc78ELc84EKS2_S3_S2_EEvlllT_PT11_llS6_llS4_PT12_llPT13_lli
    .private_segment_fixed_size: 32
    .sgpr_count:     50
    .sgpr_spill_count: 0
    .symbol:         _ZN12_GLOBAL__N_135rocblas_gemm_batched_general_kernelI19rocblas_complex_numIfELi16ELi16ELi32ELi32ELi8ELi32ELi8ELi8ELi32ELc78ELc84EKS2_S3_S2_EEvlllT_PT11_llS6_llS4_PT12_llPT13_lli.kd
    .uniform_work_group_size: 1
    .uses_dynamic_stack: false
    .vgpr_count:     127
    .vgpr_spill_count: 0
    .wavefront_size: 64
  - .agpr_count:     0
    .args:
      - .offset:         0
        .size:           8
        .value_kind:     by_value
      - .offset:         8
        .size:           8
        .value_kind:     by_value
      - .offset:         16
        .size:           8
        .value_kind:     by_value
      - .offset:         24
        .size:           8
        .value_kind:     by_value
      - .address_space:  global
        .offset:         32
        .size:           8
        .value_kind:     global_buffer
      - .offset:         40
        .size:           8
        .value_kind:     by_value
      - .offset:         48
        .size:           8
        .value_kind:     by_value
      - .address_space:  global
        .offset:         56
        .size:           8
        .value_kind:     global_buffer
      - .offset:         64
        .size:           8
        .value_kind:     by_value
      - .offset:         72
        .size:           8
        .value_kind:     by_value
      - .offset:         80
        .size:           8
        .value_kind:     by_value
      - .address_space:  global
        .offset:         88
        .size:           8
        .value_kind:     global_buffer
      - .offset:         96
        .size:           8
        .value_kind:     by_value
      - .offset:         104
        .size:           8
        .value_kind:     by_value
      - .address_space:  global
        .offset:         112
        .size:           8
        .value_kind:     global_buffer
      - .offset:         120
        .size:           8
        .value_kind:     by_value
      - .offset:         128
        .size:           8
        .value_kind:     by_value
      - .offset:         136
        .size:           4
        .value_kind:     by_value
    .group_segment_fixed_size: 4096
    .kernarg_segment_align: 8
    .kernarg_segment_size: 140
    .language:       OpenCL C
    .language_version:
      - 2
      - 0
    .max_flat_workgroup_size: 256
    .name:           _ZN12_GLOBAL__N_135rocblas_gemm_batched_general_kernelI19rocblas_complex_numIfELi16ELi16ELi32ELi32ELi8ELi32ELi8ELi8ELi32ELc84ELc84EKS2_S3_S2_EEvlllT_PT11_llS6_llS4_PT12_llPT13_lli
    .private_segment_fixed_size: 32
    .sgpr_count:     48
    .sgpr_spill_count: 0
    .symbol:         _ZN12_GLOBAL__N_135rocblas_gemm_batched_general_kernelI19rocblas_complex_numIfELi16ELi16ELi32ELi32ELi8ELi32ELi8ELi8ELi32ELc84ELc84EKS2_S3_S2_EEvlllT_PT11_llS6_llS4_PT12_llPT13_lli.kd
    .uniform_work_group_size: 1
    .uses_dynamic_stack: false
    .vgpr_count:     127
    .vgpr_spill_count: 0
    .wavefront_size: 64
  - .agpr_count:     0
    .args:
      - .offset:         0
        .size:           8
        .value_kind:     by_value
      - .offset:         8
        .size:           8
        .value_kind:     by_value
      - .offset:         16
        .size:           8
        .value_kind:     by_value
      - .offset:         24
        .size:           8
        .value_kind:     by_value
      - .address_space:  global
        .offset:         32
        .size:           8
        .value_kind:     global_buffer
      - .offset:         40
        .size:           8
        .value_kind:     by_value
      - .offset:         48
        .size:           8
        .value_kind:     by_value
      - .address_space:  global
        .offset:         56
        .size:           8
        .value_kind:     global_buffer
      - .offset:         64
        .size:           8
        .value_kind:     by_value
      - .offset:         72
        .size:           8
        .value_kind:     by_value
      - .offset:         80
        .size:           8
        .value_kind:     by_value
      - .address_space:  global
        .offset:         88
        .size:           8
        .value_kind:     global_buffer
      - .offset:         96
        .size:           8
        .value_kind:     by_value
      - .offset:         104
        .size:           8
        .value_kind:     by_value
      - .address_space:  global
        .offset:         112
        .size:           8
        .value_kind:     global_buffer
      - .offset:         120
        .size:           8
        .value_kind:     by_value
      - .offset:         128
        .size:           8
        .value_kind:     by_value
      - .offset:         136
        .size:           4
        .value_kind:     by_value
    .group_segment_fixed_size: 4096
    .kernarg_segment_align: 8
    .kernarg_segment_size: 140
    .language:       OpenCL C
    .language_version:
      - 2
      - 0
    .max_flat_workgroup_size: 256
    .name:           _ZN12_GLOBAL__N_135rocblas_gemm_batched_general_kernelI19rocblas_complex_numIfELi16ELi16ELi32ELi32ELi8ELi32ELi8ELi8ELi32ELc67ELc67EKS2_S3_S2_EEvlllT_PT11_llS6_llS4_PT12_llPT13_lli
    .private_segment_fixed_size: 32
    .sgpr_count:     46
    .sgpr_spill_count: 0
    .symbol:         _ZN12_GLOBAL__N_135rocblas_gemm_batched_general_kernelI19rocblas_complex_numIfELi16ELi16ELi32ELi32ELi8ELi32ELi8ELi8ELi32ELc67ELc67EKS2_S3_S2_EEvlllT_PT11_llS6_llS4_PT12_llPT13_lli.kd
    .uniform_work_group_size: 1
    .uses_dynamic_stack: false
    .vgpr_count:     128
    .vgpr_spill_count: 0
    .wavefront_size: 64
  - .agpr_count:     0
    .args:
      - .offset:         0
        .size:           8
        .value_kind:     by_value
      - .offset:         8
        .size:           8
        .value_kind:     by_value
      - .offset:         16
        .size:           8
        .value_kind:     by_value
      - .offset:         24
        .size:           8
        .value_kind:     by_value
      - .address_space:  global
        .offset:         32
        .size:           8
        .value_kind:     global_buffer
      - .offset:         40
        .size:           8
        .value_kind:     by_value
      - .offset:         48
        .size:           8
        .value_kind:     by_value
      - .address_space:  global
        .offset:         56
        .size:           8
        .value_kind:     global_buffer
      - .offset:         64
        .size:           8
        .value_kind:     by_value
      - .offset:         72
        .size:           8
        .value_kind:     by_value
      - .offset:         80
        .size:           8
        .value_kind:     by_value
      - .address_space:  global
        .offset:         88
        .size:           8
        .value_kind:     global_buffer
      - .offset:         96
        .size:           8
        .value_kind:     by_value
      - .offset:         104
        .size:           8
        .value_kind:     by_value
      - .address_space:  global
        .offset:         112
        .size:           8
        .value_kind:     global_buffer
      - .offset:         120
        .size:           8
        .value_kind:     by_value
      - .offset:         128
        .size:           8
        .value_kind:     by_value
      - .offset:         136
        .size:           4
        .value_kind:     by_value
    .group_segment_fixed_size: 4096
    .kernarg_segment_align: 8
    .kernarg_segment_size: 140
    .language:       OpenCL C
    .language_version:
      - 2
      - 0
    .max_flat_workgroup_size: 256
    .name:           _ZN12_GLOBAL__N_135rocblas_gemm_batched_general_kernelI19rocblas_complex_numIfELi16ELi16ELi32ELi32ELi8ELi32ELi8ELi8ELi32ELc67ELc78EKS2_S3_S2_EEvlllT_PT11_llS6_llS4_PT12_llPT13_lli
    .private_segment_fixed_size: 32
    .sgpr_count:     44
    .sgpr_spill_count: 0
    .symbol:         _ZN12_GLOBAL__N_135rocblas_gemm_batched_general_kernelI19rocblas_complex_numIfELi16ELi16ELi32ELi32ELi8ELi32ELi8ELi8ELi32ELc67ELc78EKS2_S3_S2_EEvlllT_PT11_llS6_llS4_PT12_llPT13_lli.kd
    .uniform_work_group_size: 1
    .uses_dynamic_stack: false
    .vgpr_count:     128
    .vgpr_spill_count: 0
    .wavefront_size: 64
  - .agpr_count:     0
    .args:
      - .offset:         0
        .size:           8
        .value_kind:     by_value
      - .offset:         8
        .size:           8
        .value_kind:     by_value
      - .offset:         16
        .size:           8
        .value_kind:     by_value
      - .offset:         24
        .size:           8
        .value_kind:     by_value
      - .address_space:  global
        .offset:         32
        .size:           8
        .value_kind:     global_buffer
      - .offset:         40
        .size:           8
        .value_kind:     by_value
      - .offset:         48
        .size:           8
        .value_kind:     by_value
      - .address_space:  global
        .offset:         56
        .size:           8
        .value_kind:     global_buffer
      - .offset:         64
        .size:           8
        .value_kind:     by_value
      - .offset:         72
        .size:           8
        .value_kind:     by_value
      - .offset:         80
        .size:           8
        .value_kind:     by_value
      - .address_space:  global
        .offset:         88
        .size:           8
        .value_kind:     global_buffer
      - .offset:         96
        .size:           8
        .value_kind:     by_value
      - .offset:         104
        .size:           8
        .value_kind:     by_value
      - .address_space:  global
        .offset:         112
        .size:           8
        .value_kind:     global_buffer
      - .offset:         120
        .size:           8
        .value_kind:     by_value
      - .offset:         128
        .size:           8
        .value_kind:     by_value
      - .offset:         136
        .size:           4
        .value_kind:     by_value
    .group_segment_fixed_size: 4096
    .kernarg_segment_align: 8
    .kernarg_segment_size: 140
    .language:       OpenCL C
    .language_version:
      - 2
      - 0
    .max_flat_workgroup_size: 256
    .name:           _ZN12_GLOBAL__N_135rocblas_gemm_batched_general_kernelI19rocblas_complex_numIfELi16ELi16ELi32ELi32ELi8ELi32ELi8ELi8ELi32ELc67ELc84EKS2_S3_S2_EEvlllT_PT11_llS6_llS4_PT12_llPT13_lli
    .private_segment_fixed_size: 32
    .sgpr_count:     46
    .sgpr_spill_count: 0
    .symbol:         _ZN12_GLOBAL__N_135rocblas_gemm_batched_general_kernelI19rocblas_complex_numIfELi16ELi16ELi32ELi32ELi8ELi32ELi8ELi8ELi32ELc67ELc84EKS2_S3_S2_EEvlllT_PT11_llS6_llS4_PT12_llPT13_lli.kd
    .uniform_work_group_size: 1
    .uses_dynamic_stack: false
    .vgpr_count:     128
    .vgpr_spill_count: 0
    .wavefront_size: 64
  - .agpr_count:     0
    .args:
      - .offset:         0
        .size:           8
        .value_kind:     by_value
      - .offset:         8
        .size:           8
        .value_kind:     by_value
      - .offset:         16
        .size:           8
        .value_kind:     by_value
      - .offset:         24
        .size:           8
        .value_kind:     by_value
      - .address_space:  global
        .offset:         32
        .size:           8
        .value_kind:     global_buffer
      - .offset:         40
        .size:           8
        .value_kind:     by_value
      - .offset:         48
        .size:           8
        .value_kind:     by_value
      - .address_space:  global
        .offset:         56
        .size:           8
        .value_kind:     global_buffer
      - .offset:         64
        .size:           8
        .value_kind:     by_value
      - .offset:         72
        .size:           8
        .value_kind:     by_value
      - .offset:         80
        .size:           8
        .value_kind:     by_value
      - .address_space:  global
        .offset:         88
        .size:           8
        .value_kind:     global_buffer
      - .offset:         96
        .size:           8
        .value_kind:     by_value
      - .offset:         104
        .size:           8
        .value_kind:     by_value
      - .address_space:  global
        .offset:         112
        .size:           8
        .value_kind:     global_buffer
      - .offset:         120
        .size:           8
        .value_kind:     by_value
      - .offset:         128
        .size:           8
        .value_kind:     by_value
      - .offset:         136
        .size:           4
        .value_kind:     by_value
    .group_segment_fixed_size: 4096
    .kernarg_segment_align: 8
    .kernarg_segment_size: 140
    .language:       OpenCL C
    .language_version:
      - 2
      - 0
    .max_flat_workgroup_size: 256
    .name:           _ZN12_GLOBAL__N_135rocblas_gemm_batched_general_kernelI19rocblas_complex_numIfELi16ELi16ELi32ELi32ELi8ELi32ELi8ELi8ELi32ELc78ELc67EKS2_S3_S2_EEvlllT_PT11_llS6_llS4_PT12_llPT13_lli
    .private_segment_fixed_size: 32
    .sgpr_count:     48
    .sgpr_spill_count: 0
    .symbol:         _ZN12_GLOBAL__N_135rocblas_gemm_batched_general_kernelI19rocblas_complex_numIfELi16ELi16ELi32ELi32ELi8ELi32ELi8ELi8ELi32ELc78ELc67EKS2_S3_S2_EEvlllT_PT11_llS6_llS4_PT12_llPT13_lli.kd
    .uniform_work_group_size: 1
    .uses_dynamic_stack: false
    .vgpr_count:     128
    .vgpr_spill_count: 0
    .wavefront_size: 64
  - .agpr_count:     0
    .args:
      - .offset:         0
        .size:           8
        .value_kind:     by_value
      - .offset:         8
        .size:           8
        .value_kind:     by_value
      - .offset:         16
        .size:           8
        .value_kind:     by_value
      - .offset:         24
        .size:           8
        .value_kind:     by_value
      - .address_space:  global
        .offset:         32
        .size:           8
        .value_kind:     global_buffer
      - .offset:         40
        .size:           8
        .value_kind:     by_value
      - .offset:         48
        .size:           8
        .value_kind:     by_value
      - .address_space:  global
        .offset:         56
        .size:           8
        .value_kind:     global_buffer
      - .offset:         64
        .size:           8
        .value_kind:     by_value
      - .offset:         72
        .size:           8
        .value_kind:     by_value
      - .offset:         80
        .size:           8
        .value_kind:     by_value
      - .address_space:  global
        .offset:         88
        .size:           8
        .value_kind:     global_buffer
      - .offset:         96
        .size:           8
        .value_kind:     by_value
      - .offset:         104
        .size:           8
        .value_kind:     by_value
      - .address_space:  global
        .offset:         112
        .size:           8
        .value_kind:     global_buffer
      - .offset:         120
        .size:           8
        .value_kind:     by_value
      - .offset:         128
        .size:           8
        .value_kind:     by_value
      - .offset:         136
        .size:           4
        .value_kind:     by_value
    .group_segment_fixed_size: 4096
    .kernarg_segment_align: 8
    .kernarg_segment_size: 140
    .language:       OpenCL C
    .language_version:
      - 2
      - 0
    .max_flat_workgroup_size: 256
    .name:           _ZN12_GLOBAL__N_135rocblas_gemm_batched_general_kernelI19rocblas_complex_numIfELi16ELi16ELi32ELi32ELi8ELi32ELi8ELi8ELi32ELc84ELc67EKS2_S3_S2_EEvlllT_PT11_llS6_llS4_PT12_llPT13_lli
    .private_segment_fixed_size: 32
    .sgpr_count:     46
    .sgpr_spill_count: 0
    .symbol:         _ZN12_GLOBAL__N_135rocblas_gemm_batched_general_kernelI19rocblas_complex_numIfELi16ELi16ELi32ELi32ELi8ELi32ELi8ELi8ELi32ELc84ELc67EKS2_S3_S2_EEvlllT_PT11_llS6_llS4_PT12_llPT13_lli.kd
    .uniform_work_group_size: 1
    .uses_dynamic_stack: false
    .vgpr_count:     128
    .vgpr_spill_count: 0
    .wavefront_size: 64
  - .agpr_count:     0
    .args:
      - .offset:         0
        .size:           4
        .value_kind:     by_value
      - .offset:         4
        .size:           4
        .value_kind:     by_value
      - .offset:         8
        .size:           16
        .value_kind:     by_value
      - .address_space:  global
        .offset:         24
        .size:           8
        .value_kind:     global_buffer
      - .offset:         32
        .size:           8
        .value_kind:     by_value
      - .offset:         40
        .size:           8
        .value_kind:     by_value
      - .offset:         48
        .size:           8
        .value_kind:     by_value
      - .offset:         56
        .size:           4
        .value_kind:     by_value
    .group_segment_fixed_size: 0
    .kernarg_segment_align: 8
    .kernarg_segment_size: 60
    .language:       OpenCL C
    .language_version:
      - 2
      - 0
    .max_flat_workgroup_size: 1024
    .name:           _ZN12_GLOBAL__N_125rocblas_gemm_scale_kernelILi32ELi32E19rocblas_complex_numIdEPS2_EEviiT1_T2_llli
    .private_segment_fixed_size: 0
    .sgpr_count:     28
    .sgpr_spill_count: 0
    .symbol:         _ZN12_GLOBAL__N_125rocblas_gemm_scale_kernelILi32ELi32E19rocblas_complex_numIdEPS2_EEviiT1_T2_llli.kd
    .uniform_work_group_size: 1
    .uses_dynamic_stack: false
    .vgpr_count:     12
    .vgpr_spill_count: 0
    .wavefront_size: 64
  - .agpr_count:     0
    .args:
      - .offset:         0
        .size:           4
        .value_kind:     by_value
      - .offset:         4
        .size:           4
        .value_kind:     by_value
      - .offset:         8
        .size:           16
        .value_kind:     by_value
      - .address_space:  global
        .offset:         24
        .size:           8
        .value_kind:     global_buffer
      - .offset:         32
        .size:           8
        .value_kind:     by_value
      - .offset:         40
        .size:           8
        .value_kind:     by_value
      - .offset:         48
        .size:           8
        .value_kind:     by_value
      - .address_space:  global
        .offset:         56
        .size:           8
        .value_kind:     global_buffer
      - .offset:         64
        .size:           8
        .value_kind:     by_value
      - .offset:         72
        .size:           8
        .value_kind:     by_value
      - .offset:         80
        .size:           8
        .value_kind:     by_value
      - .offset:         88
        .size:           4
        .value_kind:     by_value
    .group_segment_fixed_size: 0
    .kernarg_segment_align: 8
    .kernarg_segment_size: 92
    .language:       OpenCL C
    .language_version:
      - 2
      - 0
    .max_flat_workgroup_size: 1024
    .name:           _ZN12_GLOBAL__N_120gemm_ex_scale_kernelILi32ELi32E19rocblas_complex_numIdEPKS2_PS2_EEviiT1_T2_lllT3_llli
    .private_segment_fixed_size: 0
    .sgpr_count:     32
    .sgpr_spill_count: 0
    .symbol:         _ZN12_GLOBAL__N_120gemm_ex_scale_kernelILi32ELi32E19rocblas_complex_numIdEPKS2_PS2_EEviiT1_T2_lllT3_llli.kd
    .uniform_work_group_size: 1
    .uses_dynamic_stack: false
    .vgpr_count:     12
    .vgpr_spill_count: 0
    .wavefront_size: 64
  - .agpr_count:     0
    .args:
      - .offset:         0
        .size:           8
        .value_kind:     by_value
      - .offset:         8
        .size:           8
        .value_kind:     by_value
      - .offset:         16
        .size:           8
        .value_kind:     by_value
      - .offset:         24
        .size:           16
        .value_kind:     by_value
      - .address_space:  global
        .offset:         40
        .size:           8
        .value_kind:     global_buffer
      - .offset:         48
        .size:           8
        .value_kind:     by_value
      - .offset:         56
        .size:           8
        .value_kind:     by_value
      - .address_space:  global
        .offset:         64
        .size:           8
        .value_kind:     global_buffer
      - .offset:         72
        .size:           8
        .value_kind:     by_value
      - .offset:         80
        .size:           8
        .value_kind:     by_value
      - .offset:         88
        .size:           16
        .value_kind:     by_value
      - .address_space:  global
        .offset:         104
        .size:           8
        .value_kind:     global_buffer
      - .offset:         112
        .size:           8
        .value_kind:     by_value
      - .offset:         120
        .size:           8
        .value_kind:     by_value
      - .address_space:  global
        .offset:         128
        .size:           8
        .value_kind:     global_buffer
      - .offset:         136
        .size:           8
        .value_kind:     by_value
      - .offset:         144
        .size:           8
        .value_kind:     by_value
      - .offset:         152
        .size:           4
        .value_kind:     by_value
    .group_segment_fixed_size: 8192
    .kernarg_segment_align: 8
    .kernarg_segment_size: 156
    .language:       OpenCL C
    .language_version:
      - 2
      - 0
    .max_flat_workgroup_size: 256
    .name:           _ZN12_GLOBAL__N_127rocblas_gemm_batched_kernelI19rocblas_complex_numIdELi16ELi16ELi64ELi64ELi4ELi64ELi4ELi4ELi64ELc78ELc78EKS2_S3_S2_EEvlllT_PT11_llS6_llS4_PT12_llPT13_lli
    .private_segment_fixed_size: 0
    .sgpr_count:     56
    .sgpr_spill_count: 0
    .symbol:         _ZN12_GLOBAL__N_127rocblas_gemm_batched_kernelI19rocblas_complex_numIdELi16ELi16ELi64ELi64ELi4ELi64ELi4ELi4ELi64ELc78ELc78EKS2_S3_S2_EEvlllT_PT11_llS6_llS4_PT12_llPT13_lli.kd
    .uniform_work_group_size: 1
    .uses_dynamic_stack: false
    .vgpr_count:     136
    .vgpr_spill_count: 0
    .wavefront_size: 64
  - .agpr_count:     0
    .args:
      - .offset:         0
        .size:           8
        .value_kind:     by_value
      - .offset:         8
        .size:           8
        .value_kind:     by_value
      - .offset:         16
        .size:           8
        .value_kind:     by_value
      - .offset:         24
        .size:           16
        .value_kind:     by_value
      - .address_space:  global
        .offset:         40
        .size:           8
        .value_kind:     global_buffer
      - .offset:         48
        .size:           8
        .value_kind:     by_value
      - .offset:         56
        .size:           8
        .value_kind:     by_value
      - .address_space:  global
        .offset:         64
        .size:           8
        .value_kind:     global_buffer
      - .offset:         72
        .size:           8
        .value_kind:     by_value
      - .offset:         80
        .size:           8
        .value_kind:     by_value
      - .offset:         88
        .size:           16
        .value_kind:     by_value
      - .address_space:  global
        .offset:         104
        .size:           8
        .value_kind:     global_buffer
      - .offset:         112
        .size:           8
        .value_kind:     by_value
      - .offset:         120
        .size:           8
        .value_kind:     by_value
      - .address_space:  global
        .offset:         128
        .size:           8
        .value_kind:     global_buffer
      - .offset:         136
        .size:           8
        .value_kind:     by_value
      - .offset:         144
        .size:           8
        .value_kind:     by_value
      - .offset:         152
        .size:           4
        .value_kind:     by_value
    .group_segment_fixed_size: 8192
    .kernarg_segment_align: 8
    .kernarg_segment_size: 156
    .language:       OpenCL C
    .language_version:
      - 2
      - 0
    .max_flat_workgroup_size: 256
    .name:           _ZN12_GLOBAL__N_127rocblas_gemm_batched_kernelI19rocblas_complex_numIdELi16ELi16ELi64ELi64ELi4ELi64ELi4ELi4ELi64ELc84ELc78EKS2_S3_S2_EEvlllT_PT11_llS6_llS4_PT12_llPT13_lli
    .private_segment_fixed_size: 0
    .sgpr_count:     56
    .sgpr_spill_count: 0
    .symbol:         _ZN12_GLOBAL__N_127rocblas_gemm_batched_kernelI19rocblas_complex_numIdELi16ELi16ELi64ELi64ELi4ELi64ELi4ELi4ELi64ELc84ELc78EKS2_S3_S2_EEvlllT_PT11_llS6_llS4_PT12_llPT13_lli.kd
    .uniform_work_group_size: 1
    .uses_dynamic_stack: false
    .vgpr_count:     134
    .vgpr_spill_count: 0
    .wavefront_size: 64
  - .agpr_count:     0
    .args:
      - .offset:         0
        .size:           8
        .value_kind:     by_value
      - .offset:         8
        .size:           8
        .value_kind:     by_value
      - .offset:         16
        .size:           8
        .value_kind:     by_value
      - .offset:         24
        .size:           16
        .value_kind:     by_value
      - .address_space:  global
        .offset:         40
        .size:           8
        .value_kind:     global_buffer
      - .offset:         48
        .size:           8
        .value_kind:     by_value
      - .offset:         56
        .size:           8
        .value_kind:     by_value
      - .address_space:  global
        .offset:         64
        .size:           8
        .value_kind:     global_buffer
      - .offset:         72
        .size:           8
        .value_kind:     by_value
      - .offset:         80
        .size:           8
        .value_kind:     by_value
      - .offset:         88
        .size:           16
        .value_kind:     by_value
      - .address_space:  global
        .offset:         104
        .size:           8
        .value_kind:     global_buffer
      - .offset:         112
        .size:           8
        .value_kind:     by_value
      - .offset:         120
        .size:           8
        .value_kind:     by_value
      - .address_space:  global
        .offset:         128
        .size:           8
        .value_kind:     global_buffer
      - .offset:         136
        .size:           8
        .value_kind:     by_value
      - .offset:         144
        .size:           8
        .value_kind:     by_value
      - .offset:         152
        .size:           4
        .value_kind:     by_value
    .group_segment_fixed_size: 8192
    .kernarg_segment_align: 8
    .kernarg_segment_size: 156
    .language:       OpenCL C
    .language_version:
      - 2
      - 0
    .max_flat_workgroup_size: 256
    .name:           _ZN12_GLOBAL__N_127rocblas_gemm_batched_kernelI19rocblas_complex_numIdELi16ELi16ELi64ELi64ELi4ELi64ELi4ELi4ELi64ELc78ELc84EKS2_S3_S2_EEvlllT_PT11_llS6_llS4_PT12_llPT13_lli
    .private_segment_fixed_size: 0
    .sgpr_count:     56
    .sgpr_spill_count: 0
    .symbol:         _ZN12_GLOBAL__N_127rocblas_gemm_batched_kernelI19rocblas_complex_numIdELi16ELi16ELi64ELi64ELi4ELi64ELi4ELi4ELi64ELc78ELc84EKS2_S3_S2_EEvlllT_PT11_llS6_llS4_PT12_llPT13_lli.kd
    .uniform_work_group_size: 1
    .uses_dynamic_stack: false
    .vgpr_count:     136
    .vgpr_spill_count: 0
    .wavefront_size: 64
  - .agpr_count:     0
    .args:
      - .offset:         0
        .size:           8
        .value_kind:     by_value
      - .offset:         8
        .size:           8
        .value_kind:     by_value
      - .offset:         16
        .size:           8
        .value_kind:     by_value
      - .offset:         24
        .size:           16
        .value_kind:     by_value
      - .address_space:  global
        .offset:         40
        .size:           8
        .value_kind:     global_buffer
      - .offset:         48
        .size:           8
        .value_kind:     by_value
      - .offset:         56
        .size:           8
        .value_kind:     by_value
      - .address_space:  global
        .offset:         64
        .size:           8
        .value_kind:     global_buffer
      - .offset:         72
        .size:           8
        .value_kind:     by_value
      - .offset:         80
        .size:           8
        .value_kind:     by_value
      - .offset:         88
        .size:           16
        .value_kind:     by_value
      - .address_space:  global
        .offset:         104
        .size:           8
        .value_kind:     global_buffer
      - .offset:         112
        .size:           8
        .value_kind:     by_value
      - .offset:         120
        .size:           8
        .value_kind:     by_value
      - .address_space:  global
        .offset:         128
        .size:           8
        .value_kind:     global_buffer
      - .offset:         136
        .size:           8
        .value_kind:     by_value
      - .offset:         144
        .size:           8
        .value_kind:     by_value
      - .offset:         152
        .size:           4
        .value_kind:     by_value
    .group_segment_fixed_size: 8192
    .kernarg_segment_align: 8
    .kernarg_segment_size: 156
    .language:       OpenCL C
    .language_version:
      - 2
      - 0
    .max_flat_workgroup_size: 256
    .name:           _ZN12_GLOBAL__N_127rocblas_gemm_batched_kernelI19rocblas_complex_numIdELi16ELi16ELi64ELi64ELi4ELi64ELi4ELi4ELi64ELc84ELc84EKS2_S3_S2_EEvlllT_PT11_llS6_llS4_PT12_llPT13_lli
    .private_segment_fixed_size: 0
    .sgpr_count:     56
    .sgpr_spill_count: 0
    .symbol:         _ZN12_GLOBAL__N_127rocblas_gemm_batched_kernelI19rocblas_complex_numIdELi16ELi16ELi64ELi64ELi4ELi64ELi4ELi4ELi64ELc84ELc84EKS2_S3_S2_EEvlllT_PT11_llS6_llS4_PT12_llPT13_lli.kd
    .uniform_work_group_size: 1
    .uses_dynamic_stack: false
    .vgpr_count:     136
    .vgpr_spill_count: 0
    .wavefront_size: 64
  - .agpr_count:     0
    .args:
      - .offset:         0
        .size:           8
        .value_kind:     by_value
      - .offset:         8
        .size:           8
        .value_kind:     by_value
      - .offset:         16
        .size:           8
        .value_kind:     by_value
      - .offset:         24
        .size:           16
        .value_kind:     by_value
      - .address_space:  global
        .offset:         40
        .size:           8
        .value_kind:     global_buffer
      - .offset:         48
        .size:           8
        .value_kind:     by_value
      - .offset:         56
        .size:           8
        .value_kind:     by_value
      - .address_space:  global
        .offset:         64
        .size:           8
        .value_kind:     global_buffer
      - .offset:         72
        .size:           8
        .value_kind:     by_value
      - .offset:         80
        .size:           8
        .value_kind:     by_value
      - .offset:         88
        .size:           16
        .value_kind:     by_value
      - .address_space:  global
        .offset:         104
        .size:           8
        .value_kind:     global_buffer
      - .offset:         112
        .size:           8
        .value_kind:     by_value
      - .offset:         120
        .size:           8
        .value_kind:     by_value
      - .address_space:  global
        .offset:         128
        .size:           8
        .value_kind:     global_buffer
      - .offset:         136
        .size:           8
        .value_kind:     by_value
      - .offset:         144
        .size:           8
        .value_kind:     by_value
      - .offset:         152
        .size:           4
        .value_kind:     by_value
    .group_segment_fixed_size: 8192
    .kernarg_segment_align: 8
    .kernarg_segment_size: 156
    .language:       OpenCL C
    .language_version:
      - 2
      - 0
    .max_flat_workgroup_size: 256
    .name:           _ZN12_GLOBAL__N_127rocblas_gemm_batched_kernelI19rocblas_complex_numIdELi16ELi16ELi64ELi64ELi4ELi64ELi4ELi4ELi64ELc67ELc67EKS2_S3_S2_EEvlllT_PT11_llS6_llS4_PT12_llPT13_lli
    .private_segment_fixed_size: 0
    .sgpr_count:     56
    .sgpr_spill_count: 0
    .symbol:         _ZN12_GLOBAL__N_127rocblas_gemm_batched_kernelI19rocblas_complex_numIdELi16ELi16ELi64ELi64ELi4ELi64ELi4ELi4ELi64ELc67ELc67EKS2_S3_S2_EEvlllT_PT11_llS6_llS4_PT12_llPT13_lli.kd
    .uniform_work_group_size: 1
    .uses_dynamic_stack: false
    .vgpr_count:     136
    .vgpr_spill_count: 0
    .wavefront_size: 64
  - .agpr_count:     0
    .args:
      - .offset:         0
        .size:           8
        .value_kind:     by_value
      - .offset:         8
        .size:           8
        .value_kind:     by_value
      - .offset:         16
        .size:           8
        .value_kind:     by_value
      - .offset:         24
        .size:           16
        .value_kind:     by_value
      - .address_space:  global
        .offset:         40
        .size:           8
        .value_kind:     global_buffer
      - .offset:         48
        .size:           8
        .value_kind:     by_value
      - .offset:         56
        .size:           8
        .value_kind:     by_value
      - .address_space:  global
        .offset:         64
        .size:           8
        .value_kind:     global_buffer
      - .offset:         72
        .size:           8
        .value_kind:     by_value
      - .offset:         80
        .size:           8
        .value_kind:     by_value
      - .offset:         88
        .size:           16
        .value_kind:     by_value
      - .address_space:  global
        .offset:         104
        .size:           8
        .value_kind:     global_buffer
      - .offset:         112
        .size:           8
        .value_kind:     by_value
      - .offset:         120
        .size:           8
        .value_kind:     by_value
      - .address_space:  global
        .offset:         128
        .size:           8
        .value_kind:     global_buffer
      - .offset:         136
        .size:           8
        .value_kind:     by_value
      - .offset:         144
        .size:           8
        .value_kind:     by_value
      - .offset:         152
        .size:           4
        .value_kind:     by_value
    .group_segment_fixed_size: 8192
    .kernarg_segment_align: 8
    .kernarg_segment_size: 156
    .language:       OpenCL C
    .language_version:
      - 2
      - 0
    .max_flat_workgroup_size: 256
    .name:           _ZN12_GLOBAL__N_127rocblas_gemm_batched_kernelI19rocblas_complex_numIdELi16ELi16ELi64ELi64ELi4ELi64ELi4ELi4ELi64ELc67ELc78EKS2_S3_S2_EEvlllT_PT11_llS6_llS4_PT12_llPT13_lli
    .private_segment_fixed_size: 0
    .sgpr_count:     56
    .sgpr_spill_count: 0
    .symbol:         _ZN12_GLOBAL__N_127rocblas_gemm_batched_kernelI19rocblas_complex_numIdELi16ELi16ELi64ELi64ELi4ELi64ELi4ELi4ELi64ELc67ELc78EKS2_S3_S2_EEvlllT_PT11_llS6_llS4_PT12_llPT13_lli.kd
    .uniform_work_group_size: 1
    .uses_dynamic_stack: false
    .vgpr_count:     134
    .vgpr_spill_count: 0
    .wavefront_size: 64
  - .agpr_count:     0
    .args:
      - .offset:         0
        .size:           8
        .value_kind:     by_value
      - .offset:         8
        .size:           8
        .value_kind:     by_value
      - .offset:         16
        .size:           8
        .value_kind:     by_value
      - .offset:         24
        .size:           16
        .value_kind:     by_value
      - .address_space:  global
        .offset:         40
        .size:           8
        .value_kind:     global_buffer
      - .offset:         48
        .size:           8
        .value_kind:     by_value
      - .offset:         56
        .size:           8
        .value_kind:     by_value
      - .address_space:  global
        .offset:         64
        .size:           8
        .value_kind:     global_buffer
      - .offset:         72
        .size:           8
        .value_kind:     by_value
      - .offset:         80
        .size:           8
        .value_kind:     by_value
      - .offset:         88
        .size:           16
        .value_kind:     by_value
      - .address_space:  global
        .offset:         104
        .size:           8
        .value_kind:     global_buffer
      - .offset:         112
        .size:           8
        .value_kind:     by_value
      - .offset:         120
        .size:           8
        .value_kind:     by_value
      - .address_space:  global
        .offset:         128
        .size:           8
        .value_kind:     global_buffer
      - .offset:         136
        .size:           8
        .value_kind:     by_value
      - .offset:         144
        .size:           8
        .value_kind:     by_value
      - .offset:         152
        .size:           4
        .value_kind:     by_value
    .group_segment_fixed_size: 8192
    .kernarg_segment_align: 8
    .kernarg_segment_size: 156
    .language:       OpenCL C
    .language_version:
      - 2
      - 0
    .max_flat_workgroup_size: 256
    .name:           _ZN12_GLOBAL__N_127rocblas_gemm_batched_kernelI19rocblas_complex_numIdELi16ELi16ELi64ELi64ELi4ELi64ELi4ELi4ELi64ELc67ELc84EKS2_S3_S2_EEvlllT_PT11_llS6_llS4_PT12_llPT13_lli
    .private_segment_fixed_size: 0
    .sgpr_count:     56
    .sgpr_spill_count: 0
    .symbol:         _ZN12_GLOBAL__N_127rocblas_gemm_batched_kernelI19rocblas_complex_numIdELi16ELi16ELi64ELi64ELi4ELi64ELi4ELi4ELi64ELc67ELc84EKS2_S3_S2_EEvlllT_PT11_llS6_llS4_PT12_llPT13_lli.kd
    .uniform_work_group_size: 1
    .uses_dynamic_stack: false
    .vgpr_count:     136
    .vgpr_spill_count: 0
    .wavefront_size: 64
  - .agpr_count:     0
    .args:
      - .offset:         0
        .size:           8
        .value_kind:     by_value
      - .offset:         8
        .size:           8
        .value_kind:     by_value
      - .offset:         16
        .size:           8
        .value_kind:     by_value
      - .offset:         24
        .size:           16
        .value_kind:     by_value
      - .address_space:  global
        .offset:         40
        .size:           8
        .value_kind:     global_buffer
      - .offset:         48
        .size:           8
        .value_kind:     by_value
      - .offset:         56
        .size:           8
        .value_kind:     by_value
      - .address_space:  global
        .offset:         64
        .size:           8
        .value_kind:     global_buffer
      - .offset:         72
        .size:           8
        .value_kind:     by_value
      - .offset:         80
        .size:           8
        .value_kind:     by_value
      - .offset:         88
        .size:           16
        .value_kind:     by_value
      - .address_space:  global
        .offset:         104
        .size:           8
        .value_kind:     global_buffer
      - .offset:         112
        .size:           8
        .value_kind:     by_value
      - .offset:         120
        .size:           8
        .value_kind:     by_value
      - .address_space:  global
        .offset:         128
        .size:           8
        .value_kind:     global_buffer
      - .offset:         136
        .size:           8
        .value_kind:     by_value
      - .offset:         144
        .size:           8
        .value_kind:     by_value
      - .offset:         152
        .size:           4
        .value_kind:     by_value
    .group_segment_fixed_size: 8192
    .kernarg_segment_align: 8
    .kernarg_segment_size: 156
    .language:       OpenCL C
    .language_version:
      - 2
      - 0
    .max_flat_workgroup_size: 256
    .name:           _ZN12_GLOBAL__N_127rocblas_gemm_batched_kernelI19rocblas_complex_numIdELi16ELi16ELi64ELi64ELi4ELi64ELi4ELi4ELi64ELc78ELc67EKS2_S3_S2_EEvlllT_PT11_llS6_llS4_PT12_llPT13_lli
    .private_segment_fixed_size: 0
    .sgpr_count:     56
    .sgpr_spill_count: 0
    .symbol:         _ZN12_GLOBAL__N_127rocblas_gemm_batched_kernelI19rocblas_complex_numIdELi16ELi16ELi64ELi64ELi4ELi64ELi4ELi4ELi64ELc78ELc67EKS2_S3_S2_EEvlllT_PT11_llS6_llS4_PT12_llPT13_lli.kd
    .uniform_work_group_size: 1
    .uses_dynamic_stack: false
    .vgpr_count:     136
    .vgpr_spill_count: 0
    .wavefront_size: 64
  - .agpr_count:     0
    .args:
      - .offset:         0
        .size:           8
        .value_kind:     by_value
      - .offset:         8
        .size:           8
        .value_kind:     by_value
      - .offset:         16
        .size:           8
        .value_kind:     by_value
      - .offset:         24
        .size:           16
        .value_kind:     by_value
      - .address_space:  global
        .offset:         40
        .size:           8
        .value_kind:     global_buffer
      - .offset:         48
        .size:           8
        .value_kind:     by_value
      - .offset:         56
        .size:           8
        .value_kind:     by_value
      - .address_space:  global
        .offset:         64
        .size:           8
        .value_kind:     global_buffer
      - .offset:         72
        .size:           8
        .value_kind:     by_value
      - .offset:         80
        .size:           8
        .value_kind:     by_value
      - .offset:         88
        .size:           16
        .value_kind:     by_value
      - .address_space:  global
        .offset:         104
        .size:           8
        .value_kind:     global_buffer
      - .offset:         112
        .size:           8
        .value_kind:     by_value
      - .offset:         120
        .size:           8
        .value_kind:     by_value
      - .address_space:  global
        .offset:         128
        .size:           8
        .value_kind:     global_buffer
      - .offset:         136
        .size:           8
        .value_kind:     by_value
      - .offset:         144
        .size:           8
        .value_kind:     by_value
      - .offset:         152
        .size:           4
        .value_kind:     by_value
    .group_segment_fixed_size: 8192
    .kernarg_segment_align: 8
    .kernarg_segment_size: 156
    .language:       OpenCL C
    .language_version:
      - 2
      - 0
    .max_flat_workgroup_size: 256
    .name:           _ZN12_GLOBAL__N_127rocblas_gemm_batched_kernelI19rocblas_complex_numIdELi16ELi16ELi64ELi64ELi4ELi64ELi4ELi4ELi64ELc84ELc67EKS2_S3_S2_EEvlllT_PT11_llS6_llS4_PT12_llPT13_lli
    .private_segment_fixed_size: 0
    .sgpr_count:     56
    .sgpr_spill_count: 0
    .symbol:         _ZN12_GLOBAL__N_127rocblas_gemm_batched_kernelI19rocblas_complex_numIdELi16ELi16ELi64ELi64ELi4ELi64ELi4ELi4ELi64ELc84ELc67EKS2_S3_S2_EEvlllT_PT11_llS6_llS4_PT12_llPT13_lli.kd
    .uniform_work_group_size: 1
    .uses_dynamic_stack: false
    .vgpr_count:     136
    .vgpr_spill_count: 0
    .wavefront_size: 64
  - .agpr_count:     0
    .args:
      - .offset:         0
        .size:           8
        .value_kind:     by_value
      - .offset:         8
        .size:           8
        .value_kind:     by_value
      - .offset:         16
        .size:           8
        .value_kind:     by_value
      - .offset:         24
        .size:           16
        .value_kind:     by_value
      - .address_space:  global
        .offset:         40
        .size:           8
        .value_kind:     global_buffer
      - .offset:         48
        .size:           8
        .value_kind:     by_value
      - .offset:         56
        .size:           8
        .value_kind:     by_value
      - .address_space:  global
        .offset:         64
        .size:           8
        .value_kind:     global_buffer
      - .offset:         72
        .size:           8
        .value_kind:     by_value
      - .offset:         80
        .size:           8
        .value_kind:     by_value
      - .offset:         88
        .size:           16
        .value_kind:     by_value
      - .address_space:  global
        .offset:         104
        .size:           8
        .value_kind:     global_buffer
      - .offset:         112
        .size:           8
        .value_kind:     by_value
      - .offset:         120
        .size:           8
        .value_kind:     by_value
      - .address_space:  global
        .offset:         128
        .size:           8
        .value_kind:     global_buffer
      - .offset:         136
        .size:           8
        .value_kind:     by_value
      - .offset:         144
        .size:           8
        .value_kind:     by_value
      - .offset:         152
        .size:           4
        .value_kind:     by_value
    .group_segment_fixed_size: 8192
    .kernarg_segment_align: 8
    .kernarg_segment_size: 156
    .language:       OpenCL C
    .language_version:
      - 2
      - 0
    .max_flat_workgroup_size: 256
    .name:           _ZN12_GLOBAL__N_127rocblas_gemm_batched_kernelI19rocblas_complex_numIdELi16ELi16ELi32ELi32ELi8ELi32ELi8ELi8ELi32ELc78ELc78EKS2_S3_S2_EEvlllT_PT11_llS6_llS4_PT12_llPT13_lli
    .private_segment_fixed_size: 0
    .sgpr_count:     56
    .sgpr_spill_count: 0
    .symbol:         _ZN12_GLOBAL__N_127rocblas_gemm_batched_kernelI19rocblas_complex_numIdELi16ELi16ELi32ELi32ELi8ELi32ELi8ELi8ELi32ELc78ELc78EKS2_S3_S2_EEvlllT_PT11_llS6_llS4_PT12_llPT13_lli.kd
    .uniform_work_group_size: 1
    .uses_dynamic_stack: false
    .vgpr_count:     56
    .vgpr_spill_count: 0
    .wavefront_size: 64
  - .agpr_count:     0
    .args:
      - .offset:         0
        .size:           8
        .value_kind:     by_value
      - .offset:         8
        .size:           8
        .value_kind:     by_value
      - .offset:         16
        .size:           8
        .value_kind:     by_value
      - .offset:         24
        .size:           16
        .value_kind:     by_value
      - .address_space:  global
        .offset:         40
        .size:           8
        .value_kind:     global_buffer
      - .offset:         48
        .size:           8
        .value_kind:     by_value
      - .offset:         56
        .size:           8
        .value_kind:     by_value
      - .address_space:  global
        .offset:         64
        .size:           8
        .value_kind:     global_buffer
      - .offset:         72
        .size:           8
        .value_kind:     by_value
      - .offset:         80
        .size:           8
        .value_kind:     by_value
      - .offset:         88
        .size:           16
        .value_kind:     by_value
      - .address_space:  global
        .offset:         104
        .size:           8
        .value_kind:     global_buffer
      - .offset:         112
        .size:           8
        .value_kind:     by_value
      - .offset:         120
        .size:           8
        .value_kind:     by_value
      - .address_space:  global
        .offset:         128
        .size:           8
        .value_kind:     global_buffer
      - .offset:         136
        .size:           8
        .value_kind:     by_value
      - .offset:         144
        .size:           8
        .value_kind:     by_value
      - .offset:         152
        .size:           4
        .value_kind:     by_value
    .group_segment_fixed_size: 8192
    .kernarg_segment_align: 8
    .kernarg_segment_size: 156
    .language:       OpenCL C
    .language_version:
      - 2
      - 0
    .max_flat_workgroup_size: 256
    .name:           _ZN12_GLOBAL__N_127rocblas_gemm_batched_kernelI19rocblas_complex_numIdELi16ELi16ELi32ELi32ELi8ELi32ELi8ELi8ELi32ELc84ELc78EKS2_S3_S2_EEvlllT_PT11_llS6_llS4_PT12_llPT13_lli
    .private_segment_fixed_size: 0
    .sgpr_count:     56
    .sgpr_spill_count: 0
    .symbol:         _ZN12_GLOBAL__N_127rocblas_gemm_batched_kernelI19rocblas_complex_numIdELi16ELi16ELi32ELi32ELi8ELi32ELi8ELi8ELi32ELc84ELc78EKS2_S3_S2_EEvlllT_PT11_llS6_llS4_PT12_llPT13_lli.kd
    .uniform_work_group_size: 1
    .uses_dynamic_stack: false
    .vgpr_count:     54
    .vgpr_spill_count: 0
    .wavefront_size: 64
  - .agpr_count:     0
    .args:
      - .offset:         0
        .size:           8
        .value_kind:     by_value
      - .offset:         8
        .size:           8
        .value_kind:     by_value
      - .offset:         16
        .size:           8
        .value_kind:     by_value
      - .offset:         24
        .size:           16
        .value_kind:     by_value
      - .address_space:  global
        .offset:         40
        .size:           8
        .value_kind:     global_buffer
      - .offset:         48
        .size:           8
        .value_kind:     by_value
      - .offset:         56
        .size:           8
        .value_kind:     by_value
      - .address_space:  global
        .offset:         64
        .size:           8
        .value_kind:     global_buffer
      - .offset:         72
        .size:           8
        .value_kind:     by_value
      - .offset:         80
        .size:           8
        .value_kind:     by_value
      - .offset:         88
        .size:           16
        .value_kind:     by_value
      - .address_space:  global
        .offset:         104
        .size:           8
        .value_kind:     global_buffer
      - .offset:         112
        .size:           8
        .value_kind:     by_value
      - .offset:         120
        .size:           8
        .value_kind:     by_value
      - .address_space:  global
        .offset:         128
        .size:           8
        .value_kind:     global_buffer
      - .offset:         136
        .size:           8
        .value_kind:     by_value
      - .offset:         144
        .size:           8
        .value_kind:     by_value
      - .offset:         152
        .size:           4
        .value_kind:     by_value
    .group_segment_fixed_size: 8192
    .kernarg_segment_align: 8
    .kernarg_segment_size: 156
    .language:       OpenCL C
    .language_version:
      - 2
      - 0
    .max_flat_workgroup_size: 256
    .name:           _ZN12_GLOBAL__N_127rocblas_gemm_batched_kernelI19rocblas_complex_numIdELi16ELi16ELi32ELi32ELi8ELi32ELi8ELi8ELi32ELc78ELc84EKS2_S3_S2_EEvlllT_PT11_llS6_llS4_PT12_llPT13_lli
    .private_segment_fixed_size: 0
    .sgpr_count:     56
    .sgpr_spill_count: 0
    .symbol:         _ZN12_GLOBAL__N_127rocblas_gemm_batched_kernelI19rocblas_complex_numIdELi16ELi16ELi32ELi32ELi8ELi32ELi8ELi8ELi32ELc78ELc84EKS2_S3_S2_EEvlllT_PT11_llS6_llS4_PT12_llPT13_lli.kd
    .uniform_work_group_size: 1
    .uses_dynamic_stack: false
    .vgpr_count:     56
    .vgpr_spill_count: 0
    .wavefront_size: 64
  - .agpr_count:     0
    .args:
      - .offset:         0
        .size:           8
        .value_kind:     by_value
      - .offset:         8
        .size:           8
        .value_kind:     by_value
      - .offset:         16
        .size:           8
        .value_kind:     by_value
      - .offset:         24
        .size:           16
        .value_kind:     by_value
      - .address_space:  global
        .offset:         40
        .size:           8
        .value_kind:     global_buffer
      - .offset:         48
        .size:           8
        .value_kind:     by_value
      - .offset:         56
        .size:           8
        .value_kind:     by_value
      - .address_space:  global
        .offset:         64
        .size:           8
        .value_kind:     global_buffer
      - .offset:         72
        .size:           8
        .value_kind:     by_value
      - .offset:         80
        .size:           8
        .value_kind:     by_value
      - .offset:         88
        .size:           16
        .value_kind:     by_value
      - .address_space:  global
        .offset:         104
        .size:           8
        .value_kind:     global_buffer
      - .offset:         112
        .size:           8
        .value_kind:     by_value
      - .offset:         120
        .size:           8
        .value_kind:     by_value
      - .address_space:  global
        .offset:         128
        .size:           8
        .value_kind:     global_buffer
      - .offset:         136
        .size:           8
        .value_kind:     by_value
      - .offset:         144
        .size:           8
        .value_kind:     by_value
      - .offset:         152
        .size:           4
        .value_kind:     by_value
    .group_segment_fixed_size: 8192
    .kernarg_segment_align: 8
    .kernarg_segment_size: 156
    .language:       OpenCL C
    .language_version:
      - 2
      - 0
    .max_flat_workgroup_size: 256
    .name:           _ZN12_GLOBAL__N_127rocblas_gemm_batched_kernelI19rocblas_complex_numIdELi16ELi16ELi32ELi32ELi8ELi32ELi8ELi8ELi32ELc84ELc84EKS2_S3_S2_EEvlllT_PT11_llS6_llS4_PT12_llPT13_lli
    .private_segment_fixed_size: 0
    .sgpr_count:     56
    .sgpr_spill_count: 0
    .symbol:         _ZN12_GLOBAL__N_127rocblas_gemm_batched_kernelI19rocblas_complex_numIdELi16ELi16ELi32ELi32ELi8ELi32ELi8ELi8ELi32ELc84ELc84EKS2_S3_S2_EEvlllT_PT11_llS6_llS4_PT12_llPT13_lli.kd
    .uniform_work_group_size: 1
    .uses_dynamic_stack: false
    .vgpr_count:     56
    .vgpr_spill_count: 0
    .wavefront_size: 64
  - .agpr_count:     0
    .args:
      - .offset:         0
        .size:           8
        .value_kind:     by_value
      - .offset:         8
        .size:           8
        .value_kind:     by_value
      - .offset:         16
        .size:           8
        .value_kind:     by_value
      - .offset:         24
        .size:           16
        .value_kind:     by_value
      - .address_space:  global
        .offset:         40
        .size:           8
        .value_kind:     global_buffer
      - .offset:         48
        .size:           8
        .value_kind:     by_value
      - .offset:         56
        .size:           8
        .value_kind:     by_value
      - .address_space:  global
        .offset:         64
        .size:           8
        .value_kind:     global_buffer
      - .offset:         72
        .size:           8
        .value_kind:     by_value
      - .offset:         80
        .size:           8
        .value_kind:     by_value
      - .offset:         88
        .size:           16
        .value_kind:     by_value
      - .address_space:  global
        .offset:         104
        .size:           8
        .value_kind:     global_buffer
      - .offset:         112
        .size:           8
        .value_kind:     by_value
      - .offset:         120
        .size:           8
        .value_kind:     by_value
      - .address_space:  global
        .offset:         128
        .size:           8
        .value_kind:     global_buffer
      - .offset:         136
        .size:           8
        .value_kind:     by_value
      - .offset:         144
        .size:           8
        .value_kind:     by_value
      - .offset:         152
        .size:           4
        .value_kind:     by_value
    .group_segment_fixed_size: 8192
    .kernarg_segment_align: 8
    .kernarg_segment_size: 156
    .language:       OpenCL C
    .language_version:
      - 2
      - 0
    .max_flat_workgroup_size: 256
    .name:           _ZN12_GLOBAL__N_127rocblas_gemm_batched_kernelI19rocblas_complex_numIdELi16ELi16ELi32ELi32ELi8ELi32ELi8ELi8ELi32ELc67ELc67EKS2_S3_S2_EEvlllT_PT11_llS6_llS4_PT12_llPT13_lli
    .private_segment_fixed_size: 0
    .sgpr_count:     56
    .sgpr_spill_count: 0
    .symbol:         _ZN12_GLOBAL__N_127rocblas_gemm_batched_kernelI19rocblas_complex_numIdELi16ELi16ELi32ELi32ELi8ELi32ELi8ELi8ELi32ELc67ELc67EKS2_S3_S2_EEvlllT_PT11_llS6_llS4_PT12_llPT13_lli.kd
    .uniform_work_group_size: 1
    .uses_dynamic_stack: false
    .vgpr_count:     56
    .vgpr_spill_count: 0
    .wavefront_size: 64
  - .agpr_count:     0
    .args:
      - .offset:         0
        .size:           8
        .value_kind:     by_value
      - .offset:         8
        .size:           8
        .value_kind:     by_value
      - .offset:         16
        .size:           8
        .value_kind:     by_value
      - .offset:         24
        .size:           16
        .value_kind:     by_value
      - .address_space:  global
        .offset:         40
        .size:           8
        .value_kind:     global_buffer
      - .offset:         48
        .size:           8
        .value_kind:     by_value
      - .offset:         56
        .size:           8
        .value_kind:     by_value
      - .address_space:  global
        .offset:         64
        .size:           8
        .value_kind:     global_buffer
      - .offset:         72
        .size:           8
        .value_kind:     by_value
      - .offset:         80
        .size:           8
        .value_kind:     by_value
      - .offset:         88
        .size:           16
        .value_kind:     by_value
      - .address_space:  global
        .offset:         104
        .size:           8
        .value_kind:     global_buffer
      - .offset:         112
        .size:           8
        .value_kind:     by_value
      - .offset:         120
        .size:           8
        .value_kind:     by_value
      - .address_space:  global
        .offset:         128
        .size:           8
        .value_kind:     global_buffer
      - .offset:         136
        .size:           8
        .value_kind:     by_value
      - .offset:         144
        .size:           8
        .value_kind:     by_value
      - .offset:         152
        .size:           4
        .value_kind:     by_value
    .group_segment_fixed_size: 8192
    .kernarg_segment_align: 8
    .kernarg_segment_size: 156
    .language:       OpenCL C
    .language_version:
      - 2
      - 0
    .max_flat_workgroup_size: 256
    .name:           _ZN12_GLOBAL__N_127rocblas_gemm_batched_kernelI19rocblas_complex_numIdELi16ELi16ELi32ELi32ELi8ELi32ELi8ELi8ELi32ELc67ELc78EKS2_S3_S2_EEvlllT_PT11_llS6_llS4_PT12_llPT13_lli
    .private_segment_fixed_size: 0
    .sgpr_count:     56
    .sgpr_spill_count: 0
    .symbol:         _ZN12_GLOBAL__N_127rocblas_gemm_batched_kernelI19rocblas_complex_numIdELi16ELi16ELi32ELi32ELi8ELi32ELi8ELi8ELi32ELc67ELc78EKS2_S3_S2_EEvlllT_PT11_llS6_llS4_PT12_llPT13_lli.kd
    .uniform_work_group_size: 1
    .uses_dynamic_stack: false
    .vgpr_count:     54
    .vgpr_spill_count: 0
    .wavefront_size: 64
  - .agpr_count:     0
    .args:
      - .offset:         0
        .size:           8
        .value_kind:     by_value
      - .offset:         8
        .size:           8
        .value_kind:     by_value
      - .offset:         16
        .size:           8
        .value_kind:     by_value
      - .offset:         24
        .size:           16
        .value_kind:     by_value
      - .address_space:  global
        .offset:         40
        .size:           8
        .value_kind:     global_buffer
      - .offset:         48
        .size:           8
        .value_kind:     by_value
      - .offset:         56
        .size:           8
        .value_kind:     by_value
      - .address_space:  global
        .offset:         64
        .size:           8
        .value_kind:     global_buffer
      - .offset:         72
        .size:           8
        .value_kind:     by_value
      - .offset:         80
        .size:           8
        .value_kind:     by_value
      - .offset:         88
        .size:           16
        .value_kind:     by_value
      - .address_space:  global
        .offset:         104
        .size:           8
        .value_kind:     global_buffer
      - .offset:         112
        .size:           8
        .value_kind:     by_value
      - .offset:         120
        .size:           8
        .value_kind:     by_value
      - .address_space:  global
        .offset:         128
        .size:           8
        .value_kind:     global_buffer
      - .offset:         136
        .size:           8
        .value_kind:     by_value
      - .offset:         144
        .size:           8
        .value_kind:     by_value
      - .offset:         152
        .size:           4
        .value_kind:     by_value
    .group_segment_fixed_size: 8192
    .kernarg_segment_align: 8
    .kernarg_segment_size: 156
    .language:       OpenCL C
    .language_version:
      - 2
      - 0
    .max_flat_workgroup_size: 256
    .name:           _ZN12_GLOBAL__N_127rocblas_gemm_batched_kernelI19rocblas_complex_numIdELi16ELi16ELi32ELi32ELi8ELi32ELi8ELi8ELi32ELc67ELc84EKS2_S3_S2_EEvlllT_PT11_llS6_llS4_PT12_llPT13_lli
    .private_segment_fixed_size: 0
    .sgpr_count:     56
    .sgpr_spill_count: 0
    .symbol:         _ZN12_GLOBAL__N_127rocblas_gemm_batched_kernelI19rocblas_complex_numIdELi16ELi16ELi32ELi32ELi8ELi32ELi8ELi8ELi32ELc67ELc84EKS2_S3_S2_EEvlllT_PT11_llS6_llS4_PT12_llPT13_lli.kd
    .uniform_work_group_size: 1
    .uses_dynamic_stack: false
    .vgpr_count:     56
    .vgpr_spill_count: 0
    .wavefront_size: 64
  - .agpr_count:     0
    .args:
      - .offset:         0
        .size:           8
        .value_kind:     by_value
      - .offset:         8
        .size:           8
        .value_kind:     by_value
      - .offset:         16
        .size:           8
        .value_kind:     by_value
      - .offset:         24
        .size:           16
        .value_kind:     by_value
      - .address_space:  global
        .offset:         40
        .size:           8
        .value_kind:     global_buffer
      - .offset:         48
        .size:           8
        .value_kind:     by_value
      - .offset:         56
        .size:           8
        .value_kind:     by_value
      - .address_space:  global
        .offset:         64
        .size:           8
        .value_kind:     global_buffer
      - .offset:         72
        .size:           8
        .value_kind:     by_value
      - .offset:         80
        .size:           8
        .value_kind:     by_value
      - .offset:         88
        .size:           16
        .value_kind:     by_value
      - .address_space:  global
        .offset:         104
        .size:           8
        .value_kind:     global_buffer
      - .offset:         112
        .size:           8
        .value_kind:     by_value
      - .offset:         120
        .size:           8
        .value_kind:     by_value
      - .address_space:  global
        .offset:         128
        .size:           8
        .value_kind:     global_buffer
      - .offset:         136
        .size:           8
        .value_kind:     by_value
      - .offset:         144
        .size:           8
        .value_kind:     by_value
      - .offset:         152
        .size:           4
        .value_kind:     by_value
    .group_segment_fixed_size: 8192
    .kernarg_segment_align: 8
    .kernarg_segment_size: 156
    .language:       OpenCL C
    .language_version:
      - 2
      - 0
    .max_flat_workgroup_size: 256
    .name:           _ZN12_GLOBAL__N_127rocblas_gemm_batched_kernelI19rocblas_complex_numIdELi16ELi16ELi32ELi32ELi8ELi32ELi8ELi8ELi32ELc78ELc67EKS2_S3_S2_EEvlllT_PT11_llS6_llS4_PT12_llPT13_lli
    .private_segment_fixed_size: 0
    .sgpr_count:     56
    .sgpr_spill_count: 0
    .symbol:         _ZN12_GLOBAL__N_127rocblas_gemm_batched_kernelI19rocblas_complex_numIdELi16ELi16ELi32ELi32ELi8ELi32ELi8ELi8ELi32ELc78ELc67EKS2_S3_S2_EEvlllT_PT11_llS6_llS4_PT12_llPT13_lli.kd
    .uniform_work_group_size: 1
    .uses_dynamic_stack: false
    .vgpr_count:     56
    .vgpr_spill_count: 0
    .wavefront_size: 64
  - .agpr_count:     0
    .args:
      - .offset:         0
        .size:           8
        .value_kind:     by_value
      - .offset:         8
        .size:           8
        .value_kind:     by_value
      - .offset:         16
        .size:           8
        .value_kind:     by_value
      - .offset:         24
        .size:           16
        .value_kind:     by_value
      - .address_space:  global
        .offset:         40
        .size:           8
        .value_kind:     global_buffer
      - .offset:         48
        .size:           8
        .value_kind:     by_value
      - .offset:         56
        .size:           8
        .value_kind:     by_value
      - .address_space:  global
        .offset:         64
        .size:           8
        .value_kind:     global_buffer
      - .offset:         72
        .size:           8
        .value_kind:     by_value
      - .offset:         80
        .size:           8
        .value_kind:     by_value
      - .offset:         88
        .size:           16
        .value_kind:     by_value
      - .address_space:  global
        .offset:         104
        .size:           8
        .value_kind:     global_buffer
      - .offset:         112
        .size:           8
        .value_kind:     by_value
      - .offset:         120
        .size:           8
        .value_kind:     by_value
      - .address_space:  global
        .offset:         128
        .size:           8
        .value_kind:     global_buffer
      - .offset:         136
        .size:           8
        .value_kind:     by_value
      - .offset:         144
        .size:           8
        .value_kind:     by_value
      - .offset:         152
        .size:           4
        .value_kind:     by_value
    .group_segment_fixed_size: 8192
    .kernarg_segment_align: 8
    .kernarg_segment_size: 156
    .language:       OpenCL C
    .language_version:
      - 2
      - 0
    .max_flat_workgroup_size: 256
    .name:           _ZN12_GLOBAL__N_127rocblas_gemm_batched_kernelI19rocblas_complex_numIdELi16ELi16ELi32ELi32ELi8ELi32ELi8ELi8ELi32ELc84ELc67EKS2_S3_S2_EEvlllT_PT11_llS6_llS4_PT12_llPT13_lli
    .private_segment_fixed_size: 0
    .sgpr_count:     56
    .sgpr_spill_count: 0
    .symbol:         _ZN12_GLOBAL__N_127rocblas_gemm_batched_kernelI19rocblas_complex_numIdELi16ELi16ELi32ELi32ELi8ELi32ELi8ELi8ELi32ELc84ELc67EKS2_S3_S2_EEvlllT_PT11_llS6_llS4_PT12_llPT13_lli.kd
    .uniform_work_group_size: 1
    .uses_dynamic_stack: false
    .vgpr_count:     56
    .vgpr_spill_count: 0
    .wavefront_size: 64
  - .agpr_count:     0
    .args:
      - .offset:         0
        .size:           8
        .value_kind:     by_value
      - .offset:         8
        .size:           8
        .value_kind:     by_value
      - .offset:         16
        .size:           8
        .value_kind:     by_value
      - .offset:         24
        .size:           16
        .value_kind:     by_value
      - .address_space:  global
        .offset:         40
        .size:           8
        .value_kind:     global_buffer
      - .offset:         48
        .size:           8
        .value_kind:     by_value
      - .offset:         56
        .size:           8
        .value_kind:     by_value
      - .address_space:  global
        .offset:         64
        .size:           8
        .value_kind:     global_buffer
      - .offset:         72
        .size:           8
        .value_kind:     by_value
      - .offset:         80
        .size:           8
        .value_kind:     by_value
      - .offset:         88
        .size:           16
        .value_kind:     by_value
      - .address_space:  global
        .offset:         104
        .size:           8
        .value_kind:     global_buffer
      - .offset:         112
        .size:           8
        .value_kind:     by_value
      - .offset:         120
        .size:           8
        .value_kind:     by_value
      - .address_space:  global
        .offset:         128
        .size:           8
        .value_kind:     global_buffer
      - .offset:         136
        .size:           8
        .value_kind:     by_value
      - .offset:         144
        .size:           8
        .value_kind:     by_value
      - .offset:         152
        .size:           4
        .value_kind:     by_value
    .group_segment_fixed_size: 8192
    .kernarg_segment_align: 8
    .kernarg_segment_size: 156
    .language:       OpenCL C
    .language_version:
      - 2
      - 0
    .max_flat_workgroup_size: 256
    .name:           _ZN12_GLOBAL__N_135rocblas_gemm_batched_general_kernelI19rocblas_complex_numIdELi16ELi16ELi32ELi32ELi8ELi32ELi8ELi8ELi32ELc78ELc78EKS2_S3_S2_EEvlllT_PT11_llS6_llS4_PT12_llPT13_lli
    .private_segment_fixed_size: 0
    .sgpr_count:     56
    .sgpr_spill_count: 0
    .symbol:         _ZN12_GLOBAL__N_135rocblas_gemm_batched_general_kernelI19rocblas_complex_numIdELi16ELi16ELi32ELi32ELi8ELi32ELi8ELi8ELi32ELc78ELc78EKS2_S3_S2_EEvlllT_PT11_llS6_llS4_PT12_llPT13_lli.kd
    .uniform_work_group_size: 1
    .uses_dynamic_stack: false
    .vgpr_count:     60
    .vgpr_spill_count: 0
    .wavefront_size: 64
  - .agpr_count:     0
    .args:
      - .offset:         0
        .size:           8
        .value_kind:     by_value
      - .offset:         8
        .size:           8
        .value_kind:     by_value
      - .offset:         16
        .size:           8
        .value_kind:     by_value
      - .offset:         24
        .size:           16
        .value_kind:     by_value
      - .address_space:  global
        .offset:         40
        .size:           8
        .value_kind:     global_buffer
      - .offset:         48
        .size:           8
        .value_kind:     by_value
      - .offset:         56
        .size:           8
        .value_kind:     by_value
      - .address_space:  global
        .offset:         64
        .size:           8
        .value_kind:     global_buffer
      - .offset:         72
        .size:           8
        .value_kind:     by_value
      - .offset:         80
        .size:           8
        .value_kind:     by_value
      - .offset:         88
        .size:           16
        .value_kind:     by_value
      - .address_space:  global
        .offset:         104
        .size:           8
        .value_kind:     global_buffer
      - .offset:         112
        .size:           8
        .value_kind:     by_value
      - .offset:         120
        .size:           8
        .value_kind:     by_value
      - .address_space:  global
        .offset:         128
        .size:           8
        .value_kind:     global_buffer
      - .offset:         136
        .size:           8
        .value_kind:     by_value
      - .offset:         144
        .size:           8
        .value_kind:     by_value
      - .offset:         152
        .size:           4
        .value_kind:     by_value
    .group_segment_fixed_size: 8192
    .kernarg_segment_align: 8
    .kernarg_segment_size: 156
    .language:       OpenCL C
    .language_version:
      - 2
      - 0
    .max_flat_workgroup_size: 256
    .name:           _ZN12_GLOBAL__N_135rocblas_gemm_batched_general_kernelI19rocblas_complex_numIdELi16ELi16ELi32ELi32ELi8ELi32ELi8ELi8ELi32ELc84ELc78EKS2_S3_S2_EEvlllT_PT11_llS6_llS4_PT12_llPT13_lli
    .private_segment_fixed_size: 0
    .sgpr_count:     56
    .sgpr_spill_count: 0
    .symbol:         _ZN12_GLOBAL__N_135rocblas_gemm_batched_general_kernelI19rocblas_complex_numIdELi16ELi16ELi32ELi32ELi8ELi32ELi8ELi8ELi32ELc84ELc78EKS2_S3_S2_EEvlllT_PT11_llS6_llS4_PT12_llPT13_lli.kd
    .uniform_work_group_size: 1
    .uses_dynamic_stack: false
    .vgpr_count:     60
    .vgpr_spill_count: 0
    .wavefront_size: 64
  - .agpr_count:     0
    .args:
      - .offset:         0
        .size:           8
        .value_kind:     by_value
      - .offset:         8
        .size:           8
        .value_kind:     by_value
      - .offset:         16
        .size:           8
        .value_kind:     by_value
      - .offset:         24
        .size:           16
        .value_kind:     by_value
      - .address_space:  global
        .offset:         40
        .size:           8
        .value_kind:     global_buffer
      - .offset:         48
        .size:           8
        .value_kind:     by_value
      - .offset:         56
        .size:           8
        .value_kind:     by_value
      - .address_space:  global
        .offset:         64
        .size:           8
        .value_kind:     global_buffer
      - .offset:         72
        .size:           8
        .value_kind:     by_value
      - .offset:         80
        .size:           8
        .value_kind:     by_value
      - .offset:         88
        .size:           16
        .value_kind:     by_value
      - .address_space:  global
        .offset:         104
        .size:           8
        .value_kind:     global_buffer
      - .offset:         112
        .size:           8
        .value_kind:     by_value
      - .offset:         120
        .size:           8
        .value_kind:     by_value
      - .address_space:  global
        .offset:         128
        .size:           8
        .value_kind:     global_buffer
      - .offset:         136
        .size:           8
        .value_kind:     by_value
      - .offset:         144
        .size:           8
        .value_kind:     by_value
      - .offset:         152
        .size:           4
        .value_kind:     by_value
    .group_segment_fixed_size: 8192
    .kernarg_segment_align: 8
    .kernarg_segment_size: 156
    .language:       OpenCL C
    .language_version:
      - 2
      - 0
    .max_flat_workgroup_size: 256
    .name:           _ZN12_GLOBAL__N_135rocblas_gemm_batched_general_kernelI19rocblas_complex_numIdELi16ELi16ELi32ELi32ELi8ELi32ELi8ELi8ELi32ELc78ELc84EKS2_S3_S2_EEvlllT_PT11_llS6_llS4_PT12_llPT13_lli
    .private_segment_fixed_size: 0
    .sgpr_count:     56
    .sgpr_spill_count: 0
    .symbol:         _ZN12_GLOBAL__N_135rocblas_gemm_batched_general_kernelI19rocblas_complex_numIdELi16ELi16ELi32ELi32ELi8ELi32ELi8ELi8ELi32ELc78ELc84EKS2_S3_S2_EEvlllT_PT11_llS6_llS4_PT12_llPT13_lli.kd
    .uniform_work_group_size: 1
    .uses_dynamic_stack: false
    .vgpr_count:     60
    .vgpr_spill_count: 0
    .wavefront_size: 64
  - .agpr_count:     0
    .args:
      - .offset:         0
        .size:           8
        .value_kind:     by_value
      - .offset:         8
        .size:           8
        .value_kind:     by_value
      - .offset:         16
        .size:           8
        .value_kind:     by_value
      - .offset:         24
        .size:           16
        .value_kind:     by_value
      - .address_space:  global
        .offset:         40
        .size:           8
        .value_kind:     global_buffer
      - .offset:         48
        .size:           8
        .value_kind:     by_value
      - .offset:         56
        .size:           8
        .value_kind:     by_value
      - .address_space:  global
        .offset:         64
        .size:           8
        .value_kind:     global_buffer
      - .offset:         72
        .size:           8
        .value_kind:     by_value
      - .offset:         80
        .size:           8
        .value_kind:     by_value
      - .offset:         88
        .size:           16
        .value_kind:     by_value
      - .address_space:  global
        .offset:         104
        .size:           8
        .value_kind:     global_buffer
      - .offset:         112
        .size:           8
        .value_kind:     by_value
      - .offset:         120
        .size:           8
        .value_kind:     by_value
      - .address_space:  global
        .offset:         128
        .size:           8
        .value_kind:     global_buffer
      - .offset:         136
        .size:           8
        .value_kind:     by_value
      - .offset:         144
        .size:           8
        .value_kind:     by_value
      - .offset:         152
        .size:           4
        .value_kind:     by_value
    .group_segment_fixed_size: 8192
    .kernarg_segment_align: 8
    .kernarg_segment_size: 156
    .language:       OpenCL C
    .language_version:
      - 2
      - 0
    .max_flat_workgroup_size: 256
    .name:           _ZN12_GLOBAL__N_135rocblas_gemm_batched_general_kernelI19rocblas_complex_numIdELi16ELi16ELi32ELi32ELi8ELi32ELi8ELi8ELi32ELc84ELc84EKS2_S3_S2_EEvlllT_PT11_llS6_llS4_PT12_llPT13_lli
    .private_segment_fixed_size: 0
    .sgpr_count:     56
    .sgpr_spill_count: 0
    .symbol:         _ZN12_GLOBAL__N_135rocblas_gemm_batched_general_kernelI19rocblas_complex_numIdELi16ELi16ELi32ELi32ELi8ELi32ELi8ELi8ELi32ELc84ELc84EKS2_S3_S2_EEvlllT_PT11_llS6_llS4_PT12_llPT13_lli.kd
    .uniform_work_group_size: 1
    .uses_dynamic_stack: false
    .vgpr_count:     60
    .vgpr_spill_count: 0
    .wavefront_size: 64
  - .agpr_count:     0
    .args:
      - .offset:         0
        .size:           8
        .value_kind:     by_value
      - .offset:         8
        .size:           8
        .value_kind:     by_value
      - .offset:         16
        .size:           8
        .value_kind:     by_value
      - .offset:         24
        .size:           16
        .value_kind:     by_value
      - .address_space:  global
        .offset:         40
        .size:           8
        .value_kind:     global_buffer
      - .offset:         48
        .size:           8
        .value_kind:     by_value
      - .offset:         56
        .size:           8
        .value_kind:     by_value
      - .address_space:  global
        .offset:         64
        .size:           8
        .value_kind:     global_buffer
      - .offset:         72
        .size:           8
        .value_kind:     by_value
      - .offset:         80
        .size:           8
        .value_kind:     by_value
      - .offset:         88
        .size:           16
        .value_kind:     by_value
      - .address_space:  global
        .offset:         104
        .size:           8
        .value_kind:     global_buffer
      - .offset:         112
        .size:           8
        .value_kind:     by_value
      - .offset:         120
        .size:           8
        .value_kind:     by_value
      - .address_space:  global
        .offset:         128
        .size:           8
        .value_kind:     global_buffer
      - .offset:         136
        .size:           8
        .value_kind:     by_value
      - .offset:         144
        .size:           8
        .value_kind:     by_value
      - .offset:         152
        .size:           4
        .value_kind:     by_value
    .group_segment_fixed_size: 8192
    .kernarg_segment_align: 8
    .kernarg_segment_size: 156
    .language:       OpenCL C
    .language_version:
      - 2
      - 0
    .max_flat_workgroup_size: 256
    .name:           _ZN12_GLOBAL__N_135rocblas_gemm_batched_general_kernelI19rocblas_complex_numIdELi16ELi16ELi32ELi32ELi8ELi32ELi8ELi8ELi32ELc67ELc67EKS2_S3_S2_EEvlllT_PT11_llS6_llS4_PT12_llPT13_lli
    .private_segment_fixed_size: 0
    .sgpr_count:     56
    .sgpr_spill_count: 0
    .symbol:         _ZN12_GLOBAL__N_135rocblas_gemm_batched_general_kernelI19rocblas_complex_numIdELi16ELi16ELi32ELi32ELi8ELi32ELi8ELi8ELi32ELc67ELc67EKS2_S3_S2_EEvlllT_PT11_llS6_llS4_PT12_llPT13_lli.kd
    .uniform_work_group_size: 1
    .uses_dynamic_stack: false
    .vgpr_count:     60
    .vgpr_spill_count: 0
    .wavefront_size: 64
  - .agpr_count:     0
    .args:
      - .offset:         0
        .size:           8
        .value_kind:     by_value
      - .offset:         8
        .size:           8
        .value_kind:     by_value
      - .offset:         16
        .size:           8
        .value_kind:     by_value
      - .offset:         24
        .size:           16
        .value_kind:     by_value
      - .address_space:  global
        .offset:         40
        .size:           8
        .value_kind:     global_buffer
      - .offset:         48
        .size:           8
        .value_kind:     by_value
      - .offset:         56
        .size:           8
        .value_kind:     by_value
      - .address_space:  global
        .offset:         64
        .size:           8
        .value_kind:     global_buffer
      - .offset:         72
        .size:           8
        .value_kind:     by_value
      - .offset:         80
        .size:           8
        .value_kind:     by_value
      - .offset:         88
        .size:           16
        .value_kind:     by_value
      - .address_space:  global
        .offset:         104
        .size:           8
        .value_kind:     global_buffer
      - .offset:         112
        .size:           8
        .value_kind:     by_value
      - .offset:         120
        .size:           8
        .value_kind:     by_value
      - .address_space:  global
        .offset:         128
        .size:           8
        .value_kind:     global_buffer
      - .offset:         136
        .size:           8
        .value_kind:     by_value
      - .offset:         144
        .size:           8
        .value_kind:     by_value
      - .offset:         152
        .size:           4
        .value_kind:     by_value
    .group_segment_fixed_size: 8192
    .kernarg_segment_align: 8
    .kernarg_segment_size: 156
    .language:       OpenCL C
    .language_version:
      - 2
      - 0
    .max_flat_workgroup_size: 256
    .name:           _ZN12_GLOBAL__N_135rocblas_gemm_batched_general_kernelI19rocblas_complex_numIdELi16ELi16ELi32ELi32ELi8ELi32ELi8ELi8ELi32ELc67ELc78EKS2_S3_S2_EEvlllT_PT11_llS6_llS4_PT12_llPT13_lli
    .private_segment_fixed_size: 0
    .sgpr_count:     56
    .sgpr_spill_count: 0
    .symbol:         _ZN12_GLOBAL__N_135rocblas_gemm_batched_general_kernelI19rocblas_complex_numIdELi16ELi16ELi32ELi32ELi8ELi32ELi8ELi8ELi32ELc67ELc78EKS2_S3_S2_EEvlllT_PT11_llS6_llS4_PT12_llPT13_lli.kd
    .uniform_work_group_size: 1
    .uses_dynamic_stack: false
    .vgpr_count:     62
    .vgpr_spill_count: 0
    .wavefront_size: 64
  - .agpr_count:     0
    .args:
      - .offset:         0
        .size:           8
        .value_kind:     by_value
      - .offset:         8
        .size:           8
        .value_kind:     by_value
      - .offset:         16
        .size:           8
        .value_kind:     by_value
      - .offset:         24
        .size:           16
        .value_kind:     by_value
      - .address_space:  global
        .offset:         40
        .size:           8
        .value_kind:     global_buffer
      - .offset:         48
        .size:           8
        .value_kind:     by_value
      - .offset:         56
        .size:           8
        .value_kind:     by_value
      - .address_space:  global
        .offset:         64
        .size:           8
        .value_kind:     global_buffer
      - .offset:         72
        .size:           8
        .value_kind:     by_value
      - .offset:         80
        .size:           8
        .value_kind:     by_value
      - .offset:         88
        .size:           16
        .value_kind:     by_value
      - .address_space:  global
        .offset:         104
        .size:           8
        .value_kind:     global_buffer
      - .offset:         112
        .size:           8
        .value_kind:     by_value
      - .offset:         120
        .size:           8
        .value_kind:     by_value
      - .address_space:  global
        .offset:         128
        .size:           8
        .value_kind:     global_buffer
      - .offset:         136
        .size:           8
        .value_kind:     by_value
      - .offset:         144
        .size:           8
        .value_kind:     by_value
      - .offset:         152
        .size:           4
        .value_kind:     by_value
    .group_segment_fixed_size: 8192
    .kernarg_segment_align: 8
    .kernarg_segment_size: 156
    .language:       OpenCL C
    .language_version:
      - 2
      - 0
    .max_flat_workgroup_size: 256
    .name:           _ZN12_GLOBAL__N_135rocblas_gemm_batched_general_kernelI19rocblas_complex_numIdELi16ELi16ELi32ELi32ELi8ELi32ELi8ELi8ELi32ELc67ELc84EKS2_S3_S2_EEvlllT_PT11_llS6_llS4_PT12_llPT13_lli
    .private_segment_fixed_size: 0
    .sgpr_count:     56
    .sgpr_spill_count: 0
    .symbol:         _ZN12_GLOBAL__N_135rocblas_gemm_batched_general_kernelI19rocblas_complex_numIdELi16ELi16ELi32ELi32ELi8ELi32ELi8ELi8ELi32ELc67ELc84EKS2_S3_S2_EEvlllT_PT11_llS6_llS4_PT12_llPT13_lli.kd
    .uniform_work_group_size: 1
    .uses_dynamic_stack: false
    .vgpr_count:     62
    .vgpr_spill_count: 0
    .wavefront_size: 64
  - .agpr_count:     0
    .args:
      - .offset:         0
        .size:           8
        .value_kind:     by_value
      - .offset:         8
        .size:           8
        .value_kind:     by_value
      - .offset:         16
        .size:           8
        .value_kind:     by_value
      - .offset:         24
        .size:           16
        .value_kind:     by_value
      - .address_space:  global
        .offset:         40
        .size:           8
        .value_kind:     global_buffer
      - .offset:         48
        .size:           8
        .value_kind:     by_value
      - .offset:         56
        .size:           8
        .value_kind:     by_value
      - .address_space:  global
        .offset:         64
        .size:           8
        .value_kind:     global_buffer
      - .offset:         72
        .size:           8
        .value_kind:     by_value
      - .offset:         80
        .size:           8
        .value_kind:     by_value
      - .offset:         88
        .size:           16
        .value_kind:     by_value
      - .address_space:  global
        .offset:         104
        .size:           8
        .value_kind:     global_buffer
      - .offset:         112
        .size:           8
        .value_kind:     by_value
      - .offset:         120
        .size:           8
        .value_kind:     by_value
      - .address_space:  global
        .offset:         128
        .size:           8
        .value_kind:     global_buffer
      - .offset:         136
        .size:           8
        .value_kind:     by_value
      - .offset:         144
        .size:           8
        .value_kind:     by_value
      - .offset:         152
        .size:           4
        .value_kind:     by_value
    .group_segment_fixed_size: 8192
    .kernarg_segment_align: 8
    .kernarg_segment_size: 156
    .language:       OpenCL C
    .language_version:
      - 2
      - 0
    .max_flat_workgroup_size: 256
    .name:           _ZN12_GLOBAL__N_135rocblas_gemm_batched_general_kernelI19rocblas_complex_numIdELi16ELi16ELi32ELi32ELi8ELi32ELi8ELi8ELi32ELc78ELc67EKS2_S3_S2_EEvlllT_PT11_llS6_llS4_PT12_llPT13_lli
    .private_segment_fixed_size: 0
    .sgpr_count:     56
    .sgpr_spill_count: 0
    .symbol:         _ZN12_GLOBAL__N_135rocblas_gemm_batched_general_kernelI19rocblas_complex_numIdELi16ELi16ELi32ELi32ELi8ELi32ELi8ELi8ELi32ELc78ELc67EKS2_S3_S2_EEvlllT_PT11_llS6_llS4_PT12_llPT13_lli.kd
    .uniform_work_group_size: 1
    .uses_dynamic_stack: false
    .vgpr_count:     60
    .vgpr_spill_count: 0
    .wavefront_size: 64
  - .agpr_count:     0
    .args:
      - .offset:         0
        .size:           8
        .value_kind:     by_value
      - .offset:         8
        .size:           8
        .value_kind:     by_value
      - .offset:         16
        .size:           8
        .value_kind:     by_value
      - .offset:         24
        .size:           16
        .value_kind:     by_value
      - .address_space:  global
        .offset:         40
        .size:           8
        .value_kind:     global_buffer
      - .offset:         48
        .size:           8
        .value_kind:     by_value
      - .offset:         56
        .size:           8
        .value_kind:     by_value
      - .address_space:  global
        .offset:         64
        .size:           8
        .value_kind:     global_buffer
      - .offset:         72
        .size:           8
        .value_kind:     by_value
      - .offset:         80
        .size:           8
        .value_kind:     by_value
      - .offset:         88
        .size:           16
        .value_kind:     by_value
      - .address_space:  global
        .offset:         104
        .size:           8
        .value_kind:     global_buffer
      - .offset:         112
        .size:           8
        .value_kind:     by_value
      - .offset:         120
        .size:           8
        .value_kind:     by_value
      - .address_space:  global
        .offset:         128
        .size:           8
        .value_kind:     global_buffer
      - .offset:         136
        .size:           8
        .value_kind:     by_value
      - .offset:         144
        .size:           8
        .value_kind:     by_value
      - .offset:         152
        .size:           4
        .value_kind:     by_value
    .group_segment_fixed_size: 8192
    .kernarg_segment_align: 8
    .kernarg_segment_size: 156
    .language:       OpenCL C
    .language_version:
      - 2
      - 0
    .max_flat_workgroup_size: 256
    .name:           _ZN12_GLOBAL__N_135rocblas_gemm_batched_general_kernelI19rocblas_complex_numIdELi16ELi16ELi32ELi32ELi8ELi32ELi8ELi8ELi32ELc84ELc67EKS2_S3_S2_EEvlllT_PT11_llS6_llS4_PT12_llPT13_lli
    .private_segment_fixed_size: 0
    .sgpr_count:     56
    .sgpr_spill_count: 0
    .symbol:         _ZN12_GLOBAL__N_135rocblas_gemm_batched_general_kernelI19rocblas_complex_numIdELi16ELi16ELi32ELi32ELi8ELi32ELi8ELi8ELi32ELc84ELc67EKS2_S3_S2_EEvlllT_PT11_llS6_llS4_PT12_llPT13_lli.kd
    .uniform_work_group_size: 1
    .uses_dynamic_stack: false
    .vgpr_count:     60
    .vgpr_spill_count: 0
    .wavefront_size: 64
  - .agpr_count:     0
    .args:
      - .offset:         0
        .size:           4
        .value_kind:     by_value
      - .offset:         4
        .size:           4
        .value_kind:     by_value
      - .offset:         8
        .size:           2
        .value_kind:     by_value
      - .address_space:  global
        .offset:         16
        .size:           8
        .value_kind:     global_buffer
      - .offset:         24
        .size:           8
        .value_kind:     by_value
      - .offset:         32
        .size:           8
        .value_kind:     by_value
      - .offset:         40
        .size:           8
        .value_kind:     by_value
      - .offset:         48
        .size:           4
        .value_kind:     by_value
    .group_segment_fixed_size: 0
    .kernarg_segment_align: 8
    .kernarg_segment_size: 52
    .language:       OpenCL C
    .language_version:
      - 2
      - 0
    .max_flat_workgroup_size: 1024
    .name:           _ZN12_GLOBAL__N_125rocblas_gemm_scale_kernelILi32ELi32EDF16_PKPDF16_EEviiT1_T2_llli
    .private_segment_fixed_size: 0
    .sgpr_count:     20
    .sgpr_spill_count: 0
    .symbol:         _ZN12_GLOBAL__N_125rocblas_gemm_scale_kernelILi32ELi32EDF16_PKPDF16_EEviiT1_T2_llli.kd
    .uniform_work_group_size: 1
    .uses_dynamic_stack: false
    .vgpr_count:     10
    .vgpr_spill_count: 0
    .wavefront_size: 64
  - .agpr_count:     0
    .args:
      - .offset:         0
        .size:           4
        .value_kind:     by_value
      - .offset:         4
        .size:           4
        .value_kind:     by_value
      - .offset:         8
        .size:           2
        .value_kind:     by_value
      - .address_space:  global
        .offset:         16
        .size:           8
        .value_kind:     global_buffer
      - .offset:         24
        .size:           8
        .value_kind:     by_value
      - .offset:         32
        .size:           8
        .value_kind:     by_value
      - .offset:         40
        .size:           8
        .value_kind:     by_value
      - .address_space:  global
        .offset:         48
        .size:           8
        .value_kind:     global_buffer
      - .offset:         56
        .size:           8
        .value_kind:     by_value
      - .offset:         64
        .size:           8
        .value_kind:     by_value
      - .offset:         72
        .size:           8
        .value_kind:     by_value
      - .offset:         80
        .size:           4
        .value_kind:     by_value
    .group_segment_fixed_size: 0
    .kernarg_segment_align: 8
    .kernarg_segment_size: 84
    .language:       OpenCL C
    .language_version:
      - 2
      - 0
    .max_flat_workgroup_size: 1024
    .name:           _ZN12_GLOBAL__N_120gemm_ex_scale_kernelILi32ELi32EDF16_PKPKDF16_PKPDF16_EEviiT1_T2_lllT3_llli
    .private_segment_fixed_size: 0
    .sgpr_count:     26
    .sgpr_spill_count: 0
    .symbol:         _ZN12_GLOBAL__N_120gemm_ex_scale_kernelILi32ELi32EDF16_PKPKDF16_PKPDF16_EEviiT1_T2_lllT3_llli.kd
    .uniform_work_group_size: 1
    .uses_dynamic_stack: false
    .vgpr_count:     8
    .vgpr_spill_count: 0
    .wavefront_size: 64
  - .agpr_count:     0
    .args:
      - .offset:         0
        .size:           8
        .value_kind:     by_value
      - .offset:         8
        .size:           8
        .value_kind:     by_value
      - .offset:         16
        .size:           8
        .value_kind:     by_value
      - .offset:         24
        .size:           2
        .value_kind:     by_value
      - .address_space:  global
        .offset:         32
        .size:           8
        .value_kind:     global_buffer
      - .offset:         40
        .size:           8
        .value_kind:     by_value
      - .offset:         48
        .size:           8
        .value_kind:     by_value
      - .address_space:  global
        .offset:         56
        .size:           8
        .value_kind:     global_buffer
      - .offset:         64
        .size:           8
        .value_kind:     by_value
      - .offset:         72
        .size:           8
        .value_kind:     by_value
      - .offset:         80
        .size:           2
        .value_kind:     by_value
      - .address_space:  global
        .offset:         88
        .size:           8
        .value_kind:     global_buffer
      - .offset:         96
        .size:           8
        .value_kind:     by_value
      - .offset:         104
        .size:           8
        .value_kind:     by_value
      - .address_space:  global
        .offset:         112
        .size:           8
        .value_kind:     global_buffer
      - .offset:         120
        .size:           8
        .value_kind:     by_value
      - .offset:         128
        .size:           8
        .value_kind:     by_value
      - .offset:         136
        .size:           4
        .value_kind:     by_value
    .group_segment_fixed_size: 1024
    .kernarg_segment_align: 8
    .kernarg_segment_size: 140
    .language:       OpenCL C
    .language_version:
      - 2
      - 0
    .max_flat_workgroup_size: 256
    .name:           _ZN12_GLOBAL__N_127rocblas_gemm_batched_kernelIDF16_Li16ELi16ELi64ELi64ELi4ELi64ELi4ELi4ELi64ELc78ELc78EKPKDF16_S3_KPDF16_EEvlllT_PT11_llS8_llS6_PT12_llPT13_lli
    .private_segment_fixed_size: 0
    .sgpr_count:     40
    .sgpr_spill_count: 0
    .symbol:         _ZN12_GLOBAL__N_127rocblas_gemm_batched_kernelIDF16_Li16ELi16ELi64ELi64ELi4ELi64ELi4ELi4ELi64ELc78ELc78EKPKDF16_S3_KPDF16_EEvlllT_PT11_llS8_llS6_PT12_llPT13_lli.kd
    .uniform_work_group_size: 1
    .uses_dynamic_stack: false
    .vgpr_count:     58
    .vgpr_spill_count: 0
    .wavefront_size: 64
  - .agpr_count:     0
    .args:
      - .offset:         0
        .size:           8
        .value_kind:     by_value
      - .offset:         8
        .size:           8
        .value_kind:     by_value
      - .offset:         16
        .size:           8
        .value_kind:     by_value
      - .offset:         24
        .size:           2
        .value_kind:     by_value
      - .address_space:  global
        .offset:         32
        .size:           8
        .value_kind:     global_buffer
      - .offset:         40
        .size:           8
        .value_kind:     by_value
      - .offset:         48
        .size:           8
        .value_kind:     by_value
      - .address_space:  global
        .offset:         56
        .size:           8
        .value_kind:     global_buffer
      - .offset:         64
        .size:           8
        .value_kind:     by_value
      - .offset:         72
        .size:           8
        .value_kind:     by_value
      - .offset:         80
        .size:           2
        .value_kind:     by_value
      - .address_space:  global
        .offset:         88
        .size:           8
        .value_kind:     global_buffer
      - .offset:         96
        .size:           8
        .value_kind:     by_value
      - .offset:         104
        .size:           8
        .value_kind:     by_value
      - .address_space:  global
        .offset:         112
        .size:           8
        .value_kind:     global_buffer
      - .offset:         120
        .size:           8
        .value_kind:     by_value
      - .offset:         128
        .size:           8
        .value_kind:     by_value
      - .offset:         136
        .size:           4
        .value_kind:     by_value
    .group_segment_fixed_size: 1024
    .kernarg_segment_align: 8
    .kernarg_segment_size: 140
    .language:       OpenCL C
    .language_version:
      - 2
      - 0
    .max_flat_workgroup_size: 256
    .name:           _ZN12_GLOBAL__N_127rocblas_gemm_batched_kernelIDF16_Li16ELi16ELi64ELi64ELi4ELi64ELi4ELi4ELi64ELc84ELc78EKPKDF16_S3_KPDF16_EEvlllT_PT11_llS8_llS6_PT12_llPT13_lli
    .private_segment_fixed_size: 0
    .sgpr_count:     40
    .sgpr_spill_count: 0
    .symbol:         _ZN12_GLOBAL__N_127rocblas_gemm_batched_kernelIDF16_Li16ELi16ELi64ELi64ELi4ELi64ELi4ELi4ELi64ELc84ELc78EKPKDF16_S3_KPDF16_EEvlllT_PT11_llS8_llS6_PT12_llPT13_lli.kd
    .uniform_work_group_size: 1
    .uses_dynamic_stack: false
    .vgpr_count:     57
    .vgpr_spill_count: 0
    .wavefront_size: 64
  - .agpr_count:     0
    .args:
      - .offset:         0
        .size:           8
        .value_kind:     by_value
      - .offset:         8
        .size:           8
        .value_kind:     by_value
      - .offset:         16
        .size:           8
        .value_kind:     by_value
      - .offset:         24
        .size:           2
        .value_kind:     by_value
      - .address_space:  global
        .offset:         32
        .size:           8
        .value_kind:     global_buffer
      - .offset:         40
        .size:           8
        .value_kind:     by_value
      - .offset:         48
        .size:           8
        .value_kind:     by_value
      - .address_space:  global
        .offset:         56
        .size:           8
        .value_kind:     global_buffer
      - .offset:         64
        .size:           8
        .value_kind:     by_value
      - .offset:         72
        .size:           8
        .value_kind:     by_value
      - .offset:         80
        .size:           2
        .value_kind:     by_value
      - .address_space:  global
        .offset:         88
        .size:           8
        .value_kind:     global_buffer
      - .offset:         96
        .size:           8
        .value_kind:     by_value
      - .offset:         104
        .size:           8
        .value_kind:     by_value
      - .address_space:  global
        .offset:         112
        .size:           8
        .value_kind:     global_buffer
      - .offset:         120
        .size:           8
        .value_kind:     by_value
      - .offset:         128
        .size:           8
        .value_kind:     by_value
      - .offset:         136
        .size:           4
        .value_kind:     by_value
    .group_segment_fixed_size: 1024
    .kernarg_segment_align: 8
    .kernarg_segment_size: 140
    .language:       OpenCL C
    .language_version:
      - 2
      - 0
    .max_flat_workgroup_size: 256
    .name:           _ZN12_GLOBAL__N_127rocblas_gemm_batched_kernelIDF16_Li16ELi16ELi64ELi64ELi4ELi64ELi4ELi4ELi64ELc78ELc84EKPKDF16_S3_KPDF16_EEvlllT_PT11_llS8_llS6_PT12_llPT13_lli
    .private_segment_fixed_size: 0
    .sgpr_count:     40
    .sgpr_spill_count: 0
    .symbol:         _ZN12_GLOBAL__N_127rocblas_gemm_batched_kernelIDF16_Li16ELi16ELi64ELi64ELi4ELi64ELi4ELi4ELi64ELc78ELc84EKPKDF16_S3_KPDF16_EEvlllT_PT11_llS8_llS6_PT12_llPT13_lli.kd
    .uniform_work_group_size: 1
    .uses_dynamic_stack: false
    .vgpr_count:     58
    .vgpr_spill_count: 0
    .wavefront_size: 64
  - .agpr_count:     0
    .args:
      - .offset:         0
        .size:           8
        .value_kind:     by_value
      - .offset:         8
        .size:           8
        .value_kind:     by_value
      - .offset:         16
        .size:           8
        .value_kind:     by_value
      - .offset:         24
        .size:           2
        .value_kind:     by_value
      - .address_space:  global
        .offset:         32
        .size:           8
        .value_kind:     global_buffer
      - .offset:         40
        .size:           8
        .value_kind:     by_value
      - .offset:         48
        .size:           8
        .value_kind:     by_value
      - .address_space:  global
        .offset:         56
        .size:           8
        .value_kind:     global_buffer
      - .offset:         64
        .size:           8
        .value_kind:     by_value
      - .offset:         72
        .size:           8
        .value_kind:     by_value
      - .offset:         80
        .size:           2
        .value_kind:     by_value
      - .address_space:  global
        .offset:         88
        .size:           8
        .value_kind:     global_buffer
      - .offset:         96
        .size:           8
        .value_kind:     by_value
      - .offset:         104
        .size:           8
        .value_kind:     by_value
      - .address_space:  global
        .offset:         112
        .size:           8
        .value_kind:     global_buffer
      - .offset:         120
        .size:           8
        .value_kind:     by_value
      - .offset:         128
        .size:           8
        .value_kind:     by_value
      - .offset:         136
        .size:           4
        .value_kind:     by_value
    .group_segment_fixed_size: 1024
    .kernarg_segment_align: 8
    .kernarg_segment_size: 140
    .language:       OpenCL C
    .language_version:
      - 2
      - 0
    .max_flat_workgroup_size: 256
    .name:           _ZN12_GLOBAL__N_127rocblas_gemm_batched_kernelIDF16_Li16ELi16ELi64ELi64ELi4ELi64ELi4ELi4ELi64ELc84ELc84EKPKDF16_S3_KPDF16_EEvlllT_PT11_llS8_llS6_PT12_llPT13_lli
    .private_segment_fixed_size: 0
    .sgpr_count:     40
    .sgpr_spill_count: 0
    .symbol:         _ZN12_GLOBAL__N_127rocblas_gemm_batched_kernelIDF16_Li16ELi16ELi64ELi64ELi4ELi64ELi4ELi4ELi64ELc84ELc84EKPKDF16_S3_KPDF16_EEvlllT_PT11_llS8_llS6_PT12_llPT13_lli.kd
    .uniform_work_group_size: 1
    .uses_dynamic_stack: false
    .vgpr_count:     58
    .vgpr_spill_count: 0
    .wavefront_size: 64
  - .agpr_count:     0
    .args:
      - .offset:         0
        .size:           8
        .value_kind:     by_value
      - .offset:         8
        .size:           8
        .value_kind:     by_value
      - .offset:         16
        .size:           8
        .value_kind:     by_value
      - .offset:         24
        .size:           2
        .value_kind:     by_value
      - .address_space:  global
        .offset:         32
        .size:           8
        .value_kind:     global_buffer
      - .offset:         40
        .size:           8
        .value_kind:     by_value
      - .offset:         48
        .size:           8
        .value_kind:     by_value
      - .address_space:  global
        .offset:         56
        .size:           8
        .value_kind:     global_buffer
      - .offset:         64
        .size:           8
        .value_kind:     by_value
      - .offset:         72
        .size:           8
        .value_kind:     by_value
      - .offset:         80
        .size:           2
        .value_kind:     by_value
      - .address_space:  global
        .offset:         88
        .size:           8
        .value_kind:     global_buffer
      - .offset:         96
        .size:           8
        .value_kind:     by_value
      - .offset:         104
        .size:           8
        .value_kind:     by_value
      - .address_space:  global
        .offset:         112
        .size:           8
        .value_kind:     global_buffer
      - .offset:         120
        .size:           8
        .value_kind:     by_value
      - .offset:         128
        .size:           8
        .value_kind:     by_value
      - .offset:         136
        .size:           4
        .value_kind:     by_value
    .group_segment_fixed_size: 1024
    .kernarg_segment_align: 8
    .kernarg_segment_size: 140
    .language:       OpenCL C
    .language_version:
      - 2
      - 0
    .max_flat_workgroup_size: 256
    .name:           _ZN12_GLOBAL__N_127rocblas_gemm_batched_kernelIDF16_Li16ELi16ELi64ELi64ELi4ELi64ELi4ELi4ELi64ELc67ELc67EKPKDF16_S3_KPDF16_EEvlllT_PT11_llS8_llS6_PT12_llPT13_lli
    .private_segment_fixed_size: 0
    .sgpr_count:     40
    .sgpr_spill_count: 0
    .symbol:         _ZN12_GLOBAL__N_127rocblas_gemm_batched_kernelIDF16_Li16ELi16ELi64ELi64ELi4ELi64ELi4ELi4ELi64ELc67ELc67EKPKDF16_S3_KPDF16_EEvlllT_PT11_llS8_llS6_PT12_llPT13_lli.kd
    .uniform_work_group_size: 1
    .uses_dynamic_stack: false
    .vgpr_count:     58
    .vgpr_spill_count: 0
    .wavefront_size: 64
  - .agpr_count:     0
    .args:
      - .offset:         0
        .size:           8
        .value_kind:     by_value
      - .offset:         8
        .size:           8
        .value_kind:     by_value
      - .offset:         16
        .size:           8
        .value_kind:     by_value
      - .offset:         24
        .size:           2
        .value_kind:     by_value
      - .address_space:  global
        .offset:         32
        .size:           8
        .value_kind:     global_buffer
      - .offset:         40
        .size:           8
        .value_kind:     by_value
      - .offset:         48
        .size:           8
        .value_kind:     by_value
      - .address_space:  global
        .offset:         56
        .size:           8
        .value_kind:     global_buffer
      - .offset:         64
        .size:           8
        .value_kind:     by_value
      - .offset:         72
        .size:           8
        .value_kind:     by_value
      - .offset:         80
        .size:           2
        .value_kind:     by_value
      - .address_space:  global
        .offset:         88
        .size:           8
        .value_kind:     global_buffer
      - .offset:         96
        .size:           8
        .value_kind:     by_value
      - .offset:         104
        .size:           8
        .value_kind:     by_value
      - .address_space:  global
        .offset:         112
        .size:           8
        .value_kind:     global_buffer
      - .offset:         120
        .size:           8
        .value_kind:     by_value
      - .offset:         128
        .size:           8
        .value_kind:     by_value
      - .offset:         136
        .size:           4
        .value_kind:     by_value
    .group_segment_fixed_size: 1024
    .kernarg_segment_align: 8
    .kernarg_segment_size: 140
    .language:       OpenCL C
    .language_version:
      - 2
      - 0
    .max_flat_workgroup_size: 256
    .name:           _ZN12_GLOBAL__N_127rocblas_gemm_batched_kernelIDF16_Li16ELi16ELi64ELi64ELi4ELi64ELi4ELi4ELi64ELc67ELc78EKPKDF16_S3_KPDF16_EEvlllT_PT11_llS8_llS6_PT12_llPT13_lli
    .private_segment_fixed_size: 0
    .sgpr_count:     40
    .sgpr_spill_count: 0
    .symbol:         _ZN12_GLOBAL__N_127rocblas_gemm_batched_kernelIDF16_Li16ELi16ELi64ELi64ELi4ELi64ELi4ELi4ELi64ELc67ELc78EKPKDF16_S3_KPDF16_EEvlllT_PT11_llS8_llS6_PT12_llPT13_lli.kd
    .uniform_work_group_size: 1
    .uses_dynamic_stack: false
    .vgpr_count:     57
    .vgpr_spill_count: 0
    .wavefront_size: 64
  - .agpr_count:     0
    .args:
      - .offset:         0
        .size:           8
        .value_kind:     by_value
      - .offset:         8
        .size:           8
        .value_kind:     by_value
      - .offset:         16
        .size:           8
        .value_kind:     by_value
      - .offset:         24
        .size:           2
        .value_kind:     by_value
      - .address_space:  global
        .offset:         32
        .size:           8
        .value_kind:     global_buffer
      - .offset:         40
        .size:           8
        .value_kind:     by_value
      - .offset:         48
        .size:           8
        .value_kind:     by_value
      - .address_space:  global
        .offset:         56
        .size:           8
        .value_kind:     global_buffer
      - .offset:         64
        .size:           8
        .value_kind:     by_value
      - .offset:         72
        .size:           8
        .value_kind:     by_value
      - .offset:         80
        .size:           2
        .value_kind:     by_value
      - .address_space:  global
        .offset:         88
        .size:           8
        .value_kind:     global_buffer
      - .offset:         96
        .size:           8
        .value_kind:     by_value
      - .offset:         104
        .size:           8
        .value_kind:     by_value
      - .address_space:  global
        .offset:         112
        .size:           8
        .value_kind:     global_buffer
      - .offset:         120
        .size:           8
        .value_kind:     by_value
      - .offset:         128
        .size:           8
        .value_kind:     by_value
      - .offset:         136
        .size:           4
        .value_kind:     by_value
    .group_segment_fixed_size: 1024
    .kernarg_segment_align: 8
    .kernarg_segment_size: 140
    .language:       OpenCL C
    .language_version:
      - 2
      - 0
    .max_flat_workgroup_size: 256
    .name:           _ZN12_GLOBAL__N_127rocblas_gemm_batched_kernelIDF16_Li16ELi16ELi64ELi64ELi4ELi64ELi4ELi4ELi64ELc67ELc84EKPKDF16_S3_KPDF16_EEvlllT_PT11_llS8_llS6_PT12_llPT13_lli
    .private_segment_fixed_size: 0
    .sgpr_count:     40
    .sgpr_spill_count: 0
    .symbol:         _ZN12_GLOBAL__N_127rocblas_gemm_batched_kernelIDF16_Li16ELi16ELi64ELi64ELi4ELi64ELi4ELi4ELi64ELc67ELc84EKPKDF16_S3_KPDF16_EEvlllT_PT11_llS8_llS6_PT12_llPT13_lli.kd
    .uniform_work_group_size: 1
    .uses_dynamic_stack: false
    .vgpr_count:     58
    .vgpr_spill_count: 0
    .wavefront_size: 64
  - .agpr_count:     0
    .args:
      - .offset:         0
        .size:           8
        .value_kind:     by_value
      - .offset:         8
        .size:           8
        .value_kind:     by_value
      - .offset:         16
        .size:           8
        .value_kind:     by_value
      - .offset:         24
        .size:           2
        .value_kind:     by_value
      - .address_space:  global
        .offset:         32
        .size:           8
        .value_kind:     global_buffer
      - .offset:         40
        .size:           8
        .value_kind:     by_value
      - .offset:         48
        .size:           8
        .value_kind:     by_value
      - .address_space:  global
        .offset:         56
        .size:           8
        .value_kind:     global_buffer
      - .offset:         64
        .size:           8
        .value_kind:     by_value
      - .offset:         72
        .size:           8
        .value_kind:     by_value
      - .offset:         80
        .size:           2
        .value_kind:     by_value
      - .address_space:  global
        .offset:         88
        .size:           8
        .value_kind:     global_buffer
      - .offset:         96
        .size:           8
        .value_kind:     by_value
      - .offset:         104
        .size:           8
        .value_kind:     by_value
      - .address_space:  global
        .offset:         112
        .size:           8
        .value_kind:     global_buffer
      - .offset:         120
        .size:           8
        .value_kind:     by_value
      - .offset:         128
        .size:           8
        .value_kind:     by_value
      - .offset:         136
        .size:           4
        .value_kind:     by_value
    .group_segment_fixed_size: 1024
    .kernarg_segment_align: 8
    .kernarg_segment_size: 140
    .language:       OpenCL C
    .language_version:
      - 2
      - 0
    .max_flat_workgroup_size: 256
    .name:           _ZN12_GLOBAL__N_127rocblas_gemm_batched_kernelIDF16_Li16ELi16ELi64ELi64ELi4ELi64ELi4ELi4ELi64ELc78ELc67EKPKDF16_S3_KPDF16_EEvlllT_PT11_llS8_llS6_PT12_llPT13_lli
    .private_segment_fixed_size: 0
    .sgpr_count:     40
    .sgpr_spill_count: 0
    .symbol:         _ZN12_GLOBAL__N_127rocblas_gemm_batched_kernelIDF16_Li16ELi16ELi64ELi64ELi4ELi64ELi4ELi4ELi64ELc78ELc67EKPKDF16_S3_KPDF16_EEvlllT_PT11_llS8_llS6_PT12_llPT13_lli.kd
    .uniform_work_group_size: 1
    .uses_dynamic_stack: false
    .vgpr_count:     58
    .vgpr_spill_count: 0
    .wavefront_size: 64
  - .agpr_count:     0
    .args:
      - .offset:         0
        .size:           8
        .value_kind:     by_value
      - .offset:         8
        .size:           8
        .value_kind:     by_value
      - .offset:         16
        .size:           8
        .value_kind:     by_value
      - .offset:         24
        .size:           2
        .value_kind:     by_value
      - .address_space:  global
        .offset:         32
        .size:           8
        .value_kind:     global_buffer
      - .offset:         40
        .size:           8
        .value_kind:     by_value
      - .offset:         48
        .size:           8
        .value_kind:     by_value
      - .address_space:  global
        .offset:         56
        .size:           8
        .value_kind:     global_buffer
      - .offset:         64
        .size:           8
        .value_kind:     by_value
      - .offset:         72
        .size:           8
        .value_kind:     by_value
      - .offset:         80
        .size:           2
        .value_kind:     by_value
      - .address_space:  global
        .offset:         88
        .size:           8
        .value_kind:     global_buffer
      - .offset:         96
        .size:           8
        .value_kind:     by_value
      - .offset:         104
        .size:           8
        .value_kind:     by_value
      - .address_space:  global
        .offset:         112
        .size:           8
        .value_kind:     global_buffer
      - .offset:         120
        .size:           8
        .value_kind:     by_value
      - .offset:         128
        .size:           8
        .value_kind:     by_value
      - .offset:         136
        .size:           4
        .value_kind:     by_value
    .group_segment_fixed_size: 1024
    .kernarg_segment_align: 8
    .kernarg_segment_size: 140
    .language:       OpenCL C
    .language_version:
      - 2
      - 0
    .max_flat_workgroup_size: 256
    .name:           _ZN12_GLOBAL__N_127rocblas_gemm_batched_kernelIDF16_Li16ELi16ELi64ELi64ELi4ELi64ELi4ELi4ELi64ELc84ELc67EKPKDF16_S3_KPDF16_EEvlllT_PT11_llS8_llS6_PT12_llPT13_lli
    .private_segment_fixed_size: 0
    .sgpr_count:     40
    .sgpr_spill_count: 0
    .symbol:         _ZN12_GLOBAL__N_127rocblas_gemm_batched_kernelIDF16_Li16ELi16ELi64ELi64ELi4ELi64ELi4ELi4ELi64ELc84ELc67EKPKDF16_S3_KPDF16_EEvlllT_PT11_llS8_llS6_PT12_llPT13_lli.kd
    .uniform_work_group_size: 1
    .uses_dynamic_stack: false
    .vgpr_count:     58
    .vgpr_spill_count: 0
    .wavefront_size: 64
  - .agpr_count:     0
    .args:
      - .offset:         0
        .size:           8
        .value_kind:     by_value
      - .offset:         8
        .size:           8
        .value_kind:     by_value
      - .offset:         16
        .size:           8
        .value_kind:     by_value
      - .offset:         24
        .size:           2
        .value_kind:     by_value
      - .address_space:  global
        .offset:         32
        .size:           8
        .value_kind:     global_buffer
      - .offset:         40
        .size:           8
        .value_kind:     by_value
      - .offset:         48
        .size:           8
        .value_kind:     by_value
      - .address_space:  global
        .offset:         56
        .size:           8
        .value_kind:     global_buffer
      - .offset:         64
        .size:           8
        .value_kind:     by_value
      - .offset:         72
        .size:           8
        .value_kind:     by_value
      - .offset:         80
        .size:           2
        .value_kind:     by_value
      - .address_space:  global
        .offset:         88
        .size:           8
        .value_kind:     global_buffer
      - .offset:         96
        .size:           8
        .value_kind:     by_value
      - .offset:         104
        .size:           8
        .value_kind:     by_value
      - .address_space:  global
        .offset:         112
        .size:           8
        .value_kind:     global_buffer
      - .offset:         120
        .size:           8
        .value_kind:     by_value
      - .offset:         128
        .size:           8
        .value_kind:     by_value
      - .offset:         136
        .size:           4
        .value_kind:     by_value
    .group_segment_fixed_size: 1024
    .kernarg_segment_align: 8
    .kernarg_segment_size: 140
    .language:       OpenCL C
    .language_version:
      - 2
      - 0
    .max_flat_workgroup_size: 256
    .name:           _ZN12_GLOBAL__N_127rocblas_gemm_batched_kernelIDF16_Li16ELi16ELi32ELi32ELi8ELi32ELi8ELi8ELi32ELc78ELc78EKPKDF16_S3_KPDF16_EEvlllT_PT11_llS8_llS6_PT12_llPT13_lli
    .private_segment_fixed_size: 0
    .sgpr_count:     40
    .sgpr_spill_count: 0
    .symbol:         _ZN12_GLOBAL__N_127rocblas_gemm_batched_kernelIDF16_Li16ELi16ELi32ELi32ELi8ELi32ELi8ELi8ELi32ELc78ELc78EKPKDF16_S3_KPDF16_EEvlllT_PT11_llS8_llS6_PT12_llPT13_lli.kd
    .uniform_work_group_size: 1
    .uses_dynamic_stack: false
    .vgpr_count:     48
    .vgpr_spill_count: 0
    .wavefront_size: 64
  - .agpr_count:     0
    .args:
      - .offset:         0
        .size:           8
        .value_kind:     by_value
      - .offset:         8
        .size:           8
        .value_kind:     by_value
      - .offset:         16
        .size:           8
        .value_kind:     by_value
      - .offset:         24
        .size:           2
        .value_kind:     by_value
      - .address_space:  global
        .offset:         32
        .size:           8
        .value_kind:     global_buffer
      - .offset:         40
        .size:           8
        .value_kind:     by_value
      - .offset:         48
        .size:           8
        .value_kind:     by_value
      - .address_space:  global
        .offset:         56
        .size:           8
        .value_kind:     global_buffer
      - .offset:         64
        .size:           8
        .value_kind:     by_value
      - .offset:         72
        .size:           8
        .value_kind:     by_value
      - .offset:         80
        .size:           2
        .value_kind:     by_value
      - .address_space:  global
        .offset:         88
        .size:           8
        .value_kind:     global_buffer
      - .offset:         96
        .size:           8
        .value_kind:     by_value
      - .offset:         104
        .size:           8
        .value_kind:     by_value
      - .address_space:  global
        .offset:         112
        .size:           8
        .value_kind:     global_buffer
      - .offset:         120
        .size:           8
        .value_kind:     by_value
      - .offset:         128
        .size:           8
        .value_kind:     by_value
      - .offset:         136
        .size:           4
        .value_kind:     by_value
    .group_segment_fixed_size: 1024
    .kernarg_segment_align: 8
    .kernarg_segment_size: 140
    .language:       OpenCL C
    .language_version:
      - 2
      - 0
    .max_flat_workgroup_size: 256
    .name:           _ZN12_GLOBAL__N_127rocblas_gemm_batched_kernelIDF16_Li16ELi16ELi32ELi32ELi8ELi32ELi8ELi8ELi32ELc84ELc78EKPKDF16_S3_KPDF16_EEvlllT_PT11_llS8_llS6_PT12_llPT13_lli
    .private_segment_fixed_size: 0
    .sgpr_count:     40
    .sgpr_spill_count: 0
    .symbol:         _ZN12_GLOBAL__N_127rocblas_gemm_batched_kernelIDF16_Li16ELi16ELi32ELi32ELi8ELi32ELi8ELi8ELi32ELc84ELc78EKPKDF16_S3_KPDF16_EEvlllT_PT11_llS8_llS6_PT12_llPT13_lli.kd
    .uniform_work_group_size: 1
    .uses_dynamic_stack: false
    .vgpr_count:     47
    .vgpr_spill_count: 0
    .wavefront_size: 64
  - .agpr_count:     0
    .args:
      - .offset:         0
        .size:           8
        .value_kind:     by_value
      - .offset:         8
        .size:           8
        .value_kind:     by_value
      - .offset:         16
        .size:           8
        .value_kind:     by_value
      - .offset:         24
        .size:           2
        .value_kind:     by_value
      - .address_space:  global
        .offset:         32
        .size:           8
        .value_kind:     global_buffer
      - .offset:         40
        .size:           8
        .value_kind:     by_value
      - .offset:         48
        .size:           8
        .value_kind:     by_value
      - .address_space:  global
        .offset:         56
        .size:           8
        .value_kind:     global_buffer
      - .offset:         64
        .size:           8
        .value_kind:     by_value
      - .offset:         72
        .size:           8
        .value_kind:     by_value
      - .offset:         80
        .size:           2
        .value_kind:     by_value
      - .address_space:  global
        .offset:         88
        .size:           8
        .value_kind:     global_buffer
      - .offset:         96
        .size:           8
        .value_kind:     by_value
      - .offset:         104
        .size:           8
        .value_kind:     by_value
      - .address_space:  global
        .offset:         112
        .size:           8
        .value_kind:     global_buffer
      - .offset:         120
        .size:           8
        .value_kind:     by_value
      - .offset:         128
        .size:           8
        .value_kind:     by_value
      - .offset:         136
        .size:           4
        .value_kind:     by_value
    .group_segment_fixed_size: 1024
    .kernarg_segment_align: 8
    .kernarg_segment_size: 140
    .language:       OpenCL C
    .language_version:
      - 2
      - 0
    .max_flat_workgroup_size: 256
    .name:           _ZN12_GLOBAL__N_127rocblas_gemm_batched_kernelIDF16_Li16ELi16ELi32ELi32ELi8ELi32ELi8ELi8ELi32ELc78ELc84EKPKDF16_S3_KPDF16_EEvlllT_PT11_llS8_llS6_PT12_llPT13_lli
    .private_segment_fixed_size: 0
    .sgpr_count:     40
    .sgpr_spill_count: 0
    .symbol:         _ZN12_GLOBAL__N_127rocblas_gemm_batched_kernelIDF16_Li16ELi16ELi32ELi32ELi8ELi32ELi8ELi8ELi32ELc78ELc84EKPKDF16_S3_KPDF16_EEvlllT_PT11_llS8_llS6_PT12_llPT13_lli.kd
    .uniform_work_group_size: 1
    .uses_dynamic_stack: false
    .vgpr_count:     49
    .vgpr_spill_count: 0
    .wavefront_size: 64
  - .agpr_count:     0
    .args:
      - .offset:         0
        .size:           8
        .value_kind:     by_value
      - .offset:         8
        .size:           8
        .value_kind:     by_value
      - .offset:         16
        .size:           8
        .value_kind:     by_value
      - .offset:         24
        .size:           2
        .value_kind:     by_value
      - .address_space:  global
        .offset:         32
        .size:           8
        .value_kind:     global_buffer
      - .offset:         40
        .size:           8
        .value_kind:     by_value
      - .offset:         48
        .size:           8
        .value_kind:     by_value
      - .address_space:  global
        .offset:         56
        .size:           8
        .value_kind:     global_buffer
      - .offset:         64
        .size:           8
        .value_kind:     by_value
      - .offset:         72
        .size:           8
        .value_kind:     by_value
      - .offset:         80
        .size:           2
        .value_kind:     by_value
      - .address_space:  global
        .offset:         88
        .size:           8
        .value_kind:     global_buffer
      - .offset:         96
        .size:           8
        .value_kind:     by_value
      - .offset:         104
        .size:           8
        .value_kind:     by_value
      - .address_space:  global
        .offset:         112
        .size:           8
        .value_kind:     global_buffer
      - .offset:         120
        .size:           8
        .value_kind:     by_value
      - .offset:         128
        .size:           8
        .value_kind:     by_value
      - .offset:         136
        .size:           4
        .value_kind:     by_value
    .group_segment_fixed_size: 1024
    .kernarg_segment_align: 8
    .kernarg_segment_size: 140
    .language:       OpenCL C
    .language_version:
      - 2
      - 0
    .max_flat_workgroup_size: 256
    .name:           _ZN12_GLOBAL__N_127rocblas_gemm_batched_kernelIDF16_Li16ELi16ELi32ELi32ELi8ELi32ELi8ELi8ELi32ELc84ELc84EKPKDF16_S3_KPDF16_EEvlllT_PT11_llS8_llS6_PT12_llPT13_lli
    .private_segment_fixed_size: 0
    .sgpr_count:     40
    .sgpr_spill_count: 0
    .symbol:         _ZN12_GLOBAL__N_127rocblas_gemm_batched_kernelIDF16_Li16ELi16ELi32ELi32ELi8ELi32ELi8ELi8ELi32ELc84ELc84EKPKDF16_S3_KPDF16_EEvlllT_PT11_llS8_llS6_PT12_llPT13_lli.kd
    .uniform_work_group_size: 1
    .uses_dynamic_stack: false
    .vgpr_count:     48
    .vgpr_spill_count: 0
    .wavefront_size: 64
  - .agpr_count:     0
    .args:
      - .offset:         0
        .size:           8
        .value_kind:     by_value
      - .offset:         8
        .size:           8
        .value_kind:     by_value
      - .offset:         16
        .size:           8
        .value_kind:     by_value
      - .offset:         24
        .size:           2
        .value_kind:     by_value
      - .address_space:  global
        .offset:         32
        .size:           8
        .value_kind:     global_buffer
      - .offset:         40
        .size:           8
        .value_kind:     by_value
      - .offset:         48
        .size:           8
        .value_kind:     by_value
      - .address_space:  global
        .offset:         56
        .size:           8
        .value_kind:     global_buffer
      - .offset:         64
        .size:           8
        .value_kind:     by_value
      - .offset:         72
        .size:           8
        .value_kind:     by_value
      - .offset:         80
        .size:           2
        .value_kind:     by_value
      - .address_space:  global
        .offset:         88
        .size:           8
        .value_kind:     global_buffer
      - .offset:         96
        .size:           8
        .value_kind:     by_value
      - .offset:         104
        .size:           8
        .value_kind:     by_value
      - .address_space:  global
        .offset:         112
        .size:           8
        .value_kind:     global_buffer
      - .offset:         120
        .size:           8
        .value_kind:     by_value
      - .offset:         128
        .size:           8
        .value_kind:     by_value
      - .offset:         136
        .size:           4
        .value_kind:     by_value
    .group_segment_fixed_size: 1024
    .kernarg_segment_align: 8
    .kernarg_segment_size: 140
    .language:       OpenCL C
    .language_version:
      - 2
      - 0
    .max_flat_workgroup_size: 256
    .name:           _ZN12_GLOBAL__N_127rocblas_gemm_batched_kernelIDF16_Li16ELi16ELi32ELi32ELi8ELi32ELi8ELi8ELi32ELc67ELc67EKPKDF16_S3_KPDF16_EEvlllT_PT11_llS8_llS6_PT12_llPT13_lli
    .private_segment_fixed_size: 0
    .sgpr_count:     40
    .sgpr_spill_count: 0
    .symbol:         _ZN12_GLOBAL__N_127rocblas_gemm_batched_kernelIDF16_Li16ELi16ELi32ELi32ELi8ELi32ELi8ELi8ELi32ELc67ELc67EKPKDF16_S3_KPDF16_EEvlllT_PT11_llS8_llS6_PT12_llPT13_lli.kd
    .uniform_work_group_size: 1
    .uses_dynamic_stack: false
    .vgpr_count:     48
    .vgpr_spill_count: 0
    .wavefront_size: 64
  - .agpr_count:     0
    .args:
      - .offset:         0
        .size:           8
        .value_kind:     by_value
      - .offset:         8
        .size:           8
        .value_kind:     by_value
      - .offset:         16
        .size:           8
        .value_kind:     by_value
      - .offset:         24
        .size:           2
        .value_kind:     by_value
      - .address_space:  global
        .offset:         32
        .size:           8
        .value_kind:     global_buffer
      - .offset:         40
        .size:           8
        .value_kind:     by_value
      - .offset:         48
        .size:           8
        .value_kind:     by_value
      - .address_space:  global
        .offset:         56
        .size:           8
        .value_kind:     global_buffer
      - .offset:         64
        .size:           8
        .value_kind:     by_value
      - .offset:         72
        .size:           8
        .value_kind:     by_value
      - .offset:         80
        .size:           2
        .value_kind:     by_value
      - .address_space:  global
        .offset:         88
        .size:           8
        .value_kind:     global_buffer
      - .offset:         96
        .size:           8
        .value_kind:     by_value
      - .offset:         104
        .size:           8
        .value_kind:     by_value
      - .address_space:  global
        .offset:         112
        .size:           8
        .value_kind:     global_buffer
      - .offset:         120
        .size:           8
        .value_kind:     by_value
      - .offset:         128
        .size:           8
        .value_kind:     by_value
      - .offset:         136
        .size:           4
        .value_kind:     by_value
    .group_segment_fixed_size: 1024
    .kernarg_segment_align: 8
    .kernarg_segment_size: 140
    .language:       OpenCL C
    .language_version:
      - 2
      - 0
    .max_flat_workgroup_size: 256
    .name:           _ZN12_GLOBAL__N_127rocblas_gemm_batched_kernelIDF16_Li16ELi16ELi32ELi32ELi8ELi32ELi8ELi8ELi32ELc67ELc78EKPKDF16_S3_KPDF16_EEvlllT_PT11_llS8_llS6_PT12_llPT13_lli
    .private_segment_fixed_size: 0
    .sgpr_count:     40
    .sgpr_spill_count: 0
    .symbol:         _ZN12_GLOBAL__N_127rocblas_gemm_batched_kernelIDF16_Li16ELi16ELi32ELi32ELi8ELi32ELi8ELi8ELi32ELc67ELc78EKPKDF16_S3_KPDF16_EEvlllT_PT11_llS8_llS6_PT12_llPT13_lli.kd
    .uniform_work_group_size: 1
    .uses_dynamic_stack: false
    .vgpr_count:     47
    .vgpr_spill_count: 0
    .wavefront_size: 64
  - .agpr_count:     0
    .args:
      - .offset:         0
        .size:           8
        .value_kind:     by_value
      - .offset:         8
        .size:           8
        .value_kind:     by_value
      - .offset:         16
        .size:           8
        .value_kind:     by_value
      - .offset:         24
        .size:           2
        .value_kind:     by_value
      - .address_space:  global
        .offset:         32
        .size:           8
        .value_kind:     global_buffer
      - .offset:         40
        .size:           8
        .value_kind:     by_value
      - .offset:         48
        .size:           8
        .value_kind:     by_value
      - .address_space:  global
        .offset:         56
        .size:           8
        .value_kind:     global_buffer
      - .offset:         64
        .size:           8
        .value_kind:     by_value
      - .offset:         72
        .size:           8
        .value_kind:     by_value
      - .offset:         80
        .size:           2
        .value_kind:     by_value
      - .address_space:  global
        .offset:         88
        .size:           8
        .value_kind:     global_buffer
      - .offset:         96
        .size:           8
        .value_kind:     by_value
      - .offset:         104
        .size:           8
        .value_kind:     by_value
      - .address_space:  global
        .offset:         112
        .size:           8
        .value_kind:     global_buffer
      - .offset:         120
        .size:           8
        .value_kind:     by_value
      - .offset:         128
        .size:           8
        .value_kind:     by_value
      - .offset:         136
        .size:           4
        .value_kind:     by_value
    .group_segment_fixed_size: 1024
    .kernarg_segment_align: 8
    .kernarg_segment_size: 140
    .language:       OpenCL C
    .language_version:
      - 2
      - 0
    .max_flat_workgroup_size: 256
    .name:           _ZN12_GLOBAL__N_127rocblas_gemm_batched_kernelIDF16_Li16ELi16ELi32ELi32ELi8ELi32ELi8ELi8ELi32ELc67ELc84EKPKDF16_S3_KPDF16_EEvlllT_PT11_llS8_llS6_PT12_llPT13_lli
    .private_segment_fixed_size: 0
    .sgpr_count:     40
    .sgpr_spill_count: 0
    .symbol:         _ZN12_GLOBAL__N_127rocblas_gemm_batched_kernelIDF16_Li16ELi16ELi32ELi32ELi8ELi32ELi8ELi8ELi32ELc67ELc84EKPKDF16_S3_KPDF16_EEvlllT_PT11_llS8_llS6_PT12_llPT13_lli.kd
    .uniform_work_group_size: 1
    .uses_dynamic_stack: false
    .vgpr_count:     48
    .vgpr_spill_count: 0
    .wavefront_size: 64
  - .agpr_count:     0
    .args:
      - .offset:         0
        .size:           8
        .value_kind:     by_value
      - .offset:         8
        .size:           8
        .value_kind:     by_value
      - .offset:         16
        .size:           8
        .value_kind:     by_value
      - .offset:         24
        .size:           2
        .value_kind:     by_value
      - .address_space:  global
        .offset:         32
        .size:           8
        .value_kind:     global_buffer
      - .offset:         40
        .size:           8
        .value_kind:     by_value
      - .offset:         48
        .size:           8
        .value_kind:     by_value
      - .address_space:  global
        .offset:         56
        .size:           8
        .value_kind:     global_buffer
      - .offset:         64
        .size:           8
        .value_kind:     by_value
      - .offset:         72
        .size:           8
        .value_kind:     by_value
      - .offset:         80
        .size:           2
        .value_kind:     by_value
      - .address_space:  global
        .offset:         88
        .size:           8
        .value_kind:     global_buffer
      - .offset:         96
        .size:           8
        .value_kind:     by_value
      - .offset:         104
        .size:           8
        .value_kind:     by_value
      - .address_space:  global
        .offset:         112
        .size:           8
        .value_kind:     global_buffer
      - .offset:         120
        .size:           8
        .value_kind:     by_value
      - .offset:         128
        .size:           8
        .value_kind:     by_value
      - .offset:         136
        .size:           4
        .value_kind:     by_value
    .group_segment_fixed_size: 1024
    .kernarg_segment_align: 8
    .kernarg_segment_size: 140
    .language:       OpenCL C
    .language_version:
      - 2
      - 0
    .max_flat_workgroup_size: 256
    .name:           _ZN12_GLOBAL__N_127rocblas_gemm_batched_kernelIDF16_Li16ELi16ELi32ELi32ELi8ELi32ELi8ELi8ELi32ELc78ELc67EKPKDF16_S3_KPDF16_EEvlllT_PT11_llS8_llS6_PT12_llPT13_lli
    .private_segment_fixed_size: 0
    .sgpr_count:     40
    .sgpr_spill_count: 0
    .symbol:         _ZN12_GLOBAL__N_127rocblas_gemm_batched_kernelIDF16_Li16ELi16ELi32ELi32ELi8ELi32ELi8ELi8ELi32ELc78ELc67EKPKDF16_S3_KPDF16_EEvlllT_PT11_llS8_llS6_PT12_llPT13_lli.kd
    .uniform_work_group_size: 1
    .uses_dynamic_stack: false
    .vgpr_count:     49
    .vgpr_spill_count: 0
    .wavefront_size: 64
  - .agpr_count:     0
    .args:
      - .offset:         0
        .size:           8
        .value_kind:     by_value
      - .offset:         8
        .size:           8
        .value_kind:     by_value
      - .offset:         16
        .size:           8
        .value_kind:     by_value
      - .offset:         24
        .size:           2
        .value_kind:     by_value
      - .address_space:  global
        .offset:         32
        .size:           8
        .value_kind:     global_buffer
      - .offset:         40
        .size:           8
        .value_kind:     by_value
      - .offset:         48
        .size:           8
        .value_kind:     by_value
      - .address_space:  global
        .offset:         56
        .size:           8
        .value_kind:     global_buffer
      - .offset:         64
        .size:           8
        .value_kind:     by_value
      - .offset:         72
        .size:           8
        .value_kind:     by_value
      - .offset:         80
        .size:           2
        .value_kind:     by_value
      - .address_space:  global
        .offset:         88
        .size:           8
        .value_kind:     global_buffer
      - .offset:         96
        .size:           8
        .value_kind:     by_value
      - .offset:         104
        .size:           8
        .value_kind:     by_value
      - .address_space:  global
        .offset:         112
        .size:           8
        .value_kind:     global_buffer
      - .offset:         120
        .size:           8
        .value_kind:     by_value
      - .offset:         128
        .size:           8
        .value_kind:     by_value
      - .offset:         136
        .size:           4
        .value_kind:     by_value
    .group_segment_fixed_size: 1024
    .kernarg_segment_align: 8
    .kernarg_segment_size: 140
    .language:       OpenCL C
    .language_version:
      - 2
      - 0
    .max_flat_workgroup_size: 256
    .name:           _ZN12_GLOBAL__N_127rocblas_gemm_batched_kernelIDF16_Li16ELi16ELi32ELi32ELi8ELi32ELi8ELi8ELi32ELc84ELc67EKPKDF16_S3_KPDF16_EEvlllT_PT11_llS8_llS6_PT12_llPT13_lli
    .private_segment_fixed_size: 0
    .sgpr_count:     40
    .sgpr_spill_count: 0
    .symbol:         _ZN12_GLOBAL__N_127rocblas_gemm_batched_kernelIDF16_Li16ELi16ELi32ELi32ELi8ELi32ELi8ELi8ELi32ELc84ELc67EKPKDF16_S3_KPDF16_EEvlllT_PT11_llS8_llS6_PT12_llPT13_lli.kd
    .uniform_work_group_size: 1
    .uses_dynamic_stack: false
    .vgpr_count:     48
    .vgpr_spill_count: 0
    .wavefront_size: 64
  - .agpr_count:     0
    .args:
      - .offset:         0
        .size:           8
        .value_kind:     by_value
      - .offset:         8
        .size:           8
        .value_kind:     by_value
      - .offset:         16
        .size:           8
        .value_kind:     by_value
      - .offset:         24
        .size:           2
        .value_kind:     by_value
      - .address_space:  global
        .offset:         32
        .size:           8
        .value_kind:     global_buffer
      - .offset:         40
        .size:           8
        .value_kind:     by_value
      - .offset:         48
        .size:           8
        .value_kind:     by_value
      - .address_space:  global
        .offset:         56
        .size:           8
        .value_kind:     global_buffer
      - .offset:         64
        .size:           8
        .value_kind:     by_value
      - .offset:         72
        .size:           8
        .value_kind:     by_value
      - .offset:         80
        .size:           2
        .value_kind:     by_value
      - .address_space:  global
        .offset:         88
        .size:           8
        .value_kind:     global_buffer
      - .offset:         96
        .size:           8
        .value_kind:     by_value
      - .offset:         104
        .size:           8
        .value_kind:     by_value
      - .address_space:  global
        .offset:         112
        .size:           8
        .value_kind:     global_buffer
      - .offset:         120
        .size:           8
        .value_kind:     by_value
      - .offset:         128
        .size:           8
        .value_kind:     by_value
      - .offset:         136
        .size:           4
        .value_kind:     by_value
    .group_segment_fixed_size: 1024
    .kernarg_segment_align: 8
    .kernarg_segment_size: 140
    .language:       OpenCL C
    .language_version:
      - 2
      - 0
    .max_flat_workgroup_size: 256
    .name:           _ZN12_GLOBAL__N_135rocblas_gemm_batched_general_kernelIDF16_Li16ELi16ELi32ELi32ELi8ELi32ELi8ELi8ELi32ELc78ELc78EKPKDF16_S3_KPDF16_EEvlllT_PT11_llS8_llS6_PT12_llPT13_lli
    .private_segment_fixed_size: 0
    .sgpr_count:     48
    .sgpr_spill_count: 0
    .symbol:         _ZN12_GLOBAL__N_135rocblas_gemm_batched_general_kernelIDF16_Li16ELi16ELi32ELi32ELi8ELi32ELi8ELi8ELi32ELc78ELc78EKPKDF16_S3_KPDF16_EEvlllT_PT11_llS8_llS6_PT12_llPT13_lli.kd
    .uniform_work_group_size: 1
    .uses_dynamic_stack: false
    .vgpr_count:     41
    .vgpr_spill_count: 0
    .wavefront_size: 64
  - .agpr_count:     0
    .args:
      - .offset:         0
        .size:           8
        .value_kind:     by_value
      - .offset:         8
        .size:           8
        .value_kind:     by_value
      - .offset:         16
        .size:           8
        .value_kind:     by_value
      - .offset:         24
        .size:           2
        .value_kind:     by_value
      - .address_space:  global
        .offset:         32
        .size:           8
        .value_kind:     global_buffer
      - .offset:         40
        .size:           8
        .value_kind:     by_value
      - .offset:         48
        .size:           8
        .value_kind:     by_value
      - .address_space:  global
        .offset:         56
        .size:           8
        .value_kind:     global_buffer
      - .offset:         64
        .size:           8
        .value_kind:     by_value
      - .offset:         72
        .size:           8
        .value_kind:     by_value
      - .offset:         80
        .size:           2
        .value_kind:     by_value
      - .address_space:  global
        .offset:         88
        .size:           8
        .value_kind:     global_buffer
      - .offset:         96
        .size:           8
        .value_kind:     by_value
      - .offset:         104
        .size:           8
        .value_kind:     by_value
      - .address_space:  global
        .offset:         112
        .size:           8
        .value_kind:     global_buffer
      - .offset:         120
        .size:           8
        .value_kind:     by_value
      - .offset:         128
        .size:           8
        .value_kind:     by_value
      - .offset:         136
        .size:           4
        .value_kind:     by_value
    .group_segment_fixed_size: 1024
    .kernarg_segment_align: 8
    .kernarg_segment_size: 140
    .language:       OpenCL C
    .language_version:
      - 2
      - 0
    .max_flat_workgroup_size: 256
    .name:           _ZN12_GLOBAL__N_135rocblas_gemm_batched_general_kernelIDF16_Li16ELi16ELi32ELi32ELi8ELi32ELi8ELi8ELi32ELc84ELc78EKPKDF16_S3_KPDF16_EEvlllT_PT11_llS8_llS6_PT12_llPT13_lli
    .private_segment_fixed_size: 0
    .sgpr_count:     46
    .sgpr_spill_count: 0
    .symbol:         _ZN12_GLOBAL__N_135rocblas_gemm_batched_general_kernelIDF16_Li16ELi16ELi32ELi32ELi8ELi32ELi8ELi8ELi32ELc84ELc78EKPKDF16_S3_KPDF16_EEvlllT_PT11_llS8_llS6_PT12_llPT13_lli.kd
    .uniform_work_group_size: 1
    .uses_dynamic_stack: false
    .vgpr_count:     40
    .vgpr_spill_count: 0
    .wavefront_size: 64
  - .agpr_count:     0
    .args:
      - .offset:         0
        .size:           8
        .value_kind:     by_value
      - .offset:         8
        .size:           8
        .value_kind:     by_value
      - .offset:         16
        .size:           8
        .value_kind:     by_value
      - .offset:         24
        .size:           2
        .value_kind:     by_value
      - .address_space:  global
        .offset:         32
        .size:           8
        .value_kind:     global_buffer
      - .offset:         40
        .size:           8
        .value_kind:     by_value
      - .offset:         48
        .size:           8
        .value_kind:     by_value
      - .address_space:  global
        .offset:         56
        .size:           8
        .value_kind:     global_buffer
      - .offset:         64
        .size:           8
        .value_kind:     by_value
      - .offset:         72
        .size:           8
        .value_kind:     by_value
      - .offset:         80
        .size:           2
        .value_kind:     by_value
      - .address_space:  global
        .offset:         88
        .size:           8
        .value_kind:     global_buffer
      - .offset:         96
        .size:           8
        .value_kind:     by_value
      - .offset:         104
        .size:           8
        .value_kind:     by_value
      - .address_space:  global
        .offset:         112
        .size:           8
        .value_kind:     global_buffer
      - .offset:         120
        .size:           8
        .value_kind:     by_value
      - .offset:         128
        .size:           8
        .value_kind:     by_value
      - .offset:         136
        .size:           4
        .value_kind:     by_value
    .group_segment_fixed_size: 1024
    .kernarg_segment_align: 8
    .kernarg_segment_size: 140
    .language:       OpenCL C
    .language_version:
      - 2
      - 0
    .max_flat_workgroup_size: 256
    .name:           _ZN12_GLOBAL__N_135rocblas_gemm_batched_general_kernelIDF16_Li16ELi16ELi32ELi32ELi8ELi32ELi8ELi8ELi32ELc78ELc84EKPKDF16_S3_KPDF16_EEvlllT_PT11_llS8_llS6_PT12_llPT13_lli
    .private_segment_fixed_size: 0
    .sgpr_count:     52
    .sgpr_spill_count: 0
    .symbol:         _ZN12_GLOBAL__N_135rocblas_gemm_batched_general_kernelIDF16_Li16ELi16ELi32ELi32ELi8ELi32ELi8ELi8ELi32ELc78ELc84EKPKDF16_S3_KPDF16_EEvlllT_PT11_llS8_llS6_PT12_llPT13_lli.kd
    .uniform_work_group_size: 1
    .uses_dynamic_stack: false
    .vgpr_count:     42
    .vgpr_spill_count: 0
    .wavefront_size: 64
  - .agpr_count:     0
    .args:
      - .offset:         0
        .size:           8
        .value_kind:     by_value
      - .offset:         8
        .size:           8
        .value_kind:     by_value
      - .offset:         16
        .size:           8
        .value_kind:     by_value
      - .offset:         24
        .size:           2
        .value_kind:     by_value
      - .address_space:  global
        .offset:         32
        .size:           8
        .value_kind:     global_buffer
      - .offset:         40
        .size:           8
        .value_kind:     by_value
      - .offset:         48
        .size:           8
        .value_kind:     by_value
      - .address_space:  global
        .offset:         56
        .size:           8
        .value_kind:     global_buffer
      - .offset:         64
        .size:           8
        .value_kind:     by_value
      - .offset:         72
        .size:           8
        .value_kind:     by_value
      - .offset:         80
        .size:           2
        .value_kind:     by_value
      - .address_space:  global
        .offset:         88
        .size:           8
        .value_kind:     global_buffer
      - .offset:         96
        .size:           8
        .value_kind:     by_value
      - .offset:         104
        .size:           8
        .value_kind:     by_value
      - .address_space:  global
        .offset:         112
        .size:           8
        .value_kind:     global_buffer
      - .offset:         120
        .size:           8
        .value_kind:     by_value
      - .offset:         128
        .size:           8
        .value_kind:     by_value
      - .offset:         136
        .size:           4
        .value_kind:     by_value
    .group_segment_fixed_size: 1024
    .kernarg_segment_align: 8
    .kernarg_segment_size: 140
    .language:       OpenCL C
    .language_version:
      - 2
      - 0
    .max_flat_workgroup_size: 256
    .name:           _ZN12_GLOBAL__N_135rocblas_gemm_batched_general_kernelIDF16_Li16ELi16ELi32ELi32ELi8ELi32ELi8ELi8ELi32ELc84ELc84EKPKDF16_S3_KPDF16_EEvlllT_PT11_llS8_llS6_PT12_llPT13_lli
    .private_segment_fixed_size: 0
    .sgpr_count:     50
    .sgpr_spill_count: 0
    .symbol:         _ZN12_GLOBAL__N_135rocblas_gemm_batched_general_kernelIDF16_Li16ELi16ELi32ELi32ELi8ELi32ELi8ELi8ELi32ELc84ELc84EKPKDF16_S3_KPDF16_EEvlllT_PT11_llS8_llS6_PT12_llPT13_lli.kd
    .uniform_work_group_size: 1
    .uses_dynamic_stack: false
    .vgpr_count:     41
    .vgpr_spill_count: 0
    .wavefront_size: 64
  - .agpr_count:     0
    .args:
      - .offset:         0
        .size:           8
        .value_kind:     by_value
      - .offset:         8
        .size:           8
        .value_kind:     by_value
      - .offset:         16
        .size:           8
        .value_kind:     by_value
      - .offset:         24
        .size:           2
        .value_kind:     by_value
      - .address_space:  global
        .offset:         32
        .size:           8
        .value_kind:     global_buffer
      - .offset:         40
        .size:           8
        .value_kind:     by_value
      - .offset:         48
        .size:           8
        .value_kind:     by_value
      - .address_space:  global
        .offset:         56
        .size:           8
        .value_kind:     global_buffer
      - .offset:         64
        .size:           8
        .value_kind:     by_value
      - .offset:         72
        .size:           8
        .value_kind:     by_value
      - .offset:         80
        .size:           2
        .value_kind:     by_value
      - .address_space:  global
        .offset:         88
        .size:           8
        .value_kind:     global_buffer
      - .offset:         96
        .size:           8
        .value_kind:     by_value
      - .offset:         104
        .size:           8
        .value_kind:     by_value
      - .address_space:  global
        .offset:         112
        .size:           8
        .value_kind:     global_buffer
      - .offset:         120
        .size:           8
        .value_kind:     by_value
      - .offset:         128
        .size:           8
        .value_kind:     by_value
      - .offset:         136
        .size:           4
        .value_kind:     by_value
    .group_segment_fixed_size: 1024
    .kernarg_segment_align: 8
    .kernarg_segment_size: 140
    .language:       OpenCL C
    .language_version:
      - 2
      - 0
    .max_flat_workgroup_size: 256
    .name:           _ZN12_GLOBAL__N_135rocblas_gemm_batched_general_kernelIDF16_Li16ELi16ELi32ELi32ELi8ELi32ELi8ELi8ELi32ELc67ELc67EKPKDF16_S3_KPDF16_EEvlllT_PT11_llS8_llS6_PT12_llPT13_lli
    .private_segment_fixed_size: 0
    .sgpr_count:     50
    .sgpr_spill_count: 0
    .symbol:         _ZN12_GLOBAL__N_135rocblas_gemm_batched_general_kernelIDF16_Li16ELi16ELi32ELi32ELi8ELi32ELi8ELi8ELi32ELc67ELc67EKPKDF16_S3_KPDF16_EEvlllT_PT11_llS8_llS6_PT12_llPT13_lli.kd
    .uniform_work_group_size: 1
    .uses_dynamic_stack: false
    .vgpr_count:     41
    .vgpr_spill_count: 0
    .wavefront_size: 64
  - .agpr_count:     0
    .args:
      - .offset:         0
        .size:           8
        .value_kind:     by_value
      - .offset:         8
        .size:           8
        .value_kind:     by_value
      - .offset:         16
        .size:           8
        .value_kind:     by_value
      - .offset:         24
        .size:           2
        .value_kind:     by_value
      - .address_space:  global
        .offset:         32
        .size:           8
        .value_kind:     global_buffer
      - .offset:         40
        .size:           8
        .value_kind:     by_value
      - .offset:         48
        .size:           8
        .value_kind:     by_value
      - .address_space:  global
        .offset:         56
        .size:           8
        .value_kind:     global_buffer
      - .offset:         64
        .size:           8
        .value_kind:     by_value
      - .offset:         72
        .size:           8
        .value_kind:     by_value
      - .offset:         80
        .size:           2
        .value_kind:     by_value
      - .address_space:  global
        .offset:         88
        .size:           8
        .value_kind:     global_buffer
      - .offset:         96
        .size:           8
        .value_kind:     by_value
      - .offset:         104
        .size:           8
        .value_kind:     by_value
      - .address_space:  global
        .offset:         112
        .size:           8
        .value_kind:     global_buffer
      - .offset:         120
        .size:           8
        .value_kind:     by_value
      - .offset:         128
        .size:           8
        .value_kind:     by_value
      - .offset:         136
        .size:           4
        .value_kind:     by_value
    .group_segment_fixed_size: 1024
    .kernarg_segment_align: 8
    .kernarg_segment_size: 140
    .language:       OpenCL C
    .language_version:
      - 2
      - 0
    .max_flat_workgroup_size: 256
    .name:           _ZN12_GLOBAL__N_135rocblas_gemm_batched_general_kernelIDF16_Li16ELi16ELi32ELi32ELi8ELi32ELi8ELi8ELi32ELc67ELc78EKPKDF16_S3_KPDF16_EEvlllT_PT11_llS8_llS6_PT12_llPT13_lli
    .private_segment_fixed_size: 0
    .sgpr_count:     46
    .sgpr_spill_count: 0
    .symbol:         _ZN12_GLOBAL__N_135rocblas_gemm_batched_general_kernelIDF16_Li16ELi16ELi32ELi32ELi8ELi32ELi8ELi8ELi32ELc67ELc78EKPKDF16_S3_KPDF16_EEvlllT_PT11_llS8_llS6_PT12_llPT13_lli.kd
    .uniform_work_group_size: 1
    .uses_dynamic_stack: false
    .vgpr_count:     40
    .vgpr_spill_count: 0
    .wavefront_size: 64
  - .agpr_count:     0
    .args:
      - .offset:         0
        .size:           8
        .value_kind:     by_value
      - .offset:         8
        .size:           8
        .value_kind:     by_value
      - .offset:         16
        .size:           8
        .value_kind:     by_value
      - .offset:         24
        .size:           2
        .value_kind:     by_value
      - .address_space:  global
        .offset:         32
        .size:           8
        .value_kind:     global_buffer
      - .offset:         40
        .size:           8
        .value_kind:     by_value
      - .offset:         48
        .size:           8
        .value_kind:     by_value
      - .address_space:  global
        .offset:         56
        .size:           8
        .value_kind:     global_buffer
      - .offset:         64
        .size:           8
        .value_kind:     by_value
      - .offset:         72
        .size:           8
        .value_kind:     by_value
      - .offset:         80
        .size:           2
        .value_kind:     by_value
      - .address_space:  global
        .offset:         88
        .size:           8
        .value_kind:     global_buffer
      - .offset:         96
        .size:           8
        .value_kind:     by_value
      - .offset:         104
        .size:           8
        .value_kind:     by_value
      - .address_space:  global
        .offset:         112
        .size:           8
        .value_kind:     global_buffer
      - .offset:         120
        .size:           8
        .value_kind:     by_value
      - .offset:         128
        .size:           8
        .value_kind:     by_value
      - .offset:         136
        .size:           4
        .value_kind:     by_value
    .group_segment_fixed_size: 1024
    .kernarg_segment_align: 8
    .kernarg_segment_size: 140
    .language:       OpenCL C
    .language_version:
      - 2
      - 0
    .max_flat_workgroup_size: 256
    .name:           _ZN12_GLOBAL__N_135rocblas_gemm_batched_general_kernelIDF16_Li16ELi16ELi32ELi32ELi8ELi32ELi8ELi8ELi32ELc67ELc84EKPKDF16_S3_KPDF16_EEvlllT_PT11_llS8_llS6_PT12_llPT13_lli
    .private_segment_fixed_size: 0
    .sgpr_count:     50
    .sgpr_spill_count: 0
    .symbol:         _ZN12_GLOBAL__N_135rocblas_gemm_batched_general_kernelIDF16_Li16ELi16ELi32ELi32ELi8ELi32ELi8ELi8ELi32ELc67ELc84EKPKDF16_S3_KPDF16_EEvlllT_PT11_llS8_llS6_PT12_llPT13_lli.kd
    .uniform_work_group_size: 1
    .uses_dynamic_stack: false
    .vgpr_count:     41
    .vgpr_spill_count: 0
    .wavefront_size: 64
  - .agpr_count:     0
    .args:
      - .offset:         0
        .size:           8
        .value_kind:     by_value
      - .offset:         8
        .size:           8
        .value_kind:     by_value
      - .offset:         16
        .size:           8
        .value_kind:     by_value
      - .offset:         24
        .size:           2
        .value_kind:     by_value
      - .address_space:  global
        .offset:         32
        .size:           8
        .value_kind:     global_buffer
      - .offset:         40
        .size:           8
        .value_kind:     by_value
      - .offset:         48
        .size:           8
        .value_kind:     by_value
      - .address_space:  global
        .offset:         56
        .size:           8
        .value_kind:     global_buffer
      - .offset:         64
        .size:           8
        .value_kind:     by_value
      - .offset:         72
        .size:           8
        .value_kind:     by_value
      - .offset:         80
        .size:           2
        .value_kind:     by_value
      - .address_space:  global
        .offset:         88
        .size:           8
        .value_kind:     global_buffer
      - .offset:         96
        .size:           8
        .value_kind:     by_value
      - .offset:         104
        .size:           8
        .value_kind:     by_value
      - .address_space:  global
        .offset:         112
        .size:           8
        .value_kind:     global_buffer
      - .offset:         120
        .size:           8
        .value_kind:     by_value
      - .offset:         128
        .size:           8
        .value_kind:     by_value
      - .offset:         136
        .size:           4
        .value_kind:     by_value
    .group_segment_fixed_size: 1024
    .kernarg_segment_align: 8
    .kernarg_segment_size: 140
    .language:       OpenCL C
    .language_version:
      - 2
      - 0
    .max_flat_workgroup_size: 256
    .name:           _ZN12_GLOBAL__N_135rocblas_gemm_batched_general_kernelIDF16_Li16ELi16ELi32ELi32ELi8ELi32ELi8ELi8ELi32ELc78ELc67EKPKDF16_S3_KPDF16_EEvlllT_PT11_llS8_llS6_PT12_llPT13_lli
    .private_segment_fixed_size: 0
    .sgpr_count:     52
    .sgpr_spill_count: 0
    .symbol:         _ZN12_GLOBAL__N_135rocblas_gemm_batched_general_kernelIDF16_Li16ELi16ELi32ELi32ELi8ELi32ELi8ELi8ELi32ELc78ELc67EKPKDF16_S3_KPDF16_EEvlllT_PT11_llS8_llS6_PT12_llPT13_lli.kd
    .uniform_work_group_size: 1
    .uses_dynamic_stack: false
    .vgpr_count:     42
    .vgpr_spill_count: 0
    .wavefront_size: 64
  - .agpr_count:     0
    .args:
      - .offset:         0
        .size:           8
        .value_kind:     by_value
      - .offset:         8
        .size:           8
        .value_kind:     by_value
      - .offset:         16
        .size:           8
        .value_kind:     by_value
      - .offset:         24
        .size:           2
        .value_kind:     by_value
      - .address_space:  global
        .offset:         32
        .size:           8
        .value_kind:     global_buffer
      - .offset:         40
        .size:           8
        .value_kind:     by_value
      - .offset:         48
        .size:           8
        .value_kind:     by_value
      - .address_space:  global
        .offset:         56
        .size:           8
        .value_kind:     global_buffer
      - .offset:         64
        .size:           8
        .value_kind:     by_value
      - .offset:         72
        .size:           8
        .value_kind:     by_value
      - .offset:         80
        .size:           2
        .value_kind:     by_value
      - .address_space:  global
        .offset:         88
        .size:           8
        .value_kind:     global_buffer
      - .offset:         96
        .size:           8
        .value_kind:     by_value
      - .offset:         104
        .size:           8
        .value_kind:     by_value
      - .address_space:  global
        .offset:         112
        .size:           8
        .value_kind:     global_buffer
      - .offset:         120
        .size:           8
        .value_kind:     by_value
      - .offset:         128
        .size:           8
        .value_kind:     by_value
      - .offset:         136
        .size:           4
        .value_kind:     by_value
    .group_segment_fixed_size: 1024
    .kernarg_segment_align: 8
    .kernarg_segment_size: 140
    .language:       OpenCL C
    .language_version:
      - 2
      - 0
    .max_flat_workgroup_size: 256
    .name:           _ZN12_GLOBAL__N_135rocblas_gemm_batched_general_kernelIDF16_Li16ELi16ELi32ELi32ELi8ELi32ELi8ELi8ELi32ELc84ELc67EKPKDF16_S3_KPDF16_EEvlllT_PT11_llS8_llS6_PT12_llPT13_lli
    .private_segment_fixed_size: 0
    .sgpr_count:     50
    .sgpr_spill_count: 0
    .symbol:         _ZN12_GLOBAL__N_135rocblas_gemm_batched_general_kernelIDF16_Li16ELi16ELi32ELi32ELi8ELi32ELi8ELi8ELi32ELc84ELc67EKPKDF16_S3_KPDF16_EEvlllT_PT11_llS8_llS6_PT12_llPT13_lli.kd
    .uniform_work_group_size: 1
    .uses_dynamic_stack: false
    .vgpr_count:     41
    .vgpr_spill_count: 0
    .wavefront_size: 64
  - .agpr_count:     0
    .args:
      - .offset:         0
        .size:           4
        .value_kind:     by_value
      - .offset:         4
        .size:           4
        .value_kind:     by_value
      - .offset:         8
        .size:           4
        .value_kind:     by_value
      - .address_space:  global
        .offset:         16
        .size:           8
        .value_kind:     global_buffer
      - .offset:         24
        .size:           8
        .value_kind:     by_value
      - .offset:         32
        .size:           8
        .value_kind:     by_value
      - .offset:         40
        .size:           8
        .value_kind:     by_value
      - .offset:         48
        .size:           4
        .value_kind:     by_value
    .group_segment_fixed_size: 0
    .kernarg_segment_align: 8
    .kernarg_segment_size: 52
    .language:       OpenCL C
    .language_version:
      - 2
      - 0
    .max_flat_workgroup_size: 1024
    .name:           _ZN12_GLOBAL__N_125rocblas_gemm_scale_kernelILi32ELi32EfPKPfEEviiT1_T2_llli
    .private_segment_fixed_size: 0
    .sgpr_count:     20
    .sgpr_spill_count: 0
    .symbol:         _ZN12_GLOBAL__N_125rocblas_gemm_scale_kernelILi32ELi32EfPKPfEEviiT1_T2_llli.kd
    .uniform_work_group_size: 1
    .uses_dynamic_stack: false
    .vgpr_count:     10
    .vgpr_spill_count: 0
    .wavefront_size: 64
  - .agpr_count:     0
    .args:
      - .offset:         0
        .size:           4
        .value_kind:     by_value
      - .offset:         4
        .size:           4
        .value_kind:     by_value
      - .offset:         8
        .size:           4
        .value_kind:     by_value
      - .address_space:  global
        .offset:         16
        .size:           8
        .value_kind:     global_buffer
      - .offset:         24
        .size:           8
        .value_kind:     by_value
      - .offset:         32
        .size:           8
        .value_kind:     by_value
      - .offset:         40
        .size:           8
        .value_kind:     by_value
      - .address_space:  global
        .offset:         48
        .size:           8
        .value_kind:     global_buffer
      - .offset:         56
        .size:           8
        .value_kind:     by_value
      - .offset:         64
        .size:           8
        .value_kind:     by_value
      - .offset:         72
        .size:           8
        .value_kind:     by_value
      - .offset:         80
        .size:           4
        .value_kind:     by_value
    .group_segment_fixed_size: 0
    .kernarg_segment_align: 8
    .kernarg_segment_size: 84
    .language:       OpenCL C
    .language_version:
      - 2
      - 0
    .max_flat_workgroup_size: 1024
    .name:           _ZN12_GLOBAL__N_120gemm_ex_scale_kernelILi32ELi32EfPKPKfPKPfEEviiT1_T2_lllT3_llli
    .private_segment_fixed_size: 0
    .sgpr_count:     26
    .sgpr_spill_count: 0
    .symbol:         _ZN12_GLOBAL__N_120gemm_ex_scale_kernelILi32ELi32EfPKPKfPKPfEEviiT1_T2_lllT3_llli.kd
    .uniform_work_group_size: 1
    .uses_dynamic_stack: false
    .vgpr_count:     8
    .vgpr_spill_count: 0
    .wavefront_size: 64
  - .agpr_count:     0
    .args:
      - .offset:         0
        .size:           8
        .value_kind:     by_value
      - .offset:         8
        .size:           8
        .value_kind:     by_value
      - .offset:         16
        .size:           8
        .value_kind:     by_value
      - .offset:         24
        .size:           4
        .value_kind:     by_value
      - .address_space:  global
        .offset:         32
        .size:           8
        .value_kind:     global_buffer
      - .offset:         40
        .size:           8
        .value_kind:     by_value
      - .offset:         48
        .size:           8
        .value_kind:     by_value
      - .address_space:  global
        .offset:         56
        .size:           8
        .value_kind:     global_buffer
      - .offset:         64
        .size:           8
        .value_kind:     by_value
      - .offset:         72
        .size:           8
        .value_kind:     by_value
      - .offset:         80
        .size:           4
        .value_kind:     by_value
      - .address_space:  global
        .offset:         88
        .size:           8
        .value_kind:     global_buffer
      - .offset:         96
        .size:           8
        .value_kind:     by_value
      - .offset:         104
        .size:           8
        .value_kind:     by_value
      - .address_space:  global
        .offset:         112
        .size:           8
        .value_kind:     global_buffer
      - .offset:         120
        .size:           8
        .value_kind:     by_value
      - .offset:         128
        .size:           8
        .value_kind:     by_value
      - .offset:         136
        .size:           4
        .value_kind:     by_value
    .group_segment_fixed_size: 2048
    .kernarg_segment_align: 8
    .kernarg_segment_size: 140
    .language:       OpenCL C
    .language_version:
      - 2
      - 0
    .max_flat_workgroup_size: 256
    .name:           _ZN12_GLOBAL__N_127rocblas_gemm_batched_kernelIfLi16ELi16ELi64ELi64ELi4ELi64ELi4ELi4ELi64ELc78ELc78EKPKfS3_KPfEEvlllT_PT11_llS8_llS6_PT12_llPT13_lli
    .private_segment_fixed_size: 0
    .sgpr_count:     40
    .sgpr_spill_count: 0
    .symbol:         _ZN12_GLOBAL__N_127rocblas_gemm_batched_kernelIfLi16ELi16ELi64ELi64ELi4ELi64ELi4ELi4ELi64ELc78ELc78EKPKfS3_KPfEEvlllT_PT11_llS8_llS6_PT12_llPT13_lli.kd
    .uniform_work_group_size: 1
    .uses_dynamic_stack: false
    .vgpr_count:     78
    .vgpr_spill_count: 0
    .wavefront_size: 64
  - .agpr_count:     0
    .args:
      - .offset:         0
        .size:           8
        .value_kind:     by_value
      - .offset:         8
        .size:           8
        .value_kind:     by_value
      - .offset:         16
        .size:           8
        .value_kind:     by_value
      - .offset:         24
        .size:           4
        .value_kind:     by_value
      - .address_space:  global
        .offset:         32
        .size:           8
        .value_kind:     global_buffer
      - .offset:         40
        .size:           8
        .value_kind:     by_value
      - .offset:         48
        .size:           8
        .value_kind:     by_value
      - .address_space:  global
        .offset:         56
        .size:           8
        .value_kind:     global_buffer
      - .offset:         64
        .size:           8
        .value_kind:     by_value
      - .offset:         72
        .size:           8
        .value_kind:     by_value
      - .offset:         80
        .size:           4
        .value_kind:     by_value
      - .address_space:  global
        .offset:         88
        .size:           8
        .value_kind:     global_buffer
      - .offset:         96
        .size:           8
        .value_kind:     by_value
      - .offset:         104
        .size:           8
        .value_kind:     by_value
      - .address_space:  global
        .offset:         112
        .size:           8
        .value_kind:     global_buffer
      - .offset:         120
        .size:           8
        .value_kind:     by_value
      - .offset:         128
        .size:           8
        .value_kind:     by_value
      - .offset:         136
        .size:           4
        .value_kind:     by_value
    .group_segment_fixed_size: 2048
    .kernarg_segment_align: 8
    .kernarg_segment_size: 140
    .language:       OpenCL C
    .language_version:
      - 2
      - 0
    .max_flat_workgroup_size: 256
    .name:           _ZN12_GLOBAL__N_127rocblas_gemm_batched_kernelIfLi16ELi16ELi64ELi64ELi4ELi64ELi4ELi4ELi64ELc84ELc78EKPKfS3_KPfEEvlllT_PT11_llS8_llS6_PT12_llPT13_lli
    .private_segment_fixed_size: 0
    .sgpr_count:     40
    .sgpr_spill_count: 0
    .symbol:         _ZN12_GLOBAL__N_127rocblas_gemm_batched_kernelIfLi16ELi16ELi64ELi64ELi4ELi64ELi4ELi4ELi64ELc84ELc78EKPKfS3_KPfEEvlllT_PT11_llS8_llS6_PT12_llPT13_lli.kd
    .uniform_work_group_size: 1
    .uses_dynamic_stack: false
    .vgpr_count:     72
    .vgpr_spill_count: 0
    .wavefront_size: 64
  - .agpr_count:     0
    .args:
      - .offset:         0
        .size:           8
        .value_kind:     by_value
      - .offset:         8
        .size:           8
        .value_kind:     by_value
      - .offset:         16
        .size:           8
        .value_kind:     by_value
      - .offset:         24
        .size:           4
        .value_kind:     by_value
      - .address_space:  global
        .offset:         32
        .size:           8
        .value_kind:     global_buffer
      - .offset:         40
        .size:           8
        .value_kind:     by_value
      - .offset:         48
        .size:           8
        .value_kind:     by_value
      - .address_space:  global
        .offset:         56
        .size:           8
        .value_kind:     global_buffer
      - .offset:         64
        .size:           8
        .value_kind:     by_value
      - .offset:         72
        .size:           8
        .value_kind:     by_value
      - .offset:         80
        .size:           4
        .value_kind:     by_value
      - .address_space:  global
        .offset:         88
        .size:           8
        .value_kind:     global_buffer
      - .offset:         96
        .size:           8
        .value_kind:     by_value
      - .offset:         104
        .size:           8
        .value_kind:     by_value
      - .address_space:  global
        .offset:         112
        .size:           8
        .value_kind:     global_buffer
      - .offset:         120
        .size:           8
        .value_kind:     by_value
      - .offset:         128
        .size:           8
        .value_kind:     by_value
      - .offset:         136
        .size:           4
        .value_kind:     by_value
    .group_segment_fixed_size: 2048
    .kernarg_segment_align: 8
    .kernarg_segment_size: 140
    .language:       OpenCL C
    .language_version:
      - 2
      - 0
    .max_flat_workgroup_size: 256
    .name:           _ZN12_GLOBAL__N_127rocblas_gemm_batched_kernelIfLi16ELi16ELi64ELi64ELi4ELi64ELi4ELi4ELi64ELc78ELc84EKPKfS3_KPfEEvlllT_PT11_llS8_llS6_PT12_llPT13_lli
    .private_segment_fixed_size: 0
    .sgpr_count:     40
    .sgpr_spill_count: 0
    .symbol:         _ZN12_GLOBAL__N_127rocblas_gemm_batched_kernelIfLi16ELi16ELi64ELi64ELi4ELi64ELi4ELi4ELi64ELc78ELc84EKPKfS3_KPfEEvlllT_PT11_llS8_llS6_PT12_llPT13_lli.kd
    .uniform_work_group_size: 1
    .uses_dynamic_stack: false
    .vgpr_count:     78
    .vgpr_spill_count: 0
    .wavefront_size: 64
  - .agpr_count:     0
    .args:
      - .offset:         0
        .size:           8
        .value_kind:     by_value
      - .offset:         8
        .size:           8
        .value_kind:     by_value
      - .offset:         16
        .size:           8
        .value_kind:     by_value
      - .offset:         24
        .size:           4
        .value_kind:     by_value
      - .address_space:  global
        .offset:         32
        .size:           8
        .value_kind:     global_buffer
      - .offset:         40
        .size:           8
        .value_kind:     by_value
      - .offset:         48
        .size:           8
        .value_kind:     by_value
      - .address_space:  global
        .offset:         56
        .size:           8
        .value_kind:     global_buffer
      - .offset:         64
        .size:           8
        .value_kind:     by_value
      - .offset:         72
        .size:           8
        .value_kind:     by_value
      - .offset:         80
        .size:           4
        .value_kind:     by_value
      - .address_space:  global
        .offset:         88
        .size:           8
        .value_kind:     global_buffer
      - .offset:         96
        .size:           8
        .value_kind:     by_value
      - .offset:         104
        .size:           8
        .value_kind:     by_value
      - .address_space:  global
        .offset:         112
        .size:           8
        .value_kind:     global_buffer
      - .offset:         120
        .size:           8
        .value_kind:     by_value
      - .offset:         128
        .size:           8
        .value_kind:     by_value
      - .offset:         136
        .size:           4
        .value_kind:     by_value
    .group_segment_fixed_size: 2048
    .kernarg_segment_align: 8
    .kernarg_segment_size: 140
    .language:       OpenCL C
    .language_version:
      - 2
      - 0
    .max_flat_workgroup_size: 256
    .name:           _ZN12_GLOBAL__N_127rocblas_gemm_batched_kernelIfLi16ELi16ELi64ELi64ELi4ELi64ELi4ELi4ELi64ELc84ELc84EKPKfS3_KPfEEvlllT_PT11_llS8_llS6_PT12_llPT13_lli
    .private_segment_fixed_size: 0
    .sgpr_count:     40
    .sgpr_spill_count: 0
    .symbol:         _ZN12_GLOBAL__N_127rocblas_gemm_batched_kernelIfLi16ELi16ELi64ELi64ELi4ELi64ELi4ELi4ELi64ELc84ELc84EKPKfS3_KPfEEvlllT_PT11_llS8_llS6_PT12_llPT13_lli.kd
    .uniform_work_group_size: 1
    .uses_dynamic_stack: false
    .vgpr_count:     78
    .vgpr_spill_count: 0
    .wavefront_size: 64
  - .agpr_count:     0
    .args:
      - .offset:         0
        .size:           8
        .value_kind:     by_value
      - .offset:         8
        .size:           8
        .value_kind:     by_value
      - .offset:         16
        .size:           8
        .value_kind:     by_value
      - .offset:         24
        .size:           4
        .value_kind:     by_value
      - .address_space:  global
        .offset:         32
        .size:           8
        .value_kind:     global_buffer
      - .offset:         40
        .size:           8
        .value_kind:     by_value
      - .offset:         48
        .size:           8
        .value_kind:     by_value
      - .address_space:  global
        .offset:         56
        .size:           8
        .value_kind:     global_buffer
      - .offset:         64
        .size:           8
        .value_kind:     by_value
      - .offset:         72
        .size:           8
        .value_kind:     by_value
      - .offset:         80
        .size:           4
        .value_kind:     by_value
      - .address_space:  global
        .offset:         88
        .size:           8
        .value_kind:     global_buffer
      - .offset:         96
        .size:           8
        .value_kind:     by_value
      - .offset:         104
        .size:           8
        .value_kind:     by_value
      - .address_space:  global
        .offset:         112
        .size:           8
        .value_kind:     global_buffer
      - .offset:         120
        .size:           8
        .value_kind:     by_value
      - .offset:         128
        .size:           8
        .value_kind:     by_value
      - .offset:         136
        .size:           4
        .value_kind:     by_value
    .group_segment_fixed_size: 2048
    .kernarg_segment_align: 8
    .kernarg_segment_size: 140
    .language:       OpenCL C
    .language_version:
      - 2
      - 0
    .max_flat_workgroup_size: 256
    .name:           _ZN12_GLOBAL__N_127rocblas_gemm_batched_kernelIfLi16ELi16ELi64ELi64ELi4ELi64ELi4ELi4ELi64ELc67ELc67EKPKfS3_KPfEEvlllT_PT11_llS8_llS6_PT12_llPT13_lli
    .private_segment_fixed_size: 0
    .sgpr_count:     40
    .sgpr_spill_count: 0
    .symbol:         _ZN12_GLOBAL__N_127rocblas_gemm_batched_kernelIfLi16ELi16ELi64ELi64ELi4ELi64ELi4ELi4ELi64ELc67ELc67EKPKfS3_KPfEEvlllT_PT11_llS8_llS6_PT12_llPT13_lli.kd
    .uniform_work_group_size: 1
    .uses_dynamic_stack: false
    .vgpr_count:     78
    .vgpr_spill_count: 0
    .wavefront_size: 64
  - .agpr_count:     0
    .args:
      - .offset:         0
        .size:           8
        .value_kind:     by_value
      - .offset:         8
        .size:           8
        .value_kind:     by_value
      - .offset:         16
        .size:           8
        .value_kind:     by_value
      - .offset:         24
        .size:           4
        .value_kind:     by_value
      - .address_space:  global
        .offset:         32
        .size:           8
        .value_kind:     global_buffer
      - .offset:         40
        .size:           8
        .value_kind:     by_value
      - .offset:         48
        .size:           8
        .value_kind:     by_value
      - .address_space:  global
        .offset:         56
        .size:           8
        .value_kind:     global_buffer
      - .offset:         64
        .size:           8
        .value_kind:     by_value
      - .offset:         72
        .size:           8
        .value_kind:     by_value
      - .offset:         80
        .size:           4
        .value_kind:     by_value
      - .address_space:  global
        .offset:         88
        .size:           8
        .value_kind:     global_buffer
      - .offset:         96
        .size:           8
        .value_kind:     by_value
      - .offset:         104
        .size:           8
        .value_kind:     by_value
      - .address_space:  global
        .offset:         112
        .size:           8
        .value_kind:     global_buffer
      - .offset:         120
        .size:           8
        .value_kind:     by_value
      - .offset:         128
        .size:           8
        .value_kind:     by_value
      - .offset:         136
        .size:           4
        .value_kind:     by_value
    .group_segment_fixed_size: 2048
    .kernarg_segment_align: 8
    .kernarg_segment_size: 140
    .language:       OpenCL C
    .language_version:
      - 2
      - 0
    .max_flat_workgroup_size: 256
    .name:           _ZN12_GLOBAL__N_127rocblas_gemm_batched_kernelIfLi16ELi16ELi64ELi64ELi4ELi64ELi4ELi4ELi64ELc67ELc78EKPKfS3_KPfEEvlllT_PT11_llS8_llS6_PT12_llPT13_lli
    .private_segment_fixed_size: 0
    .sgpr_count:     40
    .sgpr_spill_count: 0
    .symbol:         _ZN12_GLOBAL__N_127rocblas_gemm_batched_kernelIfLi16ELi16ELi64ELi64ELi4ELi64ELi4ELi4ELi64ELc67ELc78EKPKfS3_KPfEEvlllT_PT11_llS8_llS6_PT12_llPT13_lli.kd
    .uniform_work_group_size: 1
    .uses_dynamic_stack: false
    .vgpr_count:     72
    .vgpr_spill_count: 0
    .wavefront_size: 64
  - .agpr_count:     0
    .args:
      - .offset:         0
        .size:           8
        .value_kind:     by_value
      - .offset:         8
        .size:           8
        .value_kind:     by_value
      - .offset:         16
        .size:           8
        .value_kind:     by_value
      - .offset:         24
        .size:           4
        .value_kind:     by_value
      - .address_space:  global
        .offset:         32
        .size:           8
        .value_kind:     global_buffer
      - .offset:         40
        .size:           8
        .value_kind:     by_value
      - .offset:         48
        .size:           8
        .value_kind:     by_value
      - .address_space:  global
        .offset:         56
        .size:           8
        .value_kind:     global_buffer
      - .offset:         64
        .size:           8
        .value_kind:     by_value
      - .offset:         72
        .size:           8
        .value_kind:     by_value
      - .offset:         80
        .size:           4
        .value_kind:     by_value
      - .address_space:  global
        .offset:         88
        .size:           8
        .value_kind:     global_buffer
      - .offset:         96
        .size:           8
        .value_kind:     by_value
      - .offset:         104
        .size:           8
        .value_kind:     by_value
      - .address_space:  global
        .offset:         112
        .size:           8
        .value_kind:     global_buffer
      - .offset:         120
        .size:           8
        .value_kind:     by_value
      - .offset:         128
        .size:           8
        .value_kind:     by_value
      - .offset:         136
        .size:           4
        .value_kind:     by_value
    .group_segment_fixed_size: 2048
    .kernarg_segment_align: 8
    .kernarg_segment_size: 140
    .language:       OpenCL C
    .language_version:
      - 2
      - 0
    .max_flat_workgroup_size: 256
    .name:           _ZN12_GLOBAL__N_127rocblas_gemm_batched_kernelIfLi16ELi16ELi64ELi64ELi4ELi64ELi4ELi4ELi64ELc67ELc84EKPKfS3_KPfEEvlllT_PT11_llS8_llS6_PT12_llPT13_lli
    .private_segment_fixed_size: 0
    .sgpr_count:     40
    .sgpr_spill_count: 0
    .symbol:         _ZN12_GLOBAL__N_127rocblas_gemm_batched_kernelIfLi16ELi16ELi64ELi64ELi4ELi64ELi4ELi4ELi64ELc67ELc84EKPKfS3_KPfEEvlllT_PT11_llS8_llS6_PT12_llPT13_lli.kd
    .uniform_work_group_size: 1
    .uses_dynamic_stack: false
    .vgpr_count:     78
    .vgpr_spill_count: 0
    .wavefront_size: 64
  - .agpr_count:     0
    .args:
      - .offset:         0
        .size:           8
        .value_kind:     by_value
      - .offset:         8
        .size:           8
        .value_kind:     by_value
      - .offset:         16
        .size:           8
        .value_kind:     by_value
      - .offset:         24
        .size:           4
        .value_kind:     by_value
      - .address_space:  global
        .offset:         32
        .size:           8
        .value_kind:     global_buffer
      - .offset:         40
        .size:           8
        .value_kind:     by_value
      - .offset:         48
        .size:           8
        .value_kind:     by_value
      - .address_space:  global
        .offset:         56
        .size:           8
        .value_kind:     global_buffer
      - .offset:         64
        .size:           8
        .value_kind:     by_value
      - .offset:         72
        .size:           8
        .value_kind:     by_value
      - .offset:         80
        .size:           4
        .value_kind:     by_value
      - .address_space:  global
        .offset:         88
        .size:           8
        .value_kind:     global_buffer
      - .offset:         96
        .size:           8
        .value_kind:     by_value
      - .offset:         104
        .size:           8
        .value_kind:     by_value
      - .address_space:  global
        .offset:         112
        .size:           8
        .value_kind:     global_buffer
      - .offset:         120
        .size:           8
        .value_kind:     by_value
      - .offset:         128
        .size:           8
        .value_kind:     by_value
      - .offset:         136
        .size:           4
        .value_kind:     by_value
    .group_segment_fixed_size: 2048
    .kernarg_segment_align: 8
    .kernarg_segment_size: 140
    .language:       OpenCL C
    .language_version:
      - 2
      - 0
    .max_flat_workgroup_size: 256
    .name:           _ZN12_GLOBAL__N_127rocblas_gemm_batched_kernelIfLi16ELi16ELi64ELi64ELi4ELi64ELi4ELi4ELi64ELc78ELc67EKPKfS3_KPfEEvlllT_PT11_llS8_llS6_PT12_llPT13_lli
    .private_segment_fixed_size: 0
    .sgpr_count:     40
    .sgpr_spill_count: 0
    .symbol:         _ZN12_GLOBAL__N_127rocblas_gemm_batched_kernelIfLi16ELi16ELi64ELi64ELi4ELi64ELi4ELi4ELi64ELc78ELc67EKPKfS3_KPfEEvlllT_PT11_llS8_llS6_PT12_llPT13_lli.kd
    .uniform_work_group_size: 1
    .uses_dynamic_stack: false
    .vgpr_count:     78
    .vgpr_spill_count: 0
    .wavefront_size: 64
  - .agpr_count:     0
    .args:
      - .offset:         0
        .size:           8
        .value_kind:     by_value
      - .offset:         8
        .size:           8
        .value_kind:     by_value
      - .offset:         16
        .size:           8
        .value_kind:     by_value
      - .offset:         24
        .size:           4
        .value_kind:     by_value
      - .address_space:  global
        .offset:         32
        .size:           8
        .value_kind:     global_buffer
      - .offset:         40
        .size:           8
        .value_kind:     by_value
      - .offset:         48
        .size:           8
        .value_kind:     by_value
      - .address_space:  global
        .offset:         56
        .size:           8
        .value_kind:     global_buffer
      - .offset:         64
        .size:           8
        .value_kind:     by_value
      - .offset:         72
        .size:           8
        .value_kind:     by_value
      - .offset:         80
        .size:           4
        .value_kind:     by_value
      - .address_space:  global
        .offset:         88
        .size:           8
        .value_kind:     global_buffer
      - .offset:         96
        .size:           8
        .value_kind:     by_value
      - .offset:         104
        .size:           8
        .value_kind:     by_value
      - .address_space:  global
        .offset:         112
        .size:           8
        .value_kind:     global_buffer
      - .offset:         120
        .size:           8
        .value_kind:     by_value
      - .offset:         128
        .size:           8
        .value_kind:     by_value
      - .offset:         136
        .size:           4
        .value_kind:     by_value
    .group_segment_fixed_size: 2048
    .kernarg_segment_align: 8
    .kernarg_segment_size: 140
    .language:       OpenCL C
    .language_version:
      - 2
      - 0
    .max_flat_workgroup_size: 256
    .name:           _ZN12_GLOBAL__N_127rocblas_gemm_batched_kernelIfLi16ELi16ELi64ELi64ELi4ELi64ELi4ELi4ELi64ELc84ELc67EKPKfS3_KPfEEvlllT_PT11_llS8_llS6_PT12_llPT13_lli
    .private_segment_fixed_size: 0
    .sgpr_count:     40
    .sgpr_spill_count: 0
    .symbol:         _ZN12_GLOBAL__N_127rocblas_gemm_batched_kernelIfLi16ELi16ELi64ELi64ELi4ELi64ELi4ELi4ELi64ELc84ELc67EKPKfS3_KPfEEvlllT_PT11_llS8_llS6_PT12_llPT13_lli.kd
    .uniform_work_group_size: 1
    .uses_dynamic_stack: false
    .vgpr_count:     78
    .vgpr_spill_count: 0
    .wavefront_size: 64
  - .agpr_count:     0
    .args:
      - .offset:         0
        .size:           8
        .value_kind:     by_value
      - .offset:         8
        .size:           8
        .value_kind:     by_value
      - .offset:         16
        .size:           8
        .value_kind:     by_value
      - .offset:         24
        .size:           4
        .value_kind:     by_value
      - .address_space:  global
        .offset:         32
        .size:           8
        .value_kind:     global_buffer
      - .offset:         40
        .size:           8
        .value_kind:     by_value
      - .offset:         48
        .size:           8
        .value_kind:     by_value
      - .address_space:  global
        .offset:         56
        .size:           8
        .value_kind:     global_buffer
      - .offset:         64
        .size:           8
        .value_kind:     by_value
      - .offset:         72
        .size:           8
        .value_kind:     by_value
      - .offset:         80
        .size:           4
        .value_kind:     by_value
      - .address_space:  global
        .offset:         88
        .size:           8
        .value_kind:     global_buffer
      - .offset:         96
        .size:           8
        .value_kind:     by_value
      - .offset:         104
        .size:           8
        .value_kind:     by_value
      - .address_space:  global
        .offset:         112
        .size:           8
        .value_kind:     global_buffer
      - .offset:         120
        .size:           8
        .value_kind:     by_value
      - .offset:         128
        .size:           8
        .value_kind:     by_value
      - .offset:         136
        .size:           4
        .value_kind:     by_value
    .group_segment_fixed_size: 2048
    .kernarg_segment_align: 8
    .kernarg_segment_size: 140
    .language:       OpenCL C
    .language_version:
      - 2
      - 0
    .max_flat_workgroup_size: 256
    .name:           _ZN12_GLOBAL__N_127rocblas_gemm_batched_kernelIfLi16ELi16ELi32ELi32ELi8ELi32ELi8ELi8ELi32ELc78ELc78EKPKfS3_KPfEEvlllT_PT11_llS8_llS6_PT12_llPT13_lli
    .private_segment_fixed_size: 0
    .sgpr_count:     40
    .sgpr_spill_count: 0
    .symbol:         _ZN12_GLOBAL__N_127rocblas_gemm_batched_kernelIfLi16ELi16ELi32ELi32ELi8ELi32ELi8ELi8ELi32ELc78ELc78EKPKfS3_KPfEEvlllT_PT11_llS8_llS6_PT12_llPT13_lli.kd
    .uniform_work_group_size: 1
    .uses_dynamic_stack: false
    .vgpr_count:     70
    .vgpr_spill_count: 0
    .wavefront_size: 64
  - .agpr_count:     0
    .args:
      - .offset:         0
        .size:           8
        .value_kind:     by_value
      - .offset:         8
        .size:           8
        .value_kind:     by_value
      - .offset:         16
        .size:           8
        .value_kind:     by_value
      - .offset:         24
        .size:           4
        .value_kind:     by_value
      - .address_space:  global
        .offset:         32
        .size:           8
        .value_kind:     global_buffer
      - .offset:         40
        .size:           8
        .value_kind:     by_value
      - .offset:         48
        .size:           8
        .value_kind:     by_value
      - .address_space:  global
        .offset:         56
        .size:           8
        .value_kind:     global_buffer
      - .offset:         64
        .size:           8
        .value_kind:     by_value
      - .offset:         72
        .size:           8
        .value_kind:     by_value
      - .offset:         80
        .size:           4
        .value_kind:     by_value
      - .address_space:  global
        .offset:         88
        .size:           8
        .value_kind:     global_buffer
      - .offset:         96
        .size:           8
        .value_kind:     by_value
      - .offset:         104
        .size:           8
        .value_kind:     by_value
      - .address_space:  global
        .offset:         112
        .size:           8
        .value_kind:     global_buffer
      - .offset:         120
        .size:           8
        .value_kind:     by_value
      - .offset:         128
        .size:           8
        .value_kind:     by_value
      - .offset:         136
        .size:           4
        .value_kind:     by_value
    .group_segment_fixed_size: 2048
    .kernarg_segment_align: 8
    .kernarg_segment_size: 140
    .language:       OpenCL C
    .language_version:
      - 2
      - 0
    .max_flat_workgroup_size: 256
    .name:           _ZN12_GLOBAL__N_127rocblas_gemm_batched_kernelIfLi16ELi16ELi32ELi32ELi8ELi32ELi8ELi8ELi32ELc84ELc78EKPKfS3_KPfEEvlllT_PT11_llS8_llS6_PT12_llPT13_lli
    .private_segment_fixed_size: 0
    .sgpr_count:     40
    .sgpr_spill_count: 0
    .symbol:         _ZN12_GLOBAL__N_127rocblas_gemm_batched_kernelIfLi16ELi16ELi32ELi32ELi8ELi32ELi8ELi8ELi32ELc84ELc78EKPKfS3_KPfEEvlllT_PT11_llS8_llS6_PT12_llPT13_lli.kd
    .uniform_work_group_size: 1
    .uses_dynamic_stack: false
    .vgpr_count:     68
    .vgpr_spill_count: 0
    .wavefront_size: 64
  - .agpr_count:     0
    .args:
      - .offset:         0
        .size:           8
        .value_kind:     by_value
      - .offset:         8
        .size:           8
        .value_kind:     by_value
      - .offset:         16
        .size:           8
        .value_kind:     by_value
      - .offset:         24
        .size:           4
        .value_kind:     by_value
      - .address_space:  global
        .offset:         32
        .size:           8
        .value_kind:     global_buffer
      - .offset:         40
        .size:           8
        .value_kind:     by_value
      - .offset:         48
        .size:           8
        .value_kind:     by_value
      - .address_space:  global
        .offset:         56
        .size:           8
        .value_kind:     global_buffer
      - .offset:         64
        .size:           8
        .value_kind:     by_value
      - .offset:         72
        .size:           8
        .value_kind:     by_value
      - .offset:         80
        .size:           4
        .value_kind:     by_value
      - .address_space:  global
        .offset:         88
        .size:           8
        .value_kind:     global_buffer
      - .offset:         96
        .size:           8
        .value_kind:     by_value
      - .offset:         104
        .size:           8
        .value_kind:     by_value
      - .address_space:  global
        .offset:         112
        .size:           8
        .value_kind:     global_buffer
      - .offset:         120
        .size:           8
        .value_kind:     by_value
      - .offset:         128
        .size:           8
        .value_kind:     by_value
      - .offset:         136
        .size:           4
        .value_kind:     by_value
    .group_segment_fixed_size: 2048
    .kernarg_segment_align: 8
    .kernarg_segment_size: 140
    .language:       OpenCL C
    .language_version:
      - 2
      - 0
    .max_flat_workgroup_size: 256
    .name:           _ZN12_GLOBAL__N_127rocblas_gemm_batched_kernelIfLi16ELi16ELi32ELi32ELi8ELi32ELi8ELi8ELi32ELc78ELc84EKPKfS3_KPfEEvlllT_PT11_llS8_llS6_PT12_llPT13_lli
    .private_segment_fixed_size: 0
    .sgpr_count:     40
    .sgpr_spill_count: 0
    .symbol:         _ZN12_GLOBAL__N_127rocblas_gemm_batched_kernelIfLi16ELi16ELi32ELi32ELi8ELi32ELi8ELi8ELi32ELc78ELc84EKPKfS3_KPfEEvlllT_PT11_llS8_llS6_PT12_llPT13_lli.kd
    .uniform_work_group_size: 1
    .uses_dynamic_stack: false
    .vgpr_count:     70
    .vgpr_spill_count: 0
    .wavefront_size: 64
  - .agpr_count:     0
    .args:
      - .offset:         0
        .size:           8
        .value_kind:     by_value
      - .offset:         8
        .size:           8
        .value_kind:     by_value
      - .offset:         16
        .size:           8
        .value_kind:     by_value
      - .offset:         24
        .size:           4
        .value_kind:     by_value
      - .address_space:  global
        .offset:         32
        .size:           8
        .value_kind:     global_buffer
      - .offset:         40
        .size:           8
        .value_kind:     by_value
      - .offset:         48
        .size:           8
        .value_kind:     by_value
      - .address_space:  global
        .offset:         56
        .size:           8
        .value_kind:     global_buffer
      - .offset:         64
        .size:           8
        .value_kind:     by_value
      - .offset:         72
        .size:           8
        .value_kind:     by_value
      - .offset:         80
        .size:           4
        .value_kind:     by_value
      - .address_space:  global
        .offset:         88
        .size:           8
        .value_kind:     global_buffer
      - .offset:         96
        .size:           8
        .value_kind:     by_value
      - .offset:         104
        .size:           8
        .value_kind:     by_value
      - .address_space:  global
        .offset:         112
        .size:           8
        .value_kind:     global_buffer
      - .offset:         120
        .size:           8
        .value_kind:     by_value
      - .offset:         128
        .size:           8
        .value_kind:     by_value
      - .offset:         136
        .size:           4
        .value_kind:     by_value
    .group_segment_fixed_size: 2048
    .kernarg_segment_align: 8
    .kernarg_segment_size: 140
    .language:       OpenCL C
    .language_version:
      - 2
      - 0
    .max_flat_workgroup_size: 256
    .name:           _ZN12_GLOBAL__N_127rocblas_gemm_batched_kernelIfLi16ELi16ELi32ELi32ELi8ELi32ELi8ELi8ELi32ELc84ELc84EKPKfS3_KPfEEvlllT_PT11_llS8_llS6_PT12_llPT13_lli
    .private_segment_fixed_size: 0
    .sgpr_count:     40
    .sgpr_spill_count: 0
    .symbol:         _ZN12_GLOBAL__N_127rocblas_gemm_batched_kernelIfLi16ELi16ELi32ELi32ELi8ELi32ELi8ELi8ELi32ELc84ELc84EKPKfS3_KPfEEvlllT_PT11_llS8_llS6_PT12_llPT13_lli.kd
    .uniform_work_group_size: 1
    .uses_dynamic_stack: false
    .vgpr_count:     70
    .vgpr_spill_count: 0
    .wavefront_size: 64
  - .agpr_count:     0
    .args:
      - .offset:         0
        .size:           8
        .value_kind:     by_value
      - .offset:         8
        .size:           8
        .value_kind:     by_value
      - .offset:         16
        .size:           8
        .value_kind:     by_value
      - .offset:         24
        .size:           4
        .value_kind:     by_value
      - .address_space:  global
        .offset:         32
        .size:           8
        .value_kind:     global_buffer
      - .offset:         40
        .size:           8
        .value_kind:     by_value
      - .offset:         48
        .size:           8
        .value_kind:     by_value
      - .address_space:  global
        .offset:         56
        .size:           8
        .value_kind:     global_buffer
      - .offset:         64
        .size:           8
        .value_kind:     by_value
      - .offset:         72
        .size:           8
        .value_kind:     by_value
      - .offset:         80
        .size:           4
        .value_kind:     by_value
      - .address_space:  global
        .offset:         88
        .size:           8
        .value_kind:     global_buffer
      - .offset:         96
        .size:           8
        .value_kind:     by_value
      - .offset:         104
        .size:           8
        .value_kind:     by_value
      - .address_space:  global
        .offset:         112
        .size:           8
        .value_kind:     global_buffer
      - .offset:         120
        .size:           8
        .value_kind:     by_value
      - .offset:         128
        .size:           8
        .value_kind:     by_value
      - .offset:         136
        .size:           4
        .value_kind:     by_value
    .group_segment_fixed_size: 2048
    .kernarg_segment_align: 8
    .kernarg_segment_size: 140
    .language:       OpenCL C
    .language_version:
      - 2
      - 0
    .max_flat_workgroup_size: 256
    .name:           _ZN12_GLOBAL__N_127rocblas_gemm_batched_kernelIfLi16ELi16ELi32ELi32ELi8ELi32ELi8ELi8ELi32ELc67ELc67EKPKfS3_KPfEEvlllT_PT11_llS8_llS6_PT12_llPT13_lli
    .private_segment_fixed_size: 0
    .sgpr_count:     40
    .sgpr_spill_count: 0
    .symbol:         _ZN12_GLOBAL__N_127rocblas_gemm_batched_kernelIfLi16ELi16ELi32ELi32ELi8ELi32ELi8ELi8ELi32ELc67ELc67EKPKfS3_KPfEEvlllT_PT11_llS8_llS6_PT12_llPT13_lli.kd
    .uniform_work_group_size: 1
    .uses_dynamic_stack: false
    .vgpr_count:     70
    .vgpr_spill_count: 0
    .wavefront_size: 64
  - .agpr_count:     0
    .args:
      - .offset:         0
        .size:           8
        .value_kind:     by_value
      - .offset:         8
        .size:           8
        .value_kind:     by_value
      - .offset:         16
        .size:           8
        .value_kind:     by_value
      - .offset:         24
        .size:           4
        .value_kind:     by_value
      - .address_space:  global
        .offset:         32
        .size:           8
        .value_kind:     global_buffer
      - .offset:         40
        .size:           8
        .value_kind:     by_value
      - .offset:         48
        .size:           8
        .value_kind:     by_value
      - .address_space:  global
        .offset:         56
        .size:           8
        .value_kind:     global_buffer
      - .offset:         64
        .size:           8
        .value_kind:     by_value
      - .offset:         72
        .size:           8
        .value_kind:     by_value
      - .offset:         80
        .size:           4
        .value_kind:     by_value
      - .address_space:  global
        .offset:         88
        .size:           8
        .value_kind:     global_buffer
      - .offset:         96
        .size:           8
        .value_kind:     by_value
      - .offset:         104
        .size:           8
        .value_kind:     by_value
      - .address_space:  global
        .offset:         112
        .size:           8
        .value_kind:     global_buffer
      - .offset:         120
        .size:           8
        .value_kind:     by_value
      - .offset:         128
        .size:           8
        .value_kind:     by_value
      - .offset:         136
        .size:           4
        .value_kind:     by_value
    .group_segment_fixed_size: 2048
    .kernarg_segment_align: 8
    .kernarg_segment_size: 140
    .language:       OpenCL C
    .language_version:
      - 2
      - 0
    .max_flat_workgroup_size: 256
    .name:           _ZN12_GLOBAL__N_127rocblas_gemm_batched_kernelIfLi16ELi16ELi32ELi32ELi8ELi32ELi8ELi8ELi32ELc67ELc78EKPKfS3_KPfEEvlllT_PT11_llS8_llS6_PT12_llPT13_lli
    .private_segment_fixed_size: 0
    .sgpr_count:     40
    .sgpr_spill_count: 0
    .symbol:         _ZN12_GLOBAL__N_127rocblas_gemm_batched_kernelIfLi16ELi16ELi32ELi32ELi8ELi32ELi8ELi8ELi32ELc67ELc78EKPKfS3_KPfEEvlllT_PT11_llS8_llS6_PT12_llPT13_lli.kd
    .uniform_work_group_size: 1
    .uses_dynamic_stack: false
    .vgpr_count:     68
    .vgpr_spill_count: 0
    .wavefront_size: 64
  - .agpr_count:     0
    .args:
      - .offset:         0
        .size:           8
        .value_kind:     by_value
      - .offset:         8
        .size:           8
        .value_kind:     by_value
      - .offset:         16
        .size:           8
        .value_kind:     by_value
      - .offset:         24
        .size:           4
        .value_kind:     by_value
      - .address_space:  global
        .offset:         32
        .size:           8
        .value_kind:     global_buffer
      - .offset:         40
        .size:           8
        .value_kind:     by_value
      - .offset:         48
        .size:           8
        .value_kind:     by_value
      - .address_space:  global
        .offset:         56
        .size:           8
        .value_kind:     global_buffer
      - .offset:         64
        .size:           8
        .value_kind:     by_value
      - .offset:         72
        .size:           8
        .value_kind:     by_value
      - .offset:         80
        .size:           4
        .value_kind:     by_value
      - .address_space:  global
        .offset:         88
        .size:           8
        .value_kind:     global_buffer
      - .offset:         96
        .size:           8
        .value_kind:     by_value
      - .offset:         104
        .size:           8
        .value_kind:     by_value
      - .address_space:  global
        .offset:         112
        .size:           8
        .value_kind:     global_buffer
      - .offset:         120
        .size:           8
        .value_kind:     by_value
      - .offset:         128
        .size:           8
        .value_kind:     by_value
      - .offset:         136
        .size:           4
        .value_kind:     by_value
    .group_segment_fixed_size: 2048
    .kernarg_segment_align: 8
    .kernarg_segment_size: 140
    .language:       OpenCL C
    .language_version:
      - 2
      - 0
    .max_flat_workgroup_size: 256
    .name:           _ZN12_GLOBAL__N_127rocblas_gemm_batched_kernelIfLi16ELi16ELi32ELi32ELi8ELi32ELi8ELi8ELi32ELc67ELc84EKPKfS3_KPfEEvlllT_PT11_llS8_llS6_PT12_llPT13_lli
    .private_segment_fixed_size: 0
    .sgpr_count:     40
    .sgpr_spill_count: 0
    .symbol:         _ZN12_GLOBAL__N_127rocblas_gemm_batched_kernelIfLi16ELi16ELi32ELi32ELi8ELi32ELi8ELi8ELi32ELc67ELc84EKPKfS3_KPfEEvlllT_PT11_llS8_llS6_PT12_llPT13_lli.kd
    .uniform_work_group_size: 1
    .uses_dynamic_stack: false
    .vgpr_count:     70
    .vgpr_spill_count: 0
    .wavefront_size: 64
  - .agpr_count:     0
    .args:
      - .offset:         0
        .size:           8
        .value_kind:     by_value
      - .offset:         8
        .size:           8
        .value_kind:     by_value
      - .offset:         16
        .size:           8
        .value_kind:     by_value
      - .offset:         24
        .size:           4
        .value_kind:     by_value
      - .address_space:  global
        .offset:         32
        .size:           8
        .value_kind:     global_buffer
      - .offset:         40
        .size:           8
        .value_kind:     by_value
      - .offset:         48
        .size:           8
        .value_kind:     by_value
      - .address_space:  global
        .offset:         56
        .size:           8
        .value_kind:     global_buffer
      - .offset:         64
        .size:           8
        .value_kind:     by_value
      - .offset:         72
        .size:           8
        .value_kind:     by_value
      - .offset:         80
        .size:           4
        .value_kind:     by_value
      - .address_space:  global
        .offset:         88
        .size:           8
        .value_kind:     global_buffer
      - .offset:         96
        .size:           8
        .value_kind:     by_value
      - .offset:         104
        .size:           8
        .value_kind:     by_value
      - .address_space:  global
        .offset:         112
        .size:           8
        .value_kind:     global_buffer
      - .offset:         120
        .size:           8
        .value_kind:     by_value
      - .offset:         128
        .size:           8
        .value_kind:     by_value
      - .offset:         136
        .size:           4
        .value_kind:     by_value
    .group_segment_fixed_size: 2048
    .kernarg_segment_align: 8
    .kernarg_segment_size: 140
    .language:       OpenCL C
    .language_version:
      - 2
      - 0
    .max_flat_workgroup_size: 256
    .name:           _ZN12_GLOBAL__N_127rocblas_gemm_batched_kernelIfLi16ELi16ELi32ELi32ELi8ELi32ELi8ELi8ELi32ELc78ELc67EKPKfS3_KPfEEvlllT_PT11_llS8_llS6_PT12_llPT13_lli
    .private_segment_fixed_size: 0
    .sgpr_count:     40
    .sgpr_spill_count: 0
    .symbol:         _ZN12_GLOBAL__N_127rocblas_gemm_batched_kernelIfLi16ELi16ELi32ELi32ELi8ELi32ELi8ELi8ELi32ELc78ELc67EKPKfS3_KPfEEvlllT_PT11_llS8_llS6_PT12_llPT13_lli.kd
    .uniform_work_group_size: 1
    .uses_dynamic_stack: false
    .vgpr_count:     70
    .vgpr_spill_count: 0
    .wavefront_size: 64
  - .agpr_count:     0
    .args:
      - .offset:         0
        .size:           8
        .value_kind:     by_value
      - .offset:         8
        .size:           8
        .value_kind:     by_value
      - .offset:         16
        .size:           8
        .value_kind:     by_value
      - .offset:         24
        .size:           4
        .value_kind:     by_value
      - .address_space:  global
        .offset:         32
        .size:           8
        .value_kind:     global_buffer
      - .offset:         40
        .size:           8
        .value_kind:     by_value
      - .offset:         48
        .size:           8
        .value_kind:     by_value
      - .address_space:  global
        .offset:         56
        .size:           8
        .value_kind:     global_buffer
      - .offset:         64
        .size:           8
        .value_kind:     by_value
      - .offset:         72
        .size:           8
        .value_kind:     by_value
      - .offset:         80
        .size:           4
        .value_kind:     by_value
      - .address_space:  global
        .offset:         88
        .size:           8
        .value_kind:     global_buffer
      - .offset:         96
        .size:           8
        .value_kind:     by_value
      - .offset:         104
        .size:           8
        .value_kind:     by_value
      - .address_space:  global
        .offset:         112
        .size:           8
        .value_kind:     global_buffer
      - .offset:         120
        .size:           8
        .value_kind:     by_value
      - .offset:         128
        .size:           8
        .value_kind:     by_value
      - .offset:         136
        .size:           4
        .value_kind:     by_value
    .group_segment_fixed_size: 2048
    .kernarg_segment_align: 8
    .kernarg_segment_size: 140
    .language:       OpenCL C
    .language_version:
      - 2
      - 0
    .max_flat_workgroup_size: 256
    .name:           _ZN12_GLOBAL__N_127rocblas_gemm_batched_kernelIfLi16ELi16ELi32ELi32ELi8ELi32ELi8ELi8ELi32ELc84ELc67EKPKfS3_KPfEEvlllT_PT11_llS8_llS6_PT12_llPT13_lli
    .private_segment_fixed_size: 0
    .sgpr_count:     40
    .sgpr_spill_count: 0
    .symbol:         _ZN12_GLOBAL__N_127rocblas_gemm_batched_kernelIfLi16ELi16ELi32ELi32ELi8ELi32ELi8ELi8ELi32ELc84ELc67EKPKfS3_KPfEEvlllT_PT11_llS8_llS6_PT12_llPT13_lli.kd
    .uniform_work_group_size: 1
    .uses_dynamic_stack: false
    .vgpr_count:     70
    .vgpr_spill_count: 0
    .wavefront_size: 64
  - .agpr_count:     0
    .args:
      - .offset:         0
        .size:           8
        .value_kind:     by_value
      - .offset:         8
        .size:           8
        .value_kind:     by_value
      - .offset:         16
        .size:           8
        .value_kind:     by_value
      - .offset:         24
        .size:           4
        .value_kind:     by_value
      - .address_space:  global
        .offset:         32
        .size:           8
        .value_kind:     global_buffer
      - .offset:         40
        .size:           8
        .value_kind:     by_value
      - .offset:         48
        .size:           8
        .value_kind:     by_value
      - .address_space:  global
        .offset:         56
        .size:           8
        .value_kind:     global_buffer
      - .offset:         64
        .size:           8
        .value_kind:     by_value
      - .offset:         72
        .size:           8
        .value_kind:     by_value
      - .offset:         80
        .size:           4
        .value_kind:     by_value
      - .address_space:  global
        .offset:         88
        .size:           8
        .value_kind:     global_buffer
      - .offset:         96
        .size:           8
        .value_kind:     by_value
      - .offset:         104
        .size:           8
        .value_kind:     by_value
      - .address_space:  global
        .offset:         112
        .size:           8
        .value_kind:     global_buffer
      - .offset:         120
        .size:           8
        .value_kind:     by_value
      - .offset:         128
        .size:           8
        .value_kind:     by_value
      - .offset:         136
        .size:           4
        .value_kind:     by_value
    .group_segment_fixed_size: 2048
    .kernarg_segment_align: 8
    .kernarg_segment_size: 140
    .language:       OpenCL C
    .language_version:
      - 2
      - 0
    .max_flat_workgroup_size: 256
    .name:           _ZN12_GLOBAL__N_135rocblas_gemm_batched_general_kernelIfLi16ELi16ELi32ELi32ELi8ELi32ELi8ELi8ELi32ELc78ELc78EKPKfS3_KPfEEvlllT_PT11_llS8_llS6_PT12_llPT13_lli
    .private_segment_fixed_size: 0
    .sgpr_count:     48
    .sgpr_spill_count: 0
    .symbol:         _ZN12_GLOBAL__N_135rocblas_gemm_batched_general_kernelIfLi16ELi16ELi32ELi32ELi8ELi32ELi8ELi8ELi32ELc78ELc78EKPKfS3_KPfEEvlllT_PT11_llS8_llS6_PT12_llPT13_lli.kd
    .uniform_work_group_size: 1
    .uses_dynamic_stack: false
    .vgpr_count:     52
    .vgpr_spill_count: 0
    .wavefront_size: 64
  - .agpr_count:     0
    .args:
      - .offset:         0
        .size:           8
        .value_kind:     by_value
      - .offset:         8
        .size:           8
        .value_kind:     by_value
      - .offset:         16
        .size:           8
        .value_kind:     by_value
      - .offset:         24
        .size:           4
        .value_kind:     by_value
      - .address_space:  global
        .offset:         32
        .size:           8
        .value_kind:     global_buffer
      - .offset:         40
        .size:           8
        .value_kind:     by_value
      - .offset:         48
        .size:           8
        .value_kind:     by_value
      - .address_space:  global
        .offset:         56
        .size:           8
        .value_kind:     global_buffer
      - .offset:         64
        .size:           8
        .value_kind:     by_value
      - .offset:         72
        .size:           8
        .value_kind:     by_value
      - .offset:         80
        .size:           4
        .value_kind:     by_value
      - .address_space:  global
        .offset:         88
        .size:           8
        .value_kind:     global_buffer
      - .offset:         96
        .size:           8
        .value_kind:     by_value
      - .offset:         104
        .size:           8
        .value_kind:     by_value
      - .address_space:  global
        .offset:         112
        .size:           8
        .value_kind:     global_buffer
      - .offset:         120
        .size:           8
        .value_kind:     by_value
      - .offset:         128
        .size:           8
        .value_kind:     by_value
      - .offset:         136
        .size:           4
        .value_kind:     by_value
    .group_segment_fixed_size: 2048
    .kernarg_segment_align: 8
    .kernarg_segment_size: 140
    .language:       OpenCL C
    .language_version:
      - 2
      - 0
    .max_flat_workgroup_size: 256
    .name:           _ZN12_GLOBAL__N_135rocblas_gemm_batched_general_kernelIfLi16ELi16ELi32ELi32ELi8ELi32ELi8ELi8ELi32ELc84ELc78EKPKfS3_KPfEEvlllT_PT11_llS8_llS6_PT12_llPT13_lli
    .private_segment_fixed_size: 0
    .sgpr_count:     46
    .sgpr_spill_count: 0
    .symbol:         _ZN12_GLOBAL__N_135rocblas_gemm_batched_general_kernelIfLi16ELi16ELi32ELi32ELi8ELi32ELi8ELi8ELi32ELc84ELc78EKPKfS3_KPfEEvlllT_PT11_llS8_llS6_PT12_llPT13_lli.kd
    .uniform_work_group_size: 1
    .uses_dynamic_stack: false
    .vgpr_count:     50
    .vgpr_spill_count: 0
    .wavefront_size: 64
  - .agpr_count:     0
    .args:
      - .offset:         0
        .size:           8
        .value_kind:     by_value
      - .offset:         8
        .size:           8
        .value_kind:     by_value
      - .offset:         16
        .size:           8
        .value_kind:     by_value
      - .offset:         24
        .size:           4
        .value_kind:     by_value
      - .address_space:  global
        .offset:         32
        .size:           8
        .value_kind:     global_buffer
      - .offset:         40
        .size:           8
        .value_kind:     by_value
      - .offset:         48
        .size:           8
        .value_kind:     by_value
      - .address_space:  global
        .offset:         56
        .size:           8
        .value_kind:     global_buffer
      - .offset:         64
        .size:           8
        .value_kind:     by_value
      - .offset:         72
        .size:           8
        .value_kind:     by_value
      - .offset:         80
        .size:           4
        .value_kind:     by_value
      - .address_space:  global
        .offset:         88
        .size:           8
        .value_kind:     global_buffer
      - .offset:         96
        .size:           8
        .value_kind:     by_value
      - .offset:         104
        .size:           8
        .value_kind:     by_value
      - .address_space:  global
        .offset:         112
        .size:           8
        .value_kind:     global_buffer
      - .offset:         120
        .size:           8
        .value_kind:     by_value
      - .offset:         128
        .size:           8
        .value_kind:     by_value
      - .offset:         136
        .size:           4
        .value_kind:     by_value
    .group_segment_fixed_size: 2048
    .kernarg_segment_align: 8
    .kernarg_segment_size: 140
    .language:       OpenCL C
    .language_version:
      - 2
      - 0
    .max_flat_workgroup_size: 256
    .name:           _ZN12_GLOBAL__N_135rocblas_gemm_batched_general_kernelIfLi16ELi16ELi32ELi32ELi8ELi32ELi8ELi8ELi32ELc78ELc84EKPKfS3_KPfEEvlllT_PT11_llS8_llS6_PT12_llPT13_lli
    .private_segment_fixed_size: 0
    .sgpr_count:     52
    .sgpr_spill_count: 0
    .symbol:         _ZN12_GLOBAL__N_135rocblas_gemm_batched_general_kernelIfLi16ELi16ELi32ELi32ELi8ELi32ELi8ELi8ELi32ELc78ELc84EKPKfS3_KPfEEvlllT_PT11_llS8_llS6_PT12_llPT13_lli.kd
    .uniform_work_group_size: 1
    .uses_dynamic_stack: false
    .vgpr_count:     52
    .vgpr_spill_count: 0
    .wavefront_size: 64
  - .agpr_count:     0
    .args:
      - .offset:         0
        .size:           8
        .value_kind:     by_value
      - .offset:         8
        .size:           8
        .value_kind:     by_value
      - .offset:         16
        .size:           8
        .value_kind:     by_value
      - .offset:         24
        .size:           4
        .value_kind:     by_value
      - .address_space:  global
        .offset:         32
        .size:           8
        .value_kind:     global_buffer
      - .offset:         40
        .size:           8
        .value_kind:     by_value
      - .offset:         48
        .size:           8
        .value_kind:     by_value
      - .address_space:  global
        .offset:         56
        .size:           8
        .value_kind:     global_buffer
      - .offset:         64
        .size:           8
        .value_kind:     by_value
      - .offset:         72
        .size:           8
        .value_kind:     by_value
      - .offset:         80
        .size:           4
        .value_kind:     by_value
      - .address_space:  global
        .offset:         88
        .size:           8
        .value_kind:     global_buffer
      - .offset:         96
        .size:           8
        .value_kind:     by_value
      - .offset:         104
        .size:           8
        .value_kind:     by_value
      - .address_space:  global
        .offset:         112
        .size:           8
        .value_kind:     global_buffer
      - .offset:         120
        .size:           8
        .value_kind:     by_value
      - .offset:         128
        .size:           8
        .value_kind:     by_value
      - .offset:         136
        .size:           4
        .value_kind:     by_value
    .group_segment_fixed_size: 2048
    .kernarg_segment_align: 8
    .kernarg_segment_size: 140
    .language:       OpenCL C
    .language_version:
      - 2
      - 0
    .max_flat_workgroup_size: 256
    .name:           _ZN12_GLOBAL__N_135rocblas_gemm_batched_general_kernelIfLi16ELi16ELi32ELi32ELi8ELi32ELi8ELi8ELi32ELc84ELc84EKPKfS3_KPfEEvlllT_PT11_llS8_llS6_PT12_llPT13_lli
    .private_segment_fixed_size: 0
    .sgpr_count:     50
    .sgpr_spill_count: 0
    .symbol:         _ZN12_GLOBAL__N_135rocblas_gemm_batched_general_kernelIfLi16ELi16ELi32ELi32ELi8ELi32ELi8ELi8ELi32ELc84ELc84EKPKfS3_KPfEEvlllT_PT11_llS8_llS6_PT12_llPT13_lli.kd
    .uniform_work_group_size: 1
    .uses_dynamic_stack: false
    .vgpr_count:     52
    .vgpr_spill_count: 0
    .wavefront_size: 64
  - .agpr_count:     0
    .args:
      - .offset:         0
        .size:           8
        .value_kind:     by_value
      - .offset:         8
        .size:           8
        .value_kind:     by_value
      - .offset:         16
        .size:           8
        .value_kind:     by_value
      - .offset:         24
        .size:           4
        .value_kind:     by_value
      - .address_space:  global
        .offset:         32
        .size:           8
        .value_kind:     global_buffer
      - .offset:         40
        .size:           8
        .value_kind:     by_value
      - .offset:         48
        .size:           8
        .value_kind:     by_value
      - .address_space:  global
        .offset:         56
        .size:           8
        .value_kind:     global_buffer
      - .offset:         64
        .size:           8
        .value_kind:     by_value
      - .offset:         72
        .size:           8
        .value_kind:     by_value
      - .offset:         80
        .size:           4
        .value_kind:     by_value
      - .address_space:  global
        .offset:         88
        .size:           8
        .value_kind:     global_buffer
      - .offset:         96
        .size:           8
        .value_kind:     by_value
      - .offset:         104
        .size:           8
        .value_kind:     by_value
      - .address_space:  global
        .offset:         112
        .size:           8
        .value_kind:     global_buffer
      - .offset:         120
        .size:           8
        .value_kind:     by_value
      - .offset:         128
        .size:           8
        .value_kind:     by_value
      - .offset:         136
        .size:           4
        .value_kind:     by_value
    .group_segment_fixed_size: 2048
    .kernarg_segment_align: 8
    .kernarg_segment_size: 140
    .language:       OpenCL C
    .language_version:
      - 2
      - 0
    .max_flat_workgroup_size: 256
    .name:           _ZN12_GLOBAL__N_135rocblas_gemm_batched_general_kernelIfLi16ELi16ELi32ELi32ELi8ELi32ELi8ELi8ELi32ELc67ELc67EKPKfS3_KPfEEvlllT_PT11_llS8_llS6_PT12_llPT13_lli
    .private_segment_fixed_size: 0
    .sgpr_count:     50
    .sgpr_spill_count: 0
    .symbol:         _ZN12_GLOBAL__N_135rocblas_gemm_batched_general_kernelIfLi16ELi16ELi32ELi32ELi8ELi32ELi8ELi8ELi32ELc67ELc67EKPKfS3_KPfEEvlllT_PT11_llS8_llS6_PT12_llPT13_lli.kd
    .uniform_work_group_size: 1
    .uses_dynamic_stack: false
    .vgpr_count:     52
    .vgpr_spill_count: 0
    .wavefront_size: 64
  - .agpr_count:     0
    .args:
      - .offset:         0
        .size:           8
        .value_kind:     by_value
      - .offset:         8
        .size:           8
        .value_kind:     by_value
      - .offset:         16
        .size:           8
        .value_kind:     by_value
      - .offset:         24
        .size:           4
        .value_kind:     by_value
      - .address_space:  global
        .offset:         32
        .size:           8
        .value_kind:     global_buffer
      - .offset:         40
        .size:           8
        .value_kind:     by_value
      - .offset:         48
        .size:           8
        .value_kind:     by_value
      - .address_space:  global
        .offset:         56
        .size:           8
        .value_kind:     global_buffer
      - .offset:         64
        .size:           8
        .value_kind:     by_value
      - .offset:         72
        .size:           8
        .value_kind:     by_value
      - .offset:         80
        .size:           4
        .value_kind:     by_value
      - .address_space:  global
        .offset:         88
        .size:           8
        .value_kind:     global_buffer
      - .offset:         96
        .size:           8
        .value_kind:     by_value
      - .offset:         104
        .size:           8
        .value_kind:     by_value
      - .address_space:  global
        .offset:         112
        .size:           8
        .value_kind:     global_buffer
      - .offset:         120
        .size:           8
        .value_kind:     by_value
      - .offset:         128
        .size:           8
        .value_kind:     by_value
      - .offset:         136
        .size:           4
        .value_kind:     by_value
    .group_segment_fixed_size: 2048
    .kernarg_segment_align: 8
    .kernarg_segment_size: 140
    .language:       OpenCL C
    .language_version:
      - 2
      - 0
    .max_flat_workgroup_size: 256
    .name:           _ZN12_GLOBAL__N_135rocblas_gemm_batched_general_kernelIfLi16ELi16ELi32ELi32ELi8ELi32ELi8ELi8ELi32ELc67ELc78EKPKfS3_KPfEEvlllT_PT11_llS8_llS6_PT12_llPT13_lli
    .private_segment_fixed_size: 0
    .sgpr_count:     46
    .sgpr_spill_count: 0
    .symbol:         _ZN12_GLOBAL__N_135rocblas_gemm_batched_general_kernelIfLi16ELi16ELi32ELi32ELi8ELi32ELi8ELi8ELi32ELc67ELc78EKPKfS3_KPfEEvlllT_PT11_llS8_llS6_PT12_llPT13_lli.kd
    .uniform_work_group_size: 1
    .uses_dynamic_stack: false
    .vgpr_count:     50
    .vgpr_spill_count: 0
    .wavefront_size: 64
  - .agpr_count:     0
    .args:
      - .offset:         0
        .size:           8
        .value_kind:     by_value
      - .offset:         8
        .size:           8
        .value_kind:     by_value
      - .offset:         16
        .size:           8
        .value_kind:     by_value
      - .offset:         24
        .size:           4
        .value_kind:     by_value
      - .address_space:  global
        .offset:         32
        .size:           8
        .value_kind:     global_buffer
      - .offset:         40
        .size:           8
        .value_kind:     by_value
      - .offset:         48
        .size:           8
        .value_kind:     by_value
      - .address_space:  global
        .offset:         56
        .size:           8
        .value_kind:     global_buffer
      - .offset:         64
        .size:           8
        .value_kind:     by_value
      - .offset:         72
        .size:           8
        .value_kind:     by_value
      - .offset:         80
        .size:           4
        .value_kind:     by_value
      - .address_space:  global
        .offset:         88
        .size:           8
        .value_kind:     global_buffer
      - .offset:         96
        .size:           8
        .value_kind:     by_value
      - .offset:         104
        .size:           8
        .value_kind:     by_value
      - .address_space:  global
        .offset:         112
        .size:           8
        .value_kind:     global_buffer
      - .offset:         120
        .size:           8
        .value_kind:     by_value
      - .offset:         128
        .size:           8
        .value_kind:     by_value
      - .offset:         136
        .size:           4
        .value_kind:     by_value
    .group_segment_fixed_size: 2048
    .kernarg_segment_align: 8
    .kernarg_segment_size: 140
    .language:       OpenCL C
    .language_version:
      - 2
      - 0
    .max_flat_workgroup_size: 256
    .name:           _ZN12_GLOBAL__N_135rocblas_gemm_batched_general_kernelIfLi16ELi16ELi32ELi32ELi8ELi32ELi8ELi8ELi32ELc67ELc84EKPKfS3_KPfEEvlllT_PT11_llS8_llS6_PT12_llPT13_lli
    .private_segment_fixed_size: 0
    .sgpr_count:     50
    .sgpr_spill_count: 0
    .symbol:         _ZN12_GLOBAL__N_135rocblas_gemm_batched_general_kernelIfLi16ELi16ELi32ELi32ELi8ELi32ELi8ELi8ELi32ELc67ELc84EKPKfS3_KPfEEvlllT_PT11_llS8_llS6_PT12_llPT13_lli.kd
    .uniform_work_group_size: 1
    .uses_dynamic_stack: false
    .vgpr_count:     52
    .vgpr_spill_count: 0
    .wavefront_size: 64
  - .agpr_count:     0
    .args:
      - .offset:         0
        .size:           8
        .value_kind:     by_value
      - .offset:         8
        .size:           8
        .value_kind:     by_value
      - .offset:         16
        .size:           8
        .value_kind:     by_value
      - .offset:         24
        .size:           4
        .value_kind:     by_value
      - .address_space:  global
        .offset:         32
        .size:           8
        .value_kind:     global_buffer
      - .offset:         40
        .size:           8
        .value_kind:     by_value
      - .offset:         48
        .size:           8
        .value_kind:     by_value
      - .address_space:  global
        .offset:         56
        .size:           8
        .value_kind:     global_buffer
      - .offset:         64
        .size:           8
        .value_kind:     by_value
      - .offset:         72
        .size:           8
        .value_kind:     by_value
      - .offset:         80
        .size:           4
        .value_kind:     by_value
      - .address_space:  global
        .offset:         88
        .size:           8
        .value_kind:     global_buffer
      - .offset:         96
        .size:           8
        .value_kind:     by_value
      - .offset:         104
        .size:           8
        .value_kind:     by_value
      - .address_space:  global
        .offset:         112
        .size:           8
        .value_kind:     global_buffer
      - .offset:         120
        .size:           8
        .value_kind:     by_value
      - .offset:         128
        .size:           8
        .value_kind:     by_value
      - .offset:         136
        .size:           4
        .value_kind:     by_value
    .group_segment_fixed_size: 2048
    .kernarg_segment_align: 8
    .kernarg_segment_size: 140
    .language:       OpenCL C
    .language_version:
      - 2
      - 0
    .max_flat_workgroup_size: 256
    .name:           _ZN12_GLOBAL__N_135rocblas_gemm_batched_general_kernelIfLi16ELi16ELi32ELi32ELi8ELi32ELi8ELi8ELi32ELc78ELc67EKPKfS3_KPfEEvlllT_PT11_llS8_llS6_PT12_llPT13_lli
    .private_segment_fixed_size: 0
    .sgpr_count:     52
    .sgpr_spill_count: 0
    .symbol:         _ZN12_GLOBAL__N_135rocblas_gemm_batched_general_kernelIfLi16ELi16ELi32ELi32ELi8ELi32ELi8ELi8ELi32ELc78ELc67EKPKfS3_KPfEEvlllT_PT11_llS8_llS6_PT12_llPT13_lli.kd
    .uniform_work_group_size: 1
    .uses_dynamic_stack: false
    .vgpr_count:     52
    .vgpr_spill_count: 0
    .wavefront_size: 64
  - .agpr_count:     0
    .args:
      - .offset:         0
        .size:           8
        .value_kind:     by_value
      - .offset:         8
        .size:           8
        .value_kind:     by_value
      - .offset:         16
        .size:           8
        .value_kind:     by_value
      - .offset:         24
        .size:           4
        .value_kind:     by_value
      - .address_space:  global
        .offset:         32
        .size:           8
        .value_kind:     global_buffer
      - .offset:         40
        .size:           8
        .value_kind:     by_value
      - .offset:         48
        .size:           8
        .value_kind:     by_value
      - .address_space:  global
        .offset:         56
        .size:           8
        .value_kind:     global_buffer
      - .offset:         64
        .size:           8
        .value_kind:     by_value
      - .offset:         72
        .size:           8
        .value_kind:     by_value
      - .offset:         80
        .size:           4
        .value_kind:     by_value
      - .address_space:  global
        .offset:         88
        .size:           8
        .value_kind:     global_buffer
      - .offset:         96
        .size:           8
        .value_kind:     by_value
      - .offset:         104
        .size:           8
        .value_kind:     by_value
      - .address_space:  global
        .offset:         112
        .size:           8
        .value_kind:     global_buffer
      - .offset:         120
        .size:           8
        .value_kind:     by_value
      - .offset:         128
        .size:           8
        .value_kind:     by_value
      - .offset:         136
        .size:           4
        .value_kind:     by_value
    .group_segment_fixed_size: 2048
    .kernarg_segment_align: 8
    .kernarg_segment_size: 140
    .language:       OpenCL C
    .language_version:
      - 2
      - 0
    .max_flat_workgroup_size: 256
    .name:           _ZN12_GLOBAL__N_135rocblas_gemm_batched_general_kernelIfLi16ELi16ELi32ELi32ELi8ELi32ELi8ELi8ELi32ELc84ELc67EKPKfS3_KPfEEvlllT_PT11_llS8_llS6_PT12_llPT13_lli
    .private_segment_fixed_size: 0
    .sgpr_count:     50
    .sgpr_spill_count: 0
    .symbol:         _ZN12_GLOBAL__N_135rocblas_gemm_batched_general_kernelIfLi16ELi16ELi32ELi32ELi8ELi32ELi8ELi8ELi32ELc84ELc67EKPKfS3_KPfEEvlllT_PT11_llS8_llS6_PT12_llPT13_lli.kd
    .uniform_work_group_size: 1
    .uses_dynamic_stack: false
    .vgpr_count:     52
    .vgpr_spill_count: 0
    .wavefront_size: 64
  - .agpr_count:     0
    .args:
      - .offset:         0
        .size:           4
        .value_kind:     by_value
      - .offset:         4
        .size:           4
        .value_kind:     by_value
      - .offset:         8
        .size:           8
        .value_kind:     by_value
      - .address_space:  global
        .offset:         16
        .size:           8
        .value_kind:     global_buffer
      - .offset:         24
        .size:           8
        .value_kind:     by_value
      - .offset:         32
        .size:           8
        .value_kind:     by_value
      - .offset:         40
        .size:           8
        .value_kind:     by_value
      - .offset:         48
        .size:           4
        .value_kind:     by_value
    .group_segment_fixed_size: 0
    .kernarg_segment_align: 8
    .kernarg_segment_size: 52
    .language:       OpenCL C
    .language_version:
      - 2
      - 0
    .max_flat_workgroup_size: 1024
    .name:           _ZN12_GLOBAL__N_125rocblas_gemm_scale_kernelILi32ELi32EdPKPdEEviiT1_T2_llli
    .private_segment_fixed_size: 0
    .sgpr_count:     16
    .sgpr_spill_count: 0
    .symbol:         _ZN12_GLOBAL__N_125rocblas_gemm_scale_kernelILi32ELi32EdPKPdEEviiT1_T2_llli.kd
    .uniform_work_group_size: 1
    .uses_dynamic_stack: false
    .vgpr_count:     8
    .vgpr_spill_count: 0
    .wavefront_size: 64
  - .agpr_count:     0
    .args:
      - .offset:         0
        .size:           4
        .value_kind:     by_value
      - .offset:         4
        .size:           4
        .value_kind:     by_value
      - .offset:         8
        .size:           8
        .value_kind:     by_value
      - .address_space:  global
        .offset:         16
        .size:           8
        .value_kind:     global_buffer
      - .offset:         24
        .size:           8
        .value_kind:     by_value
      - .offset:         32
        .size:           8
        .value_kind:     by_value
      - .offset:         40
        .size:           8
        .value_kind:     by_value
      - .address_space:  global
        .offset:         48
        .size:           8
        .value_kind:     global_buffer
      - .offset:         56
        .size:           8
        .value_kind:     by_value
      - .offset:         64
        .size:           8
        .value_kind:     by_value
      - .offset:         72
        .size:           8
        .value_kind:     by_value
      - .offset:         80
        .size:           4
        .value_kind:     by_value
    .group_segment_fixed_size: 0
    .kernarg_segment_align: 8
    .kernarg_segment_size: 84
    .language:       OpenCL C
    .language_version:
      - 2
      - 0
    .max_flat_workgroup_size: 1024
    .name:           _ZN12_GLOBAL__N_120gemm_ex_scale_kernelILi32ELi32EdPKPKdPKPdEEviiT1_T2_lllT3_llli
    .private_segment_fixed_size: 0
    .sgpr_count:     26
    .sgpr_spill_count: 0
    .symbol:         _ZN12_GLOBAL__N_120gemm_ex_scale_kernelILi32ELi32EdPKPKdPKPdEEviiT1_T2_lllT3_llli.kd
    .uniform_work_group_size: 1
    .uses_dynamic_stack: false
    .vgpr_count:     10
    .vgpr_spill_count: 0
    .wavefront_size: 64
  - .agpr_count:     0
    .args:
      - .offset:         0
        .size:           8
        .value_kind:     by_value
      - .offset:         8
        .size:           8
        .value_kind:     by_value
      - .offset:         16
        .size:           8
        .value_kind:     by_value
      - .offset:         24
        .size:           8
        .value_kind:     by_value
      - .address_space:  global
        .offset:         32
        .size:           8
        .value_kind:     global_buffer
      - .offset:         40
        .size:           8
        .value_kind:     by_value
      - .offset:         48
        .size:           8
        .value_kind:     by_value
      - .address_space:  global
        .offset:         56
        .size:           8
        .value_kind:     global_buffer
      - .offset:         64
        .size:           8
        .value_kind:     by_value
      - .offset:         72
        .size:           8
        .value_kind:     by_value
      - .offset:         80
        .size:           8
        .value_kind:     by_value
      - .address_space:  global
        .offset:         88
        .size:           8
        .value_kind:     global_buffer
      - .offset:         96
        .size:           8
        .value_kind:     by_value
      - .offset:         104
        .size:           8
        .value_kind:     by_value
      - .address_space:  global
        .offset:         112
        .size:           8
        .value_kind:     global_buffer
      - .offset:         120
        .size:           8
        .value_kind:     by_value
      - .offset:         128
        .size:           8
        .value_kind:     by_value
      - .offset:         136
        .size:           4
        .value_kind:     by_value
    .group_segment_fixed_size: 4096
    .kernarg_segment_align: 8
    .kernarg_segment_size: 140
    .language:       OpenCL C
    .language_version:
      - 2
      - 0
    .max_flat_workgroup_size: 256
    .name:           _ZN12_GLOBAL__N_127rocblas_gemm_batched_kernelIdLi16ELi16ELi64ELi64ELi4ELi64ELi4ELi4ELi64ELc78ELc78EKPKdS3_KPdEEvlllT_PT11_llS8_llS6_PT12_llPT13_lli
    .private_segment_fixed_size: 0
    .sgpr_count:     56
    .sgpr_spill_count: 0
    .symbol:         _ZN12_GLOBAL__N_127rocblas_gemm_batched_kernelIdLi16ELi16ELi64ELi64ELi4ELi64ELi4ELi4ELi64ELc78ELc78EKPKdS3_KPdEEvlllT_PT11_llS8_llS6_PT12_llPT13_lli.kd
    .uniform_work_group_size: 1
    .uses_dynamic_stack: false
    .vgpr_count:     86
    .vgpr_spill_count: 0
    .wavefront_size: 64
  - .agpr_count:     0
    .args:
      - .offset:         0
        .size:           8
        .value_kind:     by_value
      - .offset:         8
        .size:           8
        .value_kind:     by_value
      - .offset:         16
        .size:           8
        .value_kind:     by_value
      - .offset:         24
        .size:           8
        .value_kind:     by_value
      - .address_space:  global
        .offset:         32
        .size:           8
        .value_kind:     global_buffer
      - .offset:         40
        .size:           8
        .value_kind:     by_value
      - .offset:         48
        .size:           8
        .value_kind:     by_value
      - .address_space:  global
        .offset:         56
        .size:           8
        .value_kind:     global_buffer
      - .offset:         64
        .size:           8
        .value_kind:     by_value
      - .offset:         72
        .size:           8
        .value_kind:     by_value
      - .offset:         80
        .size:           8
        .value_kind:     by_value
      - .address_space:  global
        .offset:         88
        .size:           8
        .value_kind:     global_buffer
      - .offset:         96
        .size:           8
        .value_kind:     by_value
      - .offset:         104
        .size:           8
        .value_kind:     by_value
      - .address_space:  global
        .offset:         112
        .size:           8
        .value_kind:     global_buffer
      - .offset:         120
        .size:           8
        .value_kind:     by_value
      - .offset:         128
        .size:           8
        .value_kind:     by_value
      - .offset:         136
        .size:           4
        .value_kind:     by_value
    .group_segment_fixed_size: 4096
    .kernarg_segment_align: 8
    .kernarg_segment_size: 140
    .language:       OpenCL C
    .language_version:
      - 2
      - 0
    .max_flat_workgroup_size: 256
    .name:           _ZN12_GLOBAL__N_127rocblas_gemm_batched_kernelIdLi16ELi16ELi64ELi64ELi4ELi64ELi4ELi4ELi64ELc84ELc78EKPKdS3_KPdEEvlllT_PT11_llS8_llS6_PT12_llPT13_lli
    .private_segment_fixed_size: 0
    .sgpr_count:     56
    .sgpr_spill_count: 0
    .symbol:         _ZN12_GLOBAL__N_127rocblas_gemm_batched_kernelIdLi16ELi16ELi64ELi64ELi4ELi64ELi4ELi4ELi64ELc84ELc78EKPKdS3_KPdEEvlllT_PT11_llS8_llS6_PT12_llPT13_lli.kd
    .uniform_work_group_size: 1
    .uses_dynamic_stack: false
    .vgpr_count:     84
    .vgpr_spill_count: 0
    .wavefront_size: 64
  - .agpr_count:     0
    .args:
      - .offset:         0
        .size:           8
        .value_kind:     by_value
      - .offset:         8
        .size:           8
        .value_kind:     by_value
      - .offset:         16
        .size:           8
        .value_kind:     by_value
      - .offset:         24
        .size:           8
        .value_kind:     by_value
      - .address_space:  global
        .offset:         32
        .size:           8
        .value_kind:     global_buffer
      - .offset:         40
        .size:           8
        .value_kind:     by_value
      - .offset:         48
        .size:           8
        .value_kind:     by_value
      - .address_space:  global
        .offset:         56
        .size:           8
        .value_kind:     global_buffer
      - .offset:         64
        .size:           8
        .value_kind:     by_value
      - .offset:         72
        .size:           8
        .value_kind:     by_value
      - .offset:         80
        .size:           8
        .value_kind:     by_value
      - .address_space:  global
        .offset:         88
        .size:           8
        .value_kind:     global_buffer
      - .offset:         96
        .size:           8
        .value_kind:     by_value
      - .offset:         104
        .size:           8
        .value_kind:     by_value
      - .address_space:  global
        .offset:         112
        .size:           8
        .value_kind:     global_buffer
      - .offset:         120
        .size:           8
        .value_kind:     by_value
      - .offset:         128
        .size:           8
        .value_kind:     by_value
      - .offset:         136
        .size:           4
        .value_kind:     by_value
    .group_segment_fixed_size: 4096
    .kernarg_segment_align: 8
    .kernarg_segment_size: 140
    .language:       OpenCL C
    .language_version:
      - 2
      - 0
    .max_flat_workgroup_size: 256
    .name:           _ZN12_GLOBAL__N_127rocblas_gemm_batched_kernelIdLi16ELi16ELi64ELi64ELi4ELi64ELi4ELi4ELi64ELc78ELc84EKPKdS3_KPdEEvlllT_PT11_llS8_llS6_PT12_llPT13_lli
    .private_segment_fixed_size: 0
    .sgpr_count:     56
    .sgpr_spill_count: 0
    .symbol:         _ZN12_GLOBAL__N_127rocblas_gemm_batched_kernelIdLi16ELi16ELi64ELi64ELi4ELi64ELi4ELi4ELi64ELc78ELc84EKPKdS3_KPdEEvlllT_PT11_llS8_llS6_PT12_llPT13_lli.kd
    .uniform_work_group_size: 1
    .uses_dynamic_stack: false
    .vgpr_count:     86
    .vgpr_spill_count: 0
    .wavefront_size: 64
  - .agpr_count:     0
    .args:
      - .offset:         0
        .size:           8
        .value_kind:     by_value
      - .offset:         8
        .size:           8
        .value_kind:     by_value
      - .offset:         16
        .size:           8
        .value_kind:     by_value
      - .offset:         24
        .size:           8
        .value_kind:     by_value
      - .address_space:  global
        .offset:         32
        .size:           8
        .value_kind:     global_buffer
      - .offset:         40
        .size:           8
        .value_kind:     by_value
      - .offset:         48
        .size:           8
        .value_kind:     by_value
      - .address_space:  global
        .offset:         56
        .size:           8
        .value_kind:     global_buffer
      - .offset:         64
        .size:           8
        .value_kind:     by_value
      - .offset:         72
        .size:           8
        .value_kind:     by_value
      - .offset:         80
        .size:           8
        .value_kind:     by_value
      - .address_space:  global
        .offset:         88
        .size:           8
        .value_kind:     global_buffer
      - .offset:         96
        .size:           8
        .value_kind:     by_value
      - .offset:         104
        .size:           8
        .value_kind:     by_value
      - .address_space:  global
        .offset:         112
        .size:           8
        .value_kind:     global_buffer
      - .offset:         120
        .size:           8
        .value_kind:     by_value
      - .offset:         128
        .size:           8
        .value_kind:     by_value
      - .offset:         136
        .size:           4
        .value_kind:     by_value
    .group_segment_fixed_size: 4096
    .kernarg_segment_align: 8
    .kernarg_segment_size: 140
    .language:       OpenCL C
    .language_version:
      - 2
      - 0
    .max_flat_workgroup_size: 256
    .name:           _ZN12_GLOBAL__N_127rocblas_gemm_batched_kernelIdLi16ELi16ELi64ELi64ELi4ELi64ELi4ELi4ELi64ELc84ELc84EKPKdS3_KPdEEvlllT_PT11_llS8_llS6_PT12_llPT13_lli
    .private_segment_fixed_size: 0
    .sgpr_count:     56
    .sgpr_spill_count: 0
    .symbol:         _ZN12_GLOBAL__N_127rocblas_gemm_batched_kernelIdLi16ELi16ELi64ELi64ELi4ELi64ELi4ELi4ELi64ELc84ELc84EKPKdS3_KPdEEvlllT_PT11_llS8_llS6_PT12_llPT13_lli.kd
    .uniform_work_group_size: 1
    .uses_dynamic_stack: false
    .vgpr_count:     86
    .vgpr_spill_count: 0
    .wavefront_size: 64
  - .agpr_count:     0
    .args:
      - .offset:         0
        .size:           8
        .value_kind:     by_value
      - .offset:         8
        .size:           8
        .value_kind:     by_value
      - .offset:         16
        .size:           8
        .value_kind:     by_value
      - .offset:         24
        .size:           8
        .value_kind:     by_value
      - .address_space:  global
        .offset:         32
        .size:           8
        .value_kind:     global_buffer
      - .offset:         40
        .size:           8
        .value_kind:     by_value
      - .offset:         48
        .size:           8
        .value_kind:     by_value
      - .address_space:  global
        .offset:         56
        .size:           8
        .value_kind:     global_buffer
      - .offset:         64
        .size:           8
        .value_kind:     by_value
      - .offset:         72
        .size:           8
        .value_kind:     by_value
      - .offset:         80
        .size:           8
        .value_kind:     by_value
      - .address_space:  global
        .offset:         88
        .size:           8
        .value_kind:     global_buffer
      - .offset:         96
        .size:           8
        .value_kind:     by_value
      - .offset:         104
        .size:           8
        .value_kind:     by_value
      - .address_space:  global
        .offset:         112
        .size:           8
        .value_kind:     global_buffer
      - .offset:         120
        .size:           8
        .value_kind:     by_value
      - .offset:         128
        .size:           8
        .value_kind:     by_value
      - .offset:         136
        .size:           4
        .value_kind:     by_value
    .group_segment_fixed_size: 4096
    .kernarg_segment_align: 8
    .kernarg_segment_size: 140
    .language:       OpenCL C
    .language_version:
      - 2
      - 0
    .max_flat_workgroup_size: 256
    .name:           _ZN12_GLOBAL__N_127rocblas_gemm_batched_kernelIdLi16ELi16ELi64ELi64ELi4ELi64ELi4ELi4ELi64ELc67ELc67EKPKdS3_KPdEEvlllT_PT11_llS8_llS6_PT12_llPT13_lli
    .private_segment_fixed_size: 0
    .sgpr_count:     56
    .sgpr_spill_count: 0
    .symbol:         _ZN12_GLOBAL__N_127rocblas_gemm_batched_kernelIdLi16ELi16ELi64ELi64ELi4ELi64ELi4ELi4ELi64ELc67ELc67EKPKdS3_KPdEEvlllT_PT11_llS8_llS6_PT12_llPT13_lli.kd
    .uniform_work_group_size: 1
    .uses_dynamic_stack: false
    .vgpr_count:     86
    .vgpr_spill_count: 0
    .wavefront_size: 64
  - .agpr_count:     0
    .args:
      - .offset:         0
        .size:           8
        .value_kind:     by_value
      - .offset:         8
        .size:           8
        .value_kind:     by_value
      - .offset:         16
        .size:           8
        .value_kind:     by_value
      - .offset:         24
        .size:           8
        .value_kind:     by_value
      - .address_space:  global
        .offset:         32
        .size:           8
        .value_kind:     global_buffer
      - .offset:         40
        .size:           8
        .value_kind:     by_value
      - .offset:         48
        .size:           8
        .value_kind:     by_value
      - .address_space:  global
        .offset:         56
        .size:           8
        .value_kind:     global_buffer
      - .offset:         64
        .size:           8
        .value_kind:     by_value
      - .offset:         72
        .size:           8
        .value_kind:     by_value
      - .offset:         80
        .size:           8
        .value_kind:     by_value
      - .address_space:  global
        .offset:         88
        .size:           8
        .value_kind:     global_buffer
      - .offset:         96
        .size:           8
        .value_kind:     by_value
      - .offset:         104
        .size:           8
        .value_kind:     by_value
      - .address_space:  global
        .offset:         112
        .size:           8
        .value_kind:     global_buffer
      - .offset:         120
        .size:           8
        .value_kind:     by_value
      - .offset:         128
        .size:           8
        .value_kind:     by_value
      - .offset:         136
        .size:           4
        .value_kind:     by_value
    .group_segment_fixed_size: 4096
    .kernarg_segment_align: 8
    .kernarg_segment_size: 140
    .language:       OpenCL C
    .language_version:
      - 2
      - 0
    .max_flat_workgroup_size: 256
    .name:           _ZN12_GLOBAL__N_127rocblas_gemm_batched_kernelIdLi16ELi16ELi64ELi64ELi4ELi64ELi4ELi4ELi64ELc67ELc78EKPKdS3_KPdEEvlllT_PT11_llS8_llS6_PT12_llPT13_lli
    .private_segment_fixed_size: 0
    .sgpr_count:     56
    .sgpr_spill_count: 0
    .symbol:         _ZN12_GLOBAL__N_127rocblas_gemm_batched_kernelIdLi16ELi16ELi64ELi64ELi4ELi64ELi4ELi4ELi64ELc67ELc78EKPKdS3_KPdEEvlllT_PT11_llS8_llS6_PT12_llPT13_lli.kd
    .uniform_work_group_size: 1
    .uses_dynamic_stack: false
    .vgpr_count:     84
    .vgpr_spill_count: 0
    .wavefront_size: 64
  - .agpr_count:     0
    .args:
      - .offset:         0
        .size:           8
        .value_kind:     by_value
      - .offset:         8
        .size:           8
        .value_kind:     by_value
      - .offset:         16
        .size:           8
        .value_kind:     by_value
      - .offset:         24
        .size:           8
        .value_kind:     by_value
      - .address_space:  global
        .offset:         32
        .size:           8
        .value_kind:     global_buffer
      - .offset:         40
        .size:           8
        .value_kind:     by_value
      - .offset:         48
        .size:           8
        .value_kind:     by_value
      - .address_space:  global
        .offset:         56
        .size:           8
        .value_kind:     global_buffer
      - .offset:         64
        .size:           8
        .value_kind:     by_value
      - .offset:         72
        .size:           8
        .value_kind:     by_value
      - .offset:         80
        .size:           8
        .value_kind:     by_value
      - .address_space:  global
        .offset:         88
        .size:           8
        .value_kind:     global_buffer
      - .offset:         96
        .size:           8
        .value_kind:     by_value
      - .offset:         104
        .size:           8
        .value_kind:     by_value
      - .address_space:  global
        .offset:         112
        .size:           8
        .value_kind:     global_buffer
      - .offset:         120
        .size:           8
        .value_kind:     by_value
      - .offset:         128
        .size:           8
        .value_kind:     by_value
      - .offset:         136
        .size:           4
        .value_kind:     by_value
    .group_segment_fixed_size: 4096
    .kernarg_segment_align: 8
    .kernarg_segment_size: 140
    .language:       OpenCL C
    .language_version:
      - 2
      - 0
    .max_flat_workgroup_size: 256
    .name:           _ZN12_GLOBAL__N_127rocblas_gemm_batched_kernelIdLi16ELi16ELi64ELi64ELi4ELi64ELi4ELi4ELi64ELc67ELc84EKPKdS3_KPdEEvlllT_PT11_llS8_llS6_PT12_llPT13_lli
    .private_segment_fixed_size: 0
    .sgpr_count:     56
    .sgpr_spill_count: 0
    .symbol:         _ZN12_GLOBAL__N_127rocblas_gemm_batched_kernelIdLi16ELi16ELi64ELi64ELi4ELi64ELi4ELi4ELi64ELc67ELc84EKPKdS3_KPdEEvlllT_PT11_llS8_llS6_PT12_llPT13_lli.kd
    .uniform_work_group_size: 1
    .uses_dynamic_stack: false
    .vgpr_count:     86
    .vgpr_spill_count: 0
    .wavefront_size: 64
  - .agpr_count:     0
    .args:
      - .offset:         0
        .size:           8
        .value_kind:     by_value
      - .offset:         8
        .size:           8
        .value_kind:     by_value
      - .offset:         16
        .size:           8
        .value_kind:     by_value
      - .offset:         24
        .size:           8
        .value_kind:     by_value
      - .address_space:  global
        .offset:         32
        .size:           8
        .value_kind:     global_buffer
      - .offset:         40
        .size:           8
        .value_kind:     by_value
      - .offset:         48
        .size:           8
        .value_kind:     by_value
      - .address_space:  global
        .offset:         56
        .size:           8
        .value_kind:     global_buffer
      - .offset:         64
        .size:           8
        .value_kind:     by_value
      - .offset:         72
        .size:           8
        .value_kind:     by_value
      - .offset:         80
        .size:           8
        .value_kind:     by_value
      - .address_space:  global
        .offset:         88
        .size:           8
        .value_kind:     global_buffer
      - .offset:         96
        .size:           8
        .value_kind:     by_value
      - .offset:         104
        .size:           8
        .value_kind:     by_value
      - .address_space:  global
        .offset:         112
        .size:           8
        .value_kind:     global_buffer
      - .offset:         120
        .size:           8
        .value_kind:     by_value
      - .offset:         128
        .size:           8
        .value_kind:     by_value
      - .offset:         136
        .size:           4
        .value_kind:     by_value
    .group_segment_fixed_size: 4096
    .kernarg_segment_align: 8
    .kernarg_segment_size: 140
    .language:       OpenCL C
    .language_version:
      - 2
      - 0
    .max_flat_workgroup_size: 256
    .name:           _ZN12_GLOBAL__N_127rocblas_gemm_batched_kernelIdLi16ELi16ELi64ELi64ELi4ELi64ELi4ELi4ELi64ELc78ELc67EKPKdS3_KPdEEvlllT_PT11_llS8_llS6_PT12_llPT13_lli
    .private_segment_fixed_size: 0
    .sgpr_count:     56
    .sgpr_spill_count: 0
    .symbol:         _ZN12_GLOBAL__N_127rocblas_gemm_batched_kernelIdLi16ELi16ELi64ELi64ELi4ELi64ELi4ELi4ELi64ELc78ELc67EKPKdS3_KPdEEvlllT_PT11_llS8_llS6_PT12_llPT13_lli.kd
    .uniform_work_group_size: 1
    .uses_dynamic_stack: false
    .vgpr_count:     86
    .vgpr_spill_count: 0
    .wavefront_size: 64
  - .agpr_count:     0
    .args:
      - .offset:         0
        .size:           8
        .value_kind:     by_value
      - .offset:         8
        .size:           8
        .value_kind:     by_value
      - .offset:         16
        .size:           8
        .value_kind:     by_value
      - .offset:         24
        .size:           8
        .value_kind:     by_value
      - .address_space:  global
        .offset:         32
        .size:           8
        .value_kind:     global_buffer
      - .offset:         40
        .size:           8
        .value_kind:     by_value
      - .offset:         48
        .size:           8
        .value_kind:     by_value
      - .address_space:  global
        .offset:         56
        .size:           8
        .value_kind:     global_buffer
      - .offset:         64
        .size:           8
        .value_kind:     by_value
      - .offset:         72
        .size:           8
        .value_kind:     by_value
      - .offset:         80
        .size:           8
        .value_kind:     by_value
      - .address_space:  global
        .offset:         88
        .size:           8
        .value_kind:     global_buffer
      - .offset:         96
        .size:           8
        .value_kind:     by_value
      - .offset:         104
        .size:           8
        .value_kind:     by_value
      - .address_space:  global
        .offset:         112
        .size:           8
        .value_kind:     global_buffer
      - .offset:         120
        .size:           8
        .value_kind:     by_value
      - .offset:         128
        .size:           8
        .value_kind:     by_value
      - .offset:         136
        .size:           4
        .value_kind:     by_value
    .group_segment_fixed_size: 4096
    .kernarg_segment_align: 8
    .kernarg_segment_size: 140
    .language:       OpenCL C
    .language_version:
      - 2
      - 0
    .max_flat_workgroup_size: 256
    .name:           _ZN12_GLOBAL__N_127rocblas_gemm_batched_kernelIdLi16ELi16ELi64ELi64ELi4ELi64ELi4ELi4ELi64ELc84ELc67EKPKdS3_KPdEEvlllT_PT11_llS8_llS6_PT12_llPT13_lli
    .private_segment_fixed_size: 0
    .sgpr_count:     56
    .sgpr_spill_count: 0
    .symbol:         _ZN12_GLOBAL__N_127rocblas_gemm_batched_kernelIdLi16ELi16ELi64ELi64ELi4ELi64ELi4ELi4ELi64ELc84ELc67EKPKdS3_KPdEEvlllT_PT11_llS8_llS6_PT12_llPT13_lli.kd
    .uniform_work_group_size: 1
    .uses_dynamic_stack: false
    .vgpr_count:     86
    .vgpr_spill_count: 0
    .wavefront_size: 64
  - .agpr_count:     0
    .args:
      - .offset:         0
        .size:           8
        .value_kind:     by_value
      - .offset:         8
        .size:           8
        .value_kind:     by_value
      - .offset:         16
        .size:           8
        .value_kind:     by_value
      - .offset:         24
        .size:           8
        .value_kind:     by_value
      - .address_space:  global
        .offset:         32
        .size:           8
        .value_kind:     global_buffer
      - .offset:         40
        .size:           8
        .value_kind:     by_value
      - .offset:         48
        .size:           8
        .value_kind:     by_value
      - .address_space:  global
        .offset:         56
        .size:           8
        .value_kind:     global_buffer
      - .offset:         64
        .size:           8
        .value_kind:     by_value
      - .offset:         72
        .size:           8
        .value_kind:     by_value
      - .offset:         80
        .size:           8
        .value_kind:     by_value
      - .address_space:  global
        .offset:         88
        .size:           8
        .value_kind:     global_buffer
      - .offset:         96
        .size:           8
        .value_kind:     by_value
      - .offset:         104
        .size:           8
        .value_kind:     by_value
      - .address_space:  global
        .offset:         112
        .size:           8
        .value_kind:     global_buffer
      - .offset:         120
        .size:           8
        .value_kind:     by_value
      - .offset:         128
        .size:           8
        .value_kind:     by_value
      - .offset:         136
        .size:           4
        .value_kind:     by_value
    .group_segment_fixed_size: 4096
    .kernarg_segment_align: 8
    .kernarg_segment_size: 140
    .language:       OpenCL C
    .language_version:
      - 2
      - 0
    .max_flat_workgroup_size: 256
    .name:           _ZN12_GLOBAL__N_127rocblas_gemm_batched_kernelIdLi16ELi16ELi32ELi32ELi8ELi32ELi8ELi8ELi32ELc78ELc78EKPKdS3_KPdEEvlllT_PT11_llS8_llS6_PT12_llPT13_lli
    .private_segment_fixed_size: 0
    .sgpr_count:     56
    .sgpr_spill_count: 0
    .symbol:         _ZN12_GLOBAL__N_127rocblas_gemm_batched_kernelIdLi16ELi16ELi32ELi32ELi8ELi32ELi8ELi8ELi32ELc78ELc78EKPKdS3_KPdEEvlllT_PT11_llS8_llS6_PT12_llPT13_lli.kd
    .uniform_work_group_size: 1
    .uses_dynamic_stack: false
    .vgpr_count:     62
    .vgpr_spill_count: 0
    .wavefront_size: 64
  - .agpr_count:     0
    .args:
      - .offset:         0
        .size:           8
        .value_kind:     by_value
      - .offset:         8
        .size:           8
        .value_kind:     by_value
      - .offset:         16
        .size:           8
        .value_kind:     by_value
      - .offset:         24
        .size:           8
        .value_kind:     by_value
      - .address_space:  global
        .offset:         32
        .size:           8
        .value_kind:     global_buffer
      - .offset:         40
        .size:           8
        .value_kind:     by_value
      - .offset:         48
        .size:           8
        .value_kind:     by_value
      - .address_space:  global
        .offset:         56
        .size:           8
        .value_kind:     global_buffer
      - .offset:         64
        .size:           8
        .value_kind:     by_value
      - .offset:         72
        .size:           8
        .value_kind:     by_value
      - .offset:         80
        .size:           8
        .value_kind:     by_value
      - .address_space:  global
        .offset:         88
        .size:           8
        .value_kind:     global_buffer
      - .offset:         96
        .size:           8
        .value_kind:     by_value
      - .offset:         104
        .size:           8
        .value_kind:     by_value
      - .address_space:  global
        .offset:         112
        .size:           8
        .value_kind:     global_buffer
      - .offset:         120
        .size:           8
        .value_kind:     by_value
      - .offset:         128
        .size:           8
        .value_kind:     by_value
      - .offset:         136
        .size:           4
        .value_kind:     by_value
    .group_segment_fixed_size: 4096
    .kernarg_segment_align: 8
    .kernarg_segment_size: 140
    .language:       OpenCL C
    .language_version:
      - 2
      - 0
    .max_flat_workgroup_size: 256
    .name:           _ZN12_GLOBAL__N_127rocblas_gemm_batched_kernelIdLi16ELi16ELi32ELi32ELi8ELi32ELi8ELi8ELi32ELc84ELc78EKPKdS3_KPdEEvlllT_PT11_llS8_llS6_PT12_llPT13_lli
    .private_segment_fixed_size: 0
    .sgpr_count:     56
    .sgpr_spill_count: 0
    .symbol:         _ZN12_GLOBAL__N_127rocblas_gemm_batched_kernelIdLi16ELi16ELi32ELi32ELi8ELi32ELi8ELi8ELi32ELc84ELc78EKPKdS3_KPdEEvlllT_PT11_llS8_llS6_PT12_llPT13_lli.kd
    .uniform_work_group_size: 1
    .uses_dynamic_stack: false
    .vgpr_count:     60
    .vgpr_spill_count: 0
    .wavefront_size: 64
  - .agpr_count:     0
    .args:
      - .offset:         0
        .size:           8
        .value_kind:     by_value
      - .offset:         8
        .size:           8
        .value_kind:     by_value
      - .offset:         16
        .size:           8
        .value_kind:     by_value
      - .offset:         24
        .size:           8
        .value_kind:     by_value
      - .address_space:  global
        .offset:         32
        .size:           8
        .value_kind:     global_buffer
      - .offset:         40
        .size:           8
        .value_kind:     by_value
      - .offset:         48
        .size:           8
        .value_kind:     by_value
      - .address_space:  global
        .offset:         56
        .size:           8
        .value_kind:     global_buffer
      - .offset:         64
        .size:           8
        .value_kind:     by_value
      - .offset:         72
        .size:           8
        .value_kind:     by_value
      - .offset:         80
        .size:           8
        .value_kind:     by_value
      - .address_space:  global
        .offset:         88
        .size:           8
        .value_kind:     global_buffer
      - .offset:         96
        .size:           8
        .value_kind:     by_value
      - .offset:         104
        .size:           8
        .value_kind:     by_value
      - .address_space:  global
        .offset:         112
        .size:           8
        .value_kind:     global_buffer
      - .offset:         120
        .size:           8
        .value_kind:     by_value
      - .offset:         128
        .size:           8
        .value_kind:     by_value
      - .offset:         136
        .size:           4
        .value_kind:     by_value
    .group_segment_fixed_size: 4096
    .kernarg_segment_align: 8
    .kernarg_segment_size: 140
    .language:       OpenCL C
    .language_version:
      - 2
      - 0
    .max_flat_workgroup_size: 256
    .name:           _ZN12_GLOBAL__N_127rocblas_gemm_batched_kernelIdLi16ELi16ELi32ELi32ELi8ELi32ELi8ELi8ELi32ELc78ELc84EKPKdS3_KPdEEvlllT_PT11_llS8_llS6_PT12_llPT13_lli
    .private_segment_fixed_size: 0
    .sgpr_count:     56
    .sgpr_spill_count: 0
    .symbol:         _ZN12_GLOBAL__N_127rocblas_gemm_batched_kernelIdLi16ELi16ELi32ELi32ELi8ELi32ELi8ELi8ELi32ELc78ELc84EKPKdS3_KPdEEvlllT_PT11_llS8_llS6_PT12_llPT13_lli.kd
    .uniform_work_group_size: 1
    .uses_dynamic_stack: false
    .vgpr_count:     62
    .vgpr_spill_count: 0
    .wavefront_size: 64
  - .agpr_count:     0
    .args:
      - .offset:         0
        .size:           8
        .value_kind:     by_value
      - .offset:         8
        .size:           8
        .value_kind:     by_value
      - .offset:         16
        .size:           8
        .value_kind:     by_value
      - .offset:         24
        .size:           8
        .value_kind:     by_value
      - .address_space:  global
        .offset:         32
        .size:           8
        .value_kind:     global_buffer
      - .offset:         40
        .size:           8
        .value_kind:     by_value
      - .offset:         48
        .size:           8
        .value_kind:     by_value
      - .address_space:  global
        .offset:         56
        .size:           8
        .value_kind:     global_buffer
      - .offset:         64
        .size:           8
        .value_kind:     by_value
      - .offset:         72
        .size:           8
        .value_kind:     by_value
      - .offset:         80
        .size:           8
        .value_kind:     by_value
      - .address_space:  global
        .offset:         88
        .size:           8
        .value_kind:     global_buffer
      - .offset:         96
        .size:           8
        .value_kind:     by_value
      - .offset:         104
        .size:           8
        .value_kind:     by_value
      - .address_space:  global
        .offset:         112
        .size:           8
        .value_kind:     global_buffer
      - .offset:         120
        .size:           8
        .value_kind:     by_value
      - .offset:         128
        .size:           8
        .value_kind:     by_value
      - .offset:         136
        .size:           4
        .value_kind:     by_value
    .group_segment_fixed_size: 4096
    .kernarg_segment_align: 8
    .kernarg_segment_size: 140
    .language:       OpenCL C
    .language_version:
      - 2
      - 0
    .max_flat_workgroup_size: 256
    .name:           _ZN12_GLOBAL__N_127rocblas_gemm_batched_kernelIdLi16ELi16ELi32ELi32ELi8ELi32ELi8ELi8ELi32ELc84ELc84EKPKdS3_KPdEEvlllT_PT11_llS8_llS6_PT12_llPT13_lli
    .private_segment_fixed_size: 0
    .sgpr_count:     56
    .sgpr_spill_count: 0
    .symbol:         _ZN12_GLOBAL__N_127rocblas_gemm_batched_kernelIdLi16ELi16ELi32ELi32ELi8ELi32ELi8ELi8ELi32ELc84ELc84EKPKdS3_KPdEEvlllT_PT11_llS8_llS6_PT12_llPT13_lli.kd
    .uniform_work_group_size: 1
    .uses_dynamic_stack: false
    .vgpr_count:     62
    .vgpr_spill_count: 0
    .wavefront_size: 64
  - .agpr_count:     0
    .args:
      - .offset:         0
        .size:           8
        .value_kind:     by_value
      - .offset:         8
        .size:           8
        .value_kind:     by_value
      - .offset:         16
        .size:           8
        .value_kind:     by_value
      - .offset:         24
        .size:           8
        .value_kind:     by_value
      - .address_space:  global
        .offset:         32
        .size:           8
        .value_kind:     global_buffer
      - .offset:         40
        .size:           8
        .value_kind:     by_value
      - .offset:         48
        .size:           8
        .value_kind:     by_value
      - .address_space:  global
        .offset:         56
        .size:           8
        .value_kind:     global_buffer
      - .offset:         64
        .size:           8
        .value_kind:     by_value
      - .offset:         72
        .size:           8
        .value_kind:     by_value
      - .offset:         80
        .size:           8
        .value_kind:     by_value
      - .address_space:  global
        .offset:         88
        .size:           8
        .value_kind:     global_buffer
      - .offset:         96
        .size:           8
        .value_kind:     by_value
      - .offset:         104
        .size:           8
        .value_kind:     by_value
      - .address_space:  global
        .offset:         112
        .size:           8
        .value_kind:     global_buffer
      - .offset:         120
        .size:           8
        .value_kind:     by_value
      - .offset:         128
        .size:           8
        .value_kind:     by_value
      - .offset:         136
        .size:           4
        .value_kind:     by_value
    .group_segment_fixed_size: 4096
    .kernarg_segment_align: 8
    .kernarg_segment_size: 140
    .language:       OpenCL C
    .language_version:
      - 2
      - 0
    .max_flat_workgroup_size: 256
    .name:           _ZN12_GLOBAL__N_127rocblas_gemm_batched_kernelIdLi16ELi16ELi32ELi32ELi8ELi32ELi8ELi8ELi32ELc67ELc67EKPKdS3_KPdEEvlllT_PT11_llS8_llS6_PT12_llPT13_lli
    .private_segment_fixed_size: 0
    .sgpr_count:     56
    .sgpr_spill_count: 0
    .symbol:         _ZN12_GLOBAL__N_127rocblas_gemm_batched_kernelIdLi16ELi16ELi32ELi32ELi8ELi32ELi8ELi8ELi32ELc67ELc67EKPKdS3_KPdEEvlllT_PT11_llS8_llS6_PT12_llPT13_lli.kd
    .uniform_work_group_size: 1
    .uses_dynamic_stack: false
    .vgpr_count:     62
    .vgpr_spill_count: 0
    .wavefront_size: 64
  - .agpr_count:     0
    .args:
      - .offset:         0
        .size:           8
        .value_kind:     by_value
      - .offset:         8
        .size:           8
        .value_kind:     by_value
      - .offset:         16
        .size:           8
        .value_kind:     by_value
      - .offset:         24
        .size:           8
        .value_kind:     by_value
      - .address_space:  global
        .offset:         32
        .size:           8
        .value_kind:     global_buffer
      - .offset:         40
        .size:           8
        .value_kind:     by_value
      - .offset:         48
        .size:           8
        .value_kind:     by_value
      - .address_space:  global
        .offset:         56
        .size:           8
        .value_kind:     global_buffer
      - .offset:         64
        .size:           8
        .value_kind:     by_value
      - .offset:         72
        .size:           8
        .value_kind:     by_value
      - .offset:         80
        .size:           8
        .value_kind:     by_value
      - .address_space:  global
        .offset:         88
        .size:           8
        .value_kind:     global_buffer
      - .offset:         96
        .size:           8
        .value_kind:     by_value
      - .offset:         104
        .size:           8
        .value_kind:     by_value
      - .address_space:  global
        .offset:         112
        .size:           8
        .value_kind:     global_buffer
      - .offset:         120
        .size:           8
        .value_kind:     by_value
      - .offset:         128
        .size:           8
        .value_kind:     by_value
      - .offset:         136
        .size:           4
        .value_kind:     by_value
    .group_segment_fixed_size: 4096
    .kernarg_segment_align: 8
    .kernarg_segment_size: 140
    .language:       OpenCL C
    .language_version:
      - 2
      - 0
    .max_flat_workgroup_size: 256
    .name:           _ZN12_GLOBAL__N_127rocblas_gemm_batched_kernelIdLi16ELi16ELi32ELi32ELi8ELi32ELi8ELi8ELi32ELc67ELc78EKPKdS3_KPdEEvlllT_PT11_llS8_llS6_PT12_llPT13_lli
    .private_segment_fixed_size: 0
    .sgpr_count:     56
    .sgpr_spill_count: 0
    .symbol:         _ZN12_GLOBAL__N_127rocblas_gemm_batched_kernelIdLi16ELi16ELi32ELi32ELi8ELi32ELi8ELi8ELi32ELc67ELc78EKPKdS3_KPdEEvlllT_PT11_llS8_llS6_PT12_llPT13_lli.kd
    .uniform_work_group_size: 1
    .uses_dynamic_stack: false
    .vgpr_count:     60
    .vgpr_spill_count: 0
    .wavefront_size: 64
  - .agpr_count:     0
    .args:
      - .offset:         0
        .size:           8
        .value_kind:     by_value
      - .offset:         8
        .size:           8
        .value_kind:     by_value
      - .offset:         16
        .size:           8
        .value_kind:     by_value
      - .offset:         24
        .size:           8
        .value_kind:     by_value
      - .address_space:  global
        .offset:         32
        .size:           8
        .value_kind:     global_buffer
      - .offset:         40
        .size:           8
        .value_kind:     by_value
      - .offset:         48
        .size:           8
        .value_kind:     by_value
      - .address_space:  global
        .offset:         56
        .size:           8
        .value_kind:     global_buffer
      - .offset:         64
        .size:           8
        .value_kind:     by_value
      - .offset:         72
        .size:           8
        .value_kind:     by_value
      - .offset:         80
        .size:           8
        .value_kind:     by_value
      - .address_space:  global
        .offset:         88
        .size:           8
        .value_kind:     global_buffer
      - .offset:         96
        .size:           8
        .value_kind:     by_value
      - .offset:         104
        .size:           8
        .value_kind:     by_value
      - .address_space:  global
        .offset:         112
        .size:           8
        .value_kind:     global_buffer
      - .offset:         120
        .size:           8
        .value_kind:     by_value
      - .offset:         128
        .size:           8
        .value_kind:     by_value
      - .offset:         136
        .size:           4
        .value_kind:     by_value
    .group_segment_fixed_size: 4096
    .kernarg_segment_align: 8
    .kernarg_segment_size: 140
    .language:       OpenCL C
    .language_version:
      - 2
      - 0
    .max_flat_workgroup_size: 256
    .name:           _ZN12_GLOBAL__N_127rocblas_gemm_batched_kernelIdLi16ELi16ELi32ELi32ELi8ELi32ELi8ELi8ELi32ELc67ELc84EKPKdS3_KPdEEvlllT_PT11_llS8_llS6_PT12_llPT13_lli
    .private_segment_fixed_size: 0
    .sgpr_count:     56
    .sgpr_spill_count: 0
    .symbol:         _ZN12_GLOBAL__N_127rocblas_gemm_batched_kernelIdLi16ELi16ELi32ELi32ELi8ELi32ELi8ELi8ELi32ELc67ELc84EKPKdS3_KPdEEvlllT_PT11_llS8_llS6_PT12_llPT13_lli.kd
    .uniform_work_group_size: 1
    .uses_dynamic_stack: false
    .vgpr_count:     62
    .vgpr_spill_count: 0
    .wavefront_size: 64
  - .agpr_count:     0
    .args:
      - .offset:         0
        .size:           8
        .value_kind:     by_value
      - .offset:         8
        .size:           8
        .value_kind:     by_value
      - .offset:         16
        .size:           8
        .value_kind:     by_value
      - .offset:         24
        .size:           8
        .value_kind:     by_value
      - .address_space:  global
        .offset:         32
        .size:           8
        .value_kind:     global_buffer
      - .offset:         40
        .size:           8
        .value_kind:     by_value
      - .offset:         48
        .size:           8
        .value_kind:     by_value
      - .address_space:  global
        .offset:         56
        .size:           8
        .value_kind:     global_buffer
      - .offset:         64
        .size:           8
        .value_kind:     by_value
      - .offset:         72
        .size:           8
        .value_kind:     by_value
      - .offset:         80
        .size:           8
        .value_kind:     by_value
      - .address_space:  global
        .offset:         88
        .size:           8
        .value_kind:     global_buffer
      - .offset:         96
        .size:           8
        .value_kind:     by_value
      - .offset:         104
        .size:           8
        .value_kind:     by_value
      - .address_space:  global
        .offset:         112
        .size:           8
        .value_kind:     global_buffer
      - .offset:         120
        .size:           8
        .value_kind:     by_value
      - .offset:         128
        .size:           8
        .value_kind:     by_value
      - .offset:         136
        .size:           4
        .value_kind:     by_value
    .group_segment_fixed_size: 4096
    .kernarg_segment_align: 8
    .kernarg_segment_size: 140
    .language:       OpenCL C
    .language_version:
      - 2
      - 0
    .max_flat_workgroup_size: 256
    .name:           _ZN12_GLOBAL__N_127rocblas_gemm_batched_kernelIdLi16ELi16ELi32ELi32ELi8ELi32ELi8ELi8ELi32ELc78ELc67EKPKdS3_KPdEEvlllT_PT11_llS8_llS6_PT12_llPT13_lli
    .private_segment_fixed_size: 0
    .sgpr_count:     56
    .sgpr_spill_count: 0
    .symbol:         _ZN12_GLOBAL__N_127rocblas_gemm_batched_kernelIdLi16ELi16ELi32ELi32ELi8ELi32ELi8ELi8ELi32ELc78ELc67EKPKdS3_KPdEEvlllT_PT11_llS8_llS6_PT12_llPT13_lli.kd
    .uniform_work_group_size: 1
    .uses_dynamic_stack: false
    .vgpr_count:     62
    .vgpr_spill_count: 0
    .wavefront_size: 64
  - .agpr_count:     0
    .args:
      - .offset:         0
        .size:           8
        .value_kind:     by_value
      - .offset:         8
        .size:           8
        .value_kind:     by_value
      - .offset:         16
        .size:           8
        .value_kind:     by_value
      - .offset:         24
        .size:           8
        .value_kind:     by_value
      - .address_space:  global
        .offset:         32
        .size:           8
        .value_kind:     global_buffer
      - .offset:         40
        .size:           8
        .value_kind:     by_value
      - .offset:         48
        .size:           8
        .value_kind:     by_value
      - .address_space:  global
        .offset:         56
        .size:           8
        .value_kind:     global_buffer
      - .offset:         64
        .size:           8
        .value_kind:     by_value
      - .offset:         72
        .size:           8
        .value_kind:     by_value
      - .offset:         80
        .size:           8
        .value_kind:     by_value
      - .address_space:  global
        .offset:         88
        .size:           8
        .value_kind:     global_buffer
      - .offset:         96
        .size:           8
        .value_kind:     by_value
      - .offset:         104
        .size:           8
        .value_kind:     by_value
      - .address_space:  global
        .offset:         112
        .size:           8
        .value_kind:     global_buffer
      - .offset:         120
        .size:           8
        .value_kind:     by_value
      - .offset:         128
        .size:           8
        .value_kind:     by_value
      - .offset:         136
        .size:           4
        .value_kind:     by_value
    .group_segment_fixed_size: 4096
    .kernarg_segment_align: 8
    .kernarg_segment_size: 140
    .language:       OpenCL C
    .language_version:
      - 2
      - 0
    .max_flat_workgroup_size: 256
    .name:           _ZN12_GLOBAL__N_127rocblas_gemm_batched_kernelIdLi16ELi16ELi32ELi32ELi8ELi32ELi8ELi8ELi32ELc84ELc67EKPKdS3_KPdEEvlllT_PT11_llS8_llS6_PT12_llPT13_lli
    .private_segment_fixed_size: 0
    .sgpr_count:     56
    .sgpr_spill_count: 0
    .symbol:         _ZN12_GLOBAL__N_127rocblas_gemm_batched_kernelIdLi16ELi16ELi32ELi32ELi8ELi32ELi8ELi8ELi32ELc84ELc67EKPKdS3_KPdEEvlllT_PT11_llS8_llS6_PT12_llPT13_lli.kd
    .uniform_work_group_size: 1
    .uses_dynamic_stack: false
    .vgpr_count:     62
    .vgpr_spill_count: 0
    .wavefront_size: 64
  - .agpr_count:     0
    .args:
      - .offset:         0
        .size:           8
        .value_kind:     by_value
      - .offset:         8
        .size:           8
        .value_kind:     by_value
      - .offset:         16
        .size:           8
        .value_kind:     by_value
      - .offset:         24
        .size:           8
        .value_kind:     by_value
      - .address_space:  global
        .offset:         32
        .size:           8
        .value_kind:     global_buffer
      - .offset:         40
        .size:           8
        .value_kind:     by_value
      - .offset:         48
        .size:           8
        .value_kind:     by_value
      - .address_space:  global
        .offset:         56
        .size:           8
        .value_kind:     global_buffer
      - .offset:         64
        .size:           8
        .value_kind:     by_value
      - .offset:         72
        .size:           8
        .value_kind:     by_value
      - .offset:         80
        .size:           8
        .value_kind:     by_value
      - .address_space:  global
        .offset:         88
        .size:           8
        .value_kind:     global_buffer
      - .offset:         96
        .size:           8
        .value_kind:     by_value
      - .offset:         104
        .size:           8
        .value_kind:     by_value
      - .address_space:  global
        .offset:         112
        .size:           8
        .value_kind:     global_buffer
      - .offset:         120
        .size:           8
        .value_kind:     by_value
      - .offset:         128
        .size:           8
        .value_kind:     by_value
      - .offset:         136
        .size:           4
        .value_kind:     by_value
    .group_segment_fixed_size: 4096
    .kernarg_segment_align: 8
    .kernarg_segment_size: 140
    .language:       OpenCL C
    .language_version:
      - 2
      - 0
    .max_flat_workgroup_size: 256
    .name:           _ZN12_GLOBAL__N_135rocblas_gemm_batched_general_kernelIdLi16ELi16ELi32ELi32ELi8ELi32ELi8ELi8ELi32ELc78ELc78EKPKdS3_KPdEEvlllT_PT11_llS8_llS6_PT12_llPT13_lli
    .private_segment_fixed_size: 0
    .sgpr_count:     56
    .sgpr_spill_count: 0
    .symbol:         _ZN12_GLOBAL__N_135rocblas_gemm_batched_general_kernelIdLi16ELi16ELi32ELi32ELi8ELi32ELi8ELi8ELi32ELc78ELc78EKPKdS3_KPdEEvlllT_PT11_llS8_llS6_PT12_llPT13_lli.kd
    .uniform_work_group_size: 1
    .uses_dynamic_stack: false
    .vgpr_count:     56
    .vgpr_spill_count: 0
    .wavefront_size: 64
  - .agpr_count:     0
    .args:
      - .offset:         0
        .size:           8
        .value_kind:     by_value
      - .offset:         8
        .size:           8
        .value_kind:     by_value
      - .offset:         16
        .size:           8
        .value_kind:     by_value
      - .offset:         24
        .size:           8
        .value_kind:     by_value
      - .address_space:  global
        .offset:         32
        .size:           8
        .value_kind:     global_buffer
      - .offset:         40
        .size:           8
        .value_kind:     by_value
      - .offset:         48
        .size:           8
        .value_kind:     by_value
      - .address_space:  global
        .offset:         56
        .size:           8
        .value_kind:     global_buffer
      - .offset:         64
        .size:           8
        .value_kind:     by_value
      - .offset:         72
        .size:           8
        .value_kind:     by_value
      - .offset:         80
        .size:           8
        .value_kind:     by_value
      - .address_space:  global
        .offset:         88
        .size:           8
        .value_kind:     global_buffer
      - .offset:         96
        .size:           8
        .value_kind:     by_value
      - .offset:         104
        .size:           8
        .value_kind:     by_value
      - .address_space:  global
        .offset:         112
        .size:           8
        .value_kind:     global_buffer
      - .offset:         120
        .size:           8
        .value_kind:     by_value
      - .offset:         128
        .size:           8
        .value_kind:     by_value
      - .offset:         136
        .size:           4
        .value_kind:     by_value
    .group_segment_fixed_size: 4096
    .kernarg_segment_align: 8
    .kernarg_segment_size: 140
    .language:       OpenCL C
    .language_version:
      - 2
      - 0
    .max_flat_workgroup_size: 256
    .name:           _ZN12_GLOBAL__N_135rocblas_gemm_batched_general_kernelIdLi16ELi16ELi32ELi32ELi8ELi32ELi8ELi8ELi32ELc84ELc78EKPKdS3_KPdEEvlllT_PT11_llS8_llS6_PT12_llPT13_lli
    .private_segment_fixed_size: 0
    .sgpr_count:     56
    .sgpr_spill_count: 0
    .symbol:         _ZN12_GLOBAL__N_135rocblas_gemm_batched_general_kernelIdLi16ELi16ELi32ELi32ELi8ELi32ELi8ELi8ELi32ELc84ELc78EKPKdS3_KPdEEvlllT_PT11_llS8_llS6_PT12_llPT13_lli.kd
    .uniform_work_group_size: 1
    .uses_dynamic_stack: false
    .vgpr_count:     58
    .vgpr_spill_count: 0
    .wavefront_size: 64
  - .agpr_count:     0
    .args:
      - .offset:         0
        .size:           8
        .value_kind:     by_value
      - .offset:         8
        .size:           8
        .value_kind:     by_value
      - .offset:         16
        .size:           8
        .value_kind:     by_value
      - .offset:         24
        .size:           8
        .value_kind:     by_value
      - .address_space:  global
        .offset:         32
        .size:           8
        .value_kind:     global_buffer
      - .offset:         40
        .size:           8
        .value_kind:     by_value
      - .offset:         48
        .size:           8
        .value_kind:     by_value
      - .address_space:  global
        .offset:         56
        .size:           8
        .value_kind:     global_buffer
      - .offset:         64
        .size:           8
        .value_kind:     by_value
      - .offset:         72
        .size:           8
        .value_kind:     by_value
      - .offset:         80
        .size:           8
        .value_kind:     by_value
      - .address_space:  global
        .offset:         88
        .size:           8
        .value_kind:     global_buffer
      - .offset:         96
        .size:           8
        .value_kind:     by_value
      - .offset:         104
        .size:           8
        .value_kind:     by_value
      - .address_space:  global
        .offset:         112
        .size:           8
        .value_kind:     global_buffer
      - .offset:         120
        .size:           8
        .value_kind:     by_value
      - .offset:         128
        .size:           8
        .value_kind:     by_value
      - .offset:         136
        .size:           4
        .value_kind:     by_value
    .group_segment_fixed_size: 4096
    .kernarg_segment_align: 8
    .kernarg_segment_size: 140
    .language:       OpenCL C
    .language_version:
      - 2
      - 0
    .max_flat_workgroup_size: 256
    .name:           _ZN12_GLOBAL__N_135rocblas_gemm_batched_general_kernelIdLi16ELi16ELi32ELi32ELi8ELi32ELi8ELi8ELi32ELc78ELc84EKPKdS3_KPdEEvlllT_PT11_llS8_llS6_PT12_llPT13_lli
    .private_segment_fixed_size: 0
    .sgpr_count:     58
    .sgpr_spill_count: 0
    .symbol:         _ZN12_GLOBAL__N_135rocblas_gemm_batched_general_kernelIdLi16ELi16ELi32ELi32ELi8ELi32ELi8ELi8ELi32ELc78ELc84EKPKdS3_KPdEEvlllT_PT11_llS8_llS6_PT12_llPT13_lli.kd
    .uniform_work_group_size: 1
    .uses_dynamic_stack: false
    .vgpr_count:     56
    .vgpr_spill_count: 0
    .wavefront_size: 64
  - .agpr_count:     0
    .args:
      - .offset:         0
        .size:           8
        .value_kind:     by_value
      - .offset:         8
        .size:           8
        .value_kind:     by_value
      - .offset:         16
        .size:           8
        .value_kind:     by_value
      - .offset:         24
        .size:           8
        .value_kind:     by_value
      - .address_space:  global
        .offset:         32
        .size:           8
        .value_kind:     global_buffer
      - .offset:         40
        .size:           8
        .value_kind:     by_value
      - .offset:         48
        .size:           8
        .value_kind:     by_value
      - .address_space:  global
        .offset:         56
        .size:           8
        .value_kind:     global_buffer
      - .offset:         64
        .size:           8
        .value_kind:     by_value
      - .offset:         72
        .size:           8
        .value_kind:     by_value
      - .offset:         80
        .size:           8
        .value_kind:     by_value
      - .address_space:  global
        .offset:         88
        .size:           8
        .value_kind:     global_buffer
      - .offset:         96
        .size:           8
        .value_kind:     by_value
      - .offset:         104
        .size:           8
        .value_kind:     by_value
      - .address_space:  global
        .offset:         112
        .size:           8
        .value_kind:     global_buffer
      - .offset:         120
        .size:           8
        .value_kind:     by_value
      - .offset:         128
        .size:           8
        .value_kind:     by_value
      - .offset:         136
        .size:           4
        .value_kind:     by_value
    .group_segment_fixed_size: 4096
    .kernarg_segment_align: 8
    .kernarg_segment_size: 140
    .language:       OpenCL C
    .language_version:
      - 2
      - 0
    .max_flat_workgroup_size: 256
    .name:           _ZN12_GLOBAL__N_135rocblas_gemm_batched_general_kernelIdLi16ELi16ELi32ELi32ELi8ELi32ELi8ELi8ELi32ELc84ELc84EKPKdS3_KPdEEvlllT_PT11_llS8_llS6_PT12_llPT13_lli
    .private_segment_fixed_size: 0
    .sgpr_count:     56
    .sgpr_spill_count: 0
    .symbol:         _ZN12_GLOBAL__N_135rocblas_gemm_batched_general_kernelIdLi16ELi16ELi32ELi32ELi8ELi32ELi8ELi8ELi32ELc84ELc84EKPKdS3_KPdEEvlllT_PT11_llS8_llS6_PT12_llPT13_lli.kd
    .uniform_work_group_size: 1
    .uses_dynamic_stack: false
    .vgpr_count:     58
    .vgpr_spill_count: 0
    .wavefront_size: 64
  - .agpr_count:     0
    .args:
      - .offset:         0
        .size:           8
        .value_kind:     by_value
      - .offset:         8
        .size:           8
        .value_kind:     by_value
      - .offset:         16
        .size:           8
        .value_kind:     by_value
      - .offset:         24
        .size:           8
        .value_kind:     by_value
      - .address_space:  global
        .offset:         32
        .size:           8
        .value_kind:     global_buffer
      - .offset:         40
        .size:           8
        .value_kind:     by_value
      - .offset:         48
        .size:           8
        .value_kind:     by_value
      - .address_space:  global
        .offset:         56
        .size:           8
        .value_kind:     global_buffer
      - .offset:         64
        .size:           8
        .value_kind:     by_value
      - .offset:         72
        .size:           8
        .value_kind:     by_value
      - .offset:         80
        .size:           8
        .value_kind:     by_value
      - .address_space:  global
        .offset:         88
        .size:           8
        .value_kind:     global_buffer
      - .offset:         96
        .size:           8
        .value_kind:     by_value
      - .offset:         104
        .size:           8
        .value_kind:     by_value
      - .address_space:  global
        .offset:         112
        .size:           8
        .value_kind:     global_buffer
      - .offset:         120
        .size:           8
        .value_kind:     by_value
      - .offset:         128
        .size:           8
        .value_kind:     by_value
      - .offset:         136
        .size:           4
        .value_kind:     by_value
    .group_segment_fixed_size: 4096
    .kernarg_segment_align: 8
    .kernarg_segment_size: 140
    .language:       OpenCL C
    .language_version:
      - 2
      - 0
    .max_flat_workgroup_size: 256
    .name:           _ZN12_GLOBAL__N_135rocblas_gemm_batched_general_kernelIdLi16ELi16ELi32ELi32ELi8ELi32ELi8ELi8ELi32ELc67ELc67EKPKdS3_KPdEEvlllT_PT11_llS8_llS6_PT12_llPT13_lli
    .private_segment_fixed_size: 0
    .sgpr_count:     56
    .sgpr_spill_count: 0
    .symbol:         _ZN12_GLOBAL__N_135rocblas_gemm_batched_general_kernelIdLi16ELi16ELi32ELi32ELi8ELi32ELi8ELi8ELi32ELc67ELc67EKPKdS3_KPdEEvlllT_PT11_llS8_llS6_PT12_llPT13_lli.kd
    .uniform_work_group_size: 1
    .uses_dynamic_stack: false
    .vgpr_count:     58
    .vgpr_spill_count: 0
    .wavefront_size: 64
  - .agpr_count:     0
    .args:
      - .offset:         0
        .size:           8
        .value_kind:     by_value
      - .offset:         8
        .size:           8
        .value_kind:     by_value
      - .offset:         16
        .size:           8
        .value_kind:     by_value
      - .offset:         24
        .size:           8
        .value_kind:     by_value
      - .address_space:  global
        .offset:         32
        .size:           8
        .value_kind:     global_buffer
      - .offset:         40
        .size:           8
        .value_kind:     by_value
      - .offset:         48
        .size:           8
        .value_kind:     by_value
      - .address_space:  global
        .offset:         56
        .size:           8
        .value_kind:     global_buffer
      - .offset:         64
        .size:           8
        .value_kind:     by_value
      - .offset:         72
        .size:           8
        .value_kind:     by_value
      - .offset:         80
        .size:           8
        .value_kind:     by_value
      - .address_space:  global
        .offset:         88
        .size:           8
        .value_kind:     global_buffer
      - .offset:         96
        .size:           8
        .value_kind:     by_value
      - .offset:         104
        .size:           8
        .value_kind:     by_value
      - .address_space:  global
        .offset:         112
        .size:           8
        .value_kind:     global_buffer
      - .offset:         120
        .size:           8
        .value_kind:     by_value
      - .offset:         128
        .size:           8
        .value_kind:     by_value
      - .offset:         136
        .size:           4
        .value_kind:     by_value
    .group_segment_fixed_size: 4096
    .kernarg_segment_align: 8
    .kernarg_segment_size: 140
    .language:       OpenCL C
    .language_version:
      - 2
      - 0
    .max_flat_workgroup_size: 256
    .name:           _ZN12_GLOBAL__N_135rocblas_gemm_batched_general_kernelIdLi16ELi16ELi32ELi32ELi8ELi32ELi8ELi8ELi32ELc67ELc78EKPKdS3_KPdEEvlllT_PT11_llS8_llS6_PT12_llPT13_lli
    .private_segment_fixed_size: 0
    .sgpr_count:     56
    .sgpr_spill_count: 0
    .symbol:         _ZN12_GLOBAL__N_135rocblas_gemm_batched_general_kernelIdLi16ELi16ELi32ELi32ELi8ELi32ELi8ELi8ELi32ELc67ELc78EKPKdS3_KPdEEvlllT_PT11_llS8_llS6_PT12_llPT13_lli.kd
    .uniform_work_group_size: 1
    .uses_dynamic_stack: false
    .vgpr_count:     58
    .vgpr_spill_count: 0
    .wavefront_size: 64
  - .agpr_count:     0
    .args:
      - .offset:         0
        .size:           8
        .value_kind:     by_value
      - .offset:         8
        .size:           8
        .value_kind:     by_value
      - .offset:         16
        .size:           8
        .value_kind:     by_value
      - .offset:         24
        .size:           8
        .value_kind:     by_value
      - .address_space:  global
        .offset:         32
        .size:           8
        .value_kind:     global_buffer
      - .offset:         40
        .size:           8
        .value_kind:     by_value
      - .offset:         48
        .size:           8
        .value_kind:     by_value
      - .address_space:  global
        .offset:         56
        .size:           8
        .value_kind:     global_buffer
      - .offset:         64
        .size:           8
        .value_kind:     by_value
      - .offset:         72
        .size:           8
        .value_kind:     by_value
      - .offset:         80
        .size:           8
        .value_kind:     by_value
      - .address_space:  global
        .offset:         88
        .size:           8
        .value_kind:     global_buffer
      - .offset:         96
        .size:           8
        .value_kind:     by_value
      - .offset:         104
        .size:           8
        .value_kind:     by_value
      - .address_space:  global
        .offset:         112
        .size:           8
        .value_kind:     global_buffer
      - .offset:         120
        .size:           8
        .value_kind:     by_value
      - .offset:         128
        .size:           8
        .value_kind:     by_value
      - .offset:         136
        .size:           4
        .value_kind:     by_value
    .group_segment_fixed_size: 4096
    .kernarg_segment_align: 8
    .kernarg_segment_size: 140
    .language:       OpenCL C
    .language_version:
      - 2
      - 0
    .max_flat_workgroup_size: 256
    .name:           _ZN12_GLOBAL__N_135rocblas_gemm_batched_general_kernelIdLi16ELi16ELi32ELi32ELi8ELi32ELi8ELi8ELi32ELc67ELc84EKPKdS3_KPdEEvlllT_PT11_llS8_llS6_PT12_llPT13_lli
    .private_segment_fixed_size: 0
    .sgpr_count:     56
    .sgpr_spill_count: 0
    .symbol:         _ZN12_GLOBAL__N_135rocblas_gemm_batched_general_kernelIdLi16ELi16ELi32ELi32ELi8ELi32ELi8ELi8ELi32ELc67ELc84EKPKdS3_KPdEEvlllT_PT11_llS8_llS6_PT12_llPT13_lli.kd
    .uniform_work_group_size: 1
    .uses_dynamic_stack: false
    .vgpr_count:     58
    .vgpr_spill_count: 0
    .wavefront_size: 64
  - .agpr_count:     0
    .args:
      - .offset:         0
        .size:           8
        .value_kind:     by_value
      - .offset:         8
        .size:           8
        .value_kind:     by_value
      - .offset:         16
        .size:           8
        .value_kind:     by_value
      - .offset:         24
        .size:           8
        .value_kind:     by_value
      - .address_space:  global
        .offset:         32
        .size:           8
        .value_kind:     global_buffer
      - .offset:         40
        .size:           8
        .value_kind:     by_value
      - .offset:         48
        .size:           8
        .value_kind:     by_value
      - .address_space:  global
        .offset:         56
        .size:           8
        .value_kind:     global_buffer
      - .offset:         64
        .size:           8
        .value_kind:     by_value
      - .offset:         72
        .size:           8
        .value_kind:     by_value
      - .offset:         80
        .size:           8
        .value_kind:     by_value
      - .address_space:  global
        .offset:         88
        .size:           8
        .value_kind:     global_buffer
      - .offset:         96
        .size:           8
        .value_kind:     by_value
      - .offset:         104
        .size:           8
        .value_kind:     by_value
      - .address_space:  global
        .offset:         112
        .size:           8
        .value_kind:     global_buffer
      - .offset:         120
        .size:           8
        .value_kind:     by_value
      - .offset:         128
        .size:           8
        .value_kind:     by_value
      - .offset:         136
        .size:           4
        .value_kind:     by_value
    .group_segment_fixed_size: 4096
    .kernarg_segment_align: 8
    .kernarg_segment_size: 140
    .language:       OpenCL C
    .language_version:
      - 2
      - 0
    .max_flat_workgroup_size: 256
    .name:           _ZN12_GLOBAL__N_135rocblas_gemm_batched_general_kernelIdLi16ELi16ELi32ELi32ELi8ELi32ELi8ELi8ELi32ELc78ELc67EKPKdS3_KPdEEvlllT_PT11_llS8_llS6_PT12_llPT13_lli
    .private_segment_fixed_size: 0
    .sgpr_count:     58
    .sgpr_spill_count: 0
    .symbol:         _ZN12_GLOBAL__N_135rocblas_gemm_batched_general_kernelIdLi16ELi16ELi32ELi32ELi8ELi32ELi8ELi8ELi32ELc78ELc67EKPKdS3_KPdEEvlllT_PT11_llS8_llS6_PT12_llPT13_lli.kd
    .uniform_work_group_size: 1
    .uses_dynamic_stack: false
    .vgpr_count:     56
    .vgpr_spill_count: 0
    .wavefront_size: 64
  - .agpr_count:     0
    .args:
      - .offset:         0
        .size:           8
        .value_kind:     by_value
      - .offset:         8
        .size:           8
        .value_kind:     by_value
      - .offset:         16
        .size:           8
        .value_kind:     by_value
      - .offset:         24
        .size:           8
        .value_kind:     by_value
      - .address_space:  global
        .offset:         32
        .size:           8
        .value_kind:     global_buffer
      - .offset:         40
        .size:           8
        .value_kind:     by_value
      - .offset:         48
        .size:           8
        .value_kind:     by_value
      - .address_space:  global
        .offset:         56
        .size:           8
        .value_kind:     global_buffer
      - .offset:         64
        .size:           8
        .value_kind:     by_value
      - .offset:         72
        .size:           8
        .value_kind:     by_value
      - .offset:         80
        .size:           8
        .value_kind:     by_value
      - .address_space:  global
        .offset:         88
        .size:           8
        .value_kind:     global_buffer
      - .offset:         96
        .size:           8
        .value_kind:     by_value
      - .offset:         104
        .size:           8
        .value_kind:     by_value
      - .address_space:  global
        .offset:         112
        .size:           8
        .value_kind:     global_buffer
      - .offset:         120
        .size:           8
        .value_kind:     by_value
      - .offset:         128
        .size:           8
        .value_kind:     by_value
      - .offset:         136
        .size:           4
        .value_kind:     by_value
    .group_segment_fixed_size: 4096
    .kernarg_segment_align: 8
    .kernarg_segment_size: 140
    .language:       OpenCL C
    .language_version:
      - 2
      - 0
    .max_flat_workgroup_size: 256
    .name:           _ZN12_GLOBAL__N_135rocblas_gemm_batched_general_kernelIdLi16ELi16ELi32ELi32ELi8ELi32ELi8ELi8ELi32ELc84ELc67EKPKdS3_KPdEEvlllT_PT11_llS8_llS6_PT12_llPT13_lli
    .private_segment_fixed_size: 0
    .sgpr_count:     56
    .sgpr_spill_count: 0
    .symbol:         _ZN12_GLOBAL__N_135rocblas_gemm_batched_general_kernelIdLi16ELi16ELi32ELi32ELi8ELi32ELi8ELi8ELi32ELc84ELc67EKPKdS3_KPdEEvlllT_PT11_llS8_llS6_PT12_llPT13_lli.kd
    .uniform_work_group_size: 1
    .uses_dynamic_stack: false
    .vgpr_count:     58
    .vgpr_spill_count: 0
    .wavefront_size: 64
  - .agpr_count:     0
    .args:
      - .offset:         0
        .size:           4
        .value_kind:     by_value
      - .offset:         4
        .size:           4
        .value_kind:     by_value
      - .offset:         8
        .size:           8
        .value_kind:     by_value
      - .address_space:  global
        .offset:         16
        .size:           8
        .value_kind:     global_buffer
      - .offset:         24
        .size:           8
        .value_kind:     by_value
      - .offset:         32
        .size:           8
        .value_kind:     by_value
      - .offset:         40
        .size:           8
        .value_kind:     by_value
      - .offset:         48
        .size:           4
        .value_kind:     by_value
    .group_segment_fixed_size: 0
    .kernarg_segment_align: 8
    .kernarg_segment_size: 52
    .language:       OpenCL C
    .language_version:
      - 2
      - 0
    .max_flat_workgroup_size: 1024
    .name:           _ZN12_GLOBAL__N_125rocblas_gemm_scale_kernelILi32ELi32E19rocblas_complex_numIfEPKPS2_EEviiT1_T2_llli
    .private_segment_fixed_size: 0
    .sgpr_count:     20
    .sgpr_spill_count: 0
    .symbol:         _ZN12_GLOBAL__N_125rocblas_gemm_scale_kernelILi32ELi32E19rocblas_complex_numIfEPKPS2_EEviiT1_T2_llli.kd
    .uniform_work_group_size: 1
    .uses_dynamic_stack: false
    .vgpr_count:     10
    .vgpr_spill_count: 0
    .wavefront_size: 64
  - .agpr_count:     0
    .args:
      - .offset:         0
        .size:           4
        .value_kind:     by_value
      - .offset:         4
        .size:           4
        .value_kind:     by_value
      - .offset:         8
        .size:           8
        .value_kind:     by_value
      - .address_space:  global
        .offset:         16
        .size:           8
        .value_kind:     global_buffer
      - .offset:         24
        .size:           8
        .value_kind:     by_value
      - .offset:         32
        .size:           8
        .value_kind:     by_value
      - .offset:         40
        .size:           8
        .value_kind:     by_value
      - .address_space:  global
        .offset:         48
        .size:           8
        .value_kind:     global_buffer
      - .offset:         56
        .size:           8
        .value_kind:     by_value
      - .offset:         64
        .size:           8
        .value_kind:     by_value
      - .offset:         72
        .size:           8
        .value_kind:     by_value
      - .offset:         80
        .size:           4
        .value_kind:     by_value
    .group_segment_fixed_size: 0
    .kernarg_segment_align: 8
    .kernarg_segment_size: 84
    .language:       OpenCL C
    .language_version:
      - 2
      - 0
    .max_flat_workgroup_size: 1024
    .name:           _ZN12_GLOBAL__N_120gemm_ex_scale_kernelILi32ELi32E19rocblas_complex_numIfEPKPKS2_PKPS2_EEviiT1_T2_lllT3_llli
    .private_segment_fixed_size: 0
    .sgpr_count:     26
    .sgpr_spill_count: 0
    .symbol:         _ZN12_GLOBAL__N_120gemm_ex_scale_kernelILi32ELi32E19rocblas_complex_numIfEPKPKS2_PKPS2_EEviiT1_T2_lllT3_llli.kd
    .uniform_work_group_size: 1
    .uses_dynamic_stack: false
    .vgpr_count:     10
    .vgpr_spill_count: 0
    .wavefront_size: 64
  - .agpr_count:     0
    .args:
      - .offset:         0
        .size:           8
        .value_kind:     by_value
      - .offset:         8
        .size:           8
        .value_kind:     by_value
      - .offset:         16
        .size:           8
        .value_kind:     by_value
      - .offset:         24
        .size:           8
        .value_kind:     by_value
      - .address_space:  global
        .offset:         32
        .size:           8
        .value_kind:     global_buffer
      - .offset:         40
        .size:           8
        .value_kind:     by_value
      - .offset:         48
        .size:           8
        .value_kind:     by_value
      - .address_space:  global
        .offset:         56
        .size:           8
        .value_kind:     global_buffer
      - .offset:         64
        .size:           8
        .value_kind:     by_value
      - .offset:         72
        .size:           8
        .value_kind:     by_value
      - .offset:         80
        .size:           8
        .value_kind:     by_value
      - .address_space:  global
        .offset:         88
        .size:           8
        .value_kind:     global_buffer
      - .offset:         96
        .size:           8
        .value_kind:     by_value
      - .offset:         104
        .size:           8
        .value_kind:     by_value
      - .address_space:  global
        .offset:         112
        .size:           8
        .value_kind:     global_buffer
      - .offset:         120
        .size:           8
        .value_kind:     by_value
      - .offset:         128
        .size:           8
        .value_kind:     by_value
      - .offset:         136
        .size:           4
        .value_kind:     by_value
    .group_segment_fixed_size: 4096
    .kernarg_segment_align: 8
    .kernarg_segment_size: 140
    .language:       OpenCL C
    .language_version:
      - 2
      - 0
    .max_flat_workgroup_size: 256
    .name:           _ZN12_GLOBAL__N_127rocblas_gemm_batched_kernelI19rocblas_complex_numIfELi16ELi16ELi64ELi64ELi4ELi64ELi4ELi4ELi64ELc78ELc78EKPKS2_S5_KPS2_EEvlllT_PT11_llSA_llS8_PT12_llPT13_lli
    .private_segment_fixed_size: 0
    .sgpr_count:     48
    .sgpr_spill_count: 0
    .symbol:         _ZN12_GLOBAL__N_127rocblas_gemm_batched_kernelI19rocblas_complex_numIfELi16ELi16ELi64ELi64ELi4ELi64ELi4ELi4ELi64ELc78ELc78EKPKS2_S5_KPS2_EEvlllT_PT11_llSA_llS8_PT12_llPT13_lli.kd
    .uniform_work_group_size: 1
    .uses_dynamic_stack: false
    .vgpr_count:     90
    .vgpr_spill_count: 0
    .wavefront_size: 64
  - .agpr_count:     0
    .args:
      - .offset:         0
        .size:           8
        .value_kind:     by_value
      - .offset:         8
        .size:           8
        .value_kind:     by_value
      - .offset:         16
        .size:           8
        .value_kind:     by_value
      - .offset:         24
        .size:           8
        .value_kind:     by_value
      - .address_space:  global
        .offset:         32
        .size:           8
        .value_kind:     global_buffer
      - .offset:         40
        .size:           8
        .value_kind:     by_value
      - .offset:         48
        .size:           8
        .value_kind:     by_value
      - .address_space:  global
        .offset:         56
        .size:           8
        .value_kind:     global_buffer
      - .offset:         64
        .size:           8
        .value_kind:     by_value
      - .offset:         72
        .size:           8
        .value_kind:     by_value
      - .offset:         80
        .size:           8
        .value_kind:     by_value
      - .address_space:  global
        .offset:         88
        .size:           8
        .value_kind:     global_buffer
      - .offset:         96
        .size:           8
        .value_kind:     by_value
      - .offset:         104
        .size:           8
        .value_kind:     by_value
      - .address_space:  global
        .offset:         112
        .size:           8
        .value_kind:     global_buffer
      - .offset:         120
        .size:           8
        .value_kind:     by_value
      - .offset:         128
        .size:           8
        .value_kind:     by_value
      - .offset:         136
        .size:           4
        .value_kind:     by_value
    .group_segment_fixed_size: 4096
    .kernarg_segment_align: 8
    .kernarg_segment_size: 140
    .language:       OpenCL C
    .language_version:
      - 2
      - 0
    .max_flat_workgroup_size: 256
    .name:           _ZN12_GLOBAL__N_127rocblas_gemm_batched_kernelI19rocblas_complex_numIfELi16ELi16ELi64ELi64ELi4ELi64ELi4ELi4ELi64ELc84ELc78EKPKS2_S5_KPS2_EEvlllT_PT11_llSA_llS8_PT12_llPT13_lli
    .private_segment_fixed_size: 0
    .sgpr_count:     48
    .sgpr_spill_count: 0
    .symbol:         _ZN12_GLOBAL__N_127rocblas_gemm_batched_kernelI19rocblas_complex_numIfELi16ELi16ELi64ELi64ELi4ELi64ELi4ELi4ELi64ELc84ELc78EKPKS2_S5_KPS2_EEvlllT_PT11_llSA_llS8_PT12_llPT13_lli.kd
    .uniform_work_group_size: 1
    .uses_dynamic_stack: false
    .vgpr_count:     88
    .vgpr_spill_count: 0
    .wavefront_size: 64
  - .agpr_count:     0
    .args:
      - .offset:         0
        .size:           8
        .value_kind:     by_value
      - .offset:         8
        .size:           8
        .value_kind:     by_value
      - .offset:         16
        .size:           8
        .value_kind:     by_value
      - .offset:         24
        .size:           8
        .value_kind:     by_value
      - .address_space:  global
        .offset:         32
        .size:           8
        .value_kind:     global_buffer
      - .offset:         40
        .size:           8
        .value_kind:     by_value
      - .offset:         48
        .size:           8
        .value_kind:     by_value
      - .address_space:  global
        .offset:         56
        .size:           8
        .value_kind:     global_buffer
      - .offset:         64
        .size:           8
        .value_kind:     by_value
      - .offset:         72
        .size:           8
        .value_kind:     by_value
      - .offset:         80
        .size:           8
        .value_kind:     by_value
      - .address_space:  global
        .offset:         88
        .size:           8
        .value_kind:     global_buffer
      - .offset:         96
        .size:           8
        .value_kind:     by_value
      - .offset:         104
        .size:           8
        .value_kind:     by_value
      - .address_space:  global
        .offset:         112
        .size:           8
        .value_kind:     global_buffer
      - .offset:         120
        .size:           8
        .value_kind:     by_value
      - .offset:         128
        .size:           8
        .value_kind:     by_value
      - .offset:         136
        .size:           4
        .value_kind:     by_value
    .group_segment_fixed_size: 4096
    .kernarg_segment_align: 8
    .kernarg_segment_size: 140
    .language:       OpenCL C
    .language_version:
      - 2
      - 0
    .max_flat_workgroup_size: 256
    .name:           _ZN12_GLOBAL__N_127rocblas_gemm_batched_kernelI19rocblas_complex_numIfELi16ELi16ELi64ELi64ELi4ELi64ELi4ELi4ELi64ELc78ELc84EKPKS2_S5_KPS2_EEvlllT_PT11_llSA_llS8_PT12_llPT13_lli
    .private_segment_fixed_size: 0
    .sgpr_count:     48
    .sgpr_spill_count: 0
    .symbol:         _ZN12_GLOBAL__N_127rocblas_gemm_batched_kernelI19rocblas_complex_numIfELi16ELi16ELi64ELi64ELi4ELi64ELi4ELi4ELi64ELc78ELc84EKPKS2_S5_KPS2_EEvlllT_PT11_llSA_llS8_PT12_llPT13_lli.kd
    .uniform_work_group_size: 1
    .uses_dynamic_stack: false
    .vgpr_count:     90
    .vgpr_spill_count: 0
    .wavefront_size: 64
  - .agpr_count:     0
    .args:
      - .offset:         0
        .size:           8
        .value_kind:     by_value
      - .offset:         8
        .size:           8
        .value_kind:     by_value
      - .offset:         16
        .size:           8
        .value_kind:     by_value
      - .offset:         24
        .size:           8
        .value_kind:     by_value
      - .address_space:  global
        .offset:         32
        .size:           8
        .value_kind:     global_buffer
      - .offset:         40
        .size:           8
        .value_kind:     by_value
      - .offset:         48
        .size:           8
        .value_kind:     by_value
      - .address_space:  global
        .offset:         56
        .size:           8
        .value_kind:     global_buffer
      - .offset:         64
        .size:           8
        .value_kind:     by_value
      - .offset:         72
        .size:           8
        .value_kind:     by_value
      - .offset:         80
        .size:           8
        .value_kind:     by_value
      - .address_space:  global
        .offset:         88
        .size:           8
        .value_kind:     global_buffer
      - .offset:         96
        .size:           8
        .value_kind:     by_value
      - .offset:         104
        .size:           8
        .value_kind:     by_value
      - .address_space:  global
        .offset:         112
        .size:           8
        .value_kind:     global_buffer
      - .offset:         120
        .size:           8
        .value_kind:     by_value
      - .offset:         128
        .size:           8
        .value_kind:     by_value
      - .offset:         136
        .size:           4
        .value_kind:     by_value
    .group_segment_fixed_size: 4096
    .kernarg_segment_align: 8
    .kernarg_segment_size: 140
    .language:       OpenCL C
    .language_version:
      - 2
      - 0
    .max_flat_workgroup_size: 256
    .name:           _ZN12_GLOBAL__N_127rocblas_gemm_batched_kernelI19rocblas_complex_numIfELi16ELi16ELi64ELi64ELi4ELi64ELi4ELi4ELi64ELc84ELc84EKPKS2_S5_KPS2_EEvlllT_PT11_llSA_llS8_PT12_llPT13_lli
    .private_segment_fixed_size: 0
    .sgpr_count:     48
    .sgpr_spill_count: 0
    .symbol:         _ZN12_GLOBAL__N_127rocblas_gemm_batched_kernelI19rocblas_complex_numIfELi16ELi16ELi64ELi64ELi4ELi64ELi4ELi4ELi64ELc84ELc84EKPKS2_S5_KPS2_EEvlllT_PT11_llSA_llS8_PT12_llPT13_lli.kd
    .uniform_work_group_size: 1
    .uses_dynamic_stack: false
    .vgpr_count:     90
    .vgpr_spill_count: 0
    .wavefront_size: 64
  - .agpr_count:     0
    .args:
      - .offset:         0
        .size:           8
        .value_kind:     by_value
      - .offset:         8
        .size:           8
        .value_kind:     by_value
      - .offset:         16
        .size:           8
        .value_kind:     by_value
      - .offset:         24
        .size:           8
        .value_kind:     by_value
      - .address_space:  global
        .offset:         32
        .size:           8
        .value_kind:     global_buffer
      - .offset:         40
        .size:           8
        .value_kind:     by_value
      - .offset:         48
        .size:           8
        .value_kind:     by_value
      - .address_space:  global
        .offset:         56
        .size:           8
        .value_kind:     global_buffer
      - .offset:         64
        .size:           8
        .value_kind:     by_value
      - .offset:         72
        .size:           8
        .value_kind:     by_value
      - .offset:         80
        .size:           8
        .value_kind:     by_value
      - .address_space:  global
        .offset:         88
        .size:           8
        .value_kind:     global_buffer
      - .offset:         96
        .size:           8
        .value_kind:     by_value
      - .offset:         104
        .size:           8
        .value_kind:     by_value
      - .address_space:  global
        .offset:         112
        .size:           8
        .value_kind:     global_buffer
      - .offset:         120
        .size:           8
        .value_kind:     by_value
      - .offset:         128
        .size:           8
        .value_kind:     by_value
      - .offset:         136
        .size:           4
        .value_kind:     by_value
    .group_segment_fixed_size: 4096
    .kernarg_segment_align: 8
    .kernarg_segment_size: 140
    .language:       OpenCL C
    .language_version:
      - 2
      - 0
    .max_flat_workgroup_size: 256
    .name:           _ZN12_GLOBAL__N_127rocblas_gemm_batched_kernelI19rocblas_complex_numIfELi16ELi16ELi64ELi64ELi4ELi64ELi4ELi4ELi64ELc67ELc67EKPKS2_S5_KPS2_EEvlllT_PT11_llSA_llS8_PT12_llPT13_lli
    .private_segment_fixed_size: 0
    .sgpr_count:     48
    .sgpr_spill_count: 0
    .symbol:         _ZN12_GLOBAL__N_127rocblas_gemm_batched_kernelI19rocblas_complex_numIfELi16ELi16ELi64ELi64ELi4ELi64ELi4ELi4ELi64ELc67ELc67EKPKS2_S5_KPS2_EEvlllT_PT11_llSA_llS8_PT12_llPT13_lli.kd
    .uniform_work_group_size: 1
    .uses_dynamic_stack: false
    .vgpr_count:     90
    .vgpr_spill_count: 0
    .wavefront_size: 64
  - .agpr_count:     0
    .args:
      - .offset:         0
        .size:           8
        .value_kind:     by_value
      - .offset:         8
        .size:           8
        .value_kind:     by_value
      - .offset:         16
        .size:           8
        .value_kind:     by_value
      - .offset:         24
        .size:           8
        .value_kind:     by_value
      - .address_space:  global
        .offset:         32
        .size:           8
        .value_kind:     global_buffer
      - .offset:         40
        .size:           8
        .value_kind:     by_value
      - .offset:         48
        .size:           8
        .value_kind:     by_value
      - .address_space:  global
        .offset:         56
        .size:           8
        .value_kind:     global_buffer
      - .offset:         64
        .size:           8
        .value_kind:     by_value
      - .offset:         72
        .size:           8
        .value_kind:     by_value
      - .offset:         80
        .size:           8
        .value_kind:     by_value
      - .address_space:  global
        .offset:         88
        .size:           8
        .value_kind:     global_buffer
      - .offset:         96
        .size:           8
        .value_kind:     by_value
      - .offset:         104
        .size:           8
        .value_kind:     by_value
      - .address_space:  global
        .offset:         112
        .size:           8
        .value_kind:     global_buffer
      - .offset:         120
        .size:           8
        .value_kind:     by_value
      - .offset:         128
        .size:           8
        .value_kind:     by_value
      - .offset:         136
        .size:           4
        .value_kind:     by_value
    .group_segment_fixed_size: 4096
    .kernarg_segment_align: 8
    .kernarg_segment_size: 140
    .language:       OpenCL C
    .language_version:
      - 2
      - 0
    .max_flat_workgroup_size: 256
    .name:           _ZN12_GLOBAL__N_127rocblas_gemm_batched_kernelI19rocblas_complex_numIfELi16ELi16ELi64ELi64ELi4ELi64ELi4ELi4ELi64ELc67ELc78EKPKS2_S5_KPS2_EEvlllT_PT11_llSA_llS8_PT12_llPT13_lli
    .private_segment_fixed_size: 0
    .sgpr_count:     48
    .sgpr_spill_count: 0
    .symbol:         _ZN12_GLOBAL__N_127rocblas_gemm_batched_kernelI19rocblas_complex_numIfELi16ELi16ELi64ELi64ELi4ELi64ELi4ELi4ELi64ELc67ELc78EKPKS2_S5_KPS2_EEvlllT_PT11_llSA_llS8_PT12_llPT13_lli.kd
    .uniform_work_group_size: 1
    .uses_dynamic_stack: false
    .vgpr_count:     88
    .vgpr_spill_count: 0
    .wavefront_size: 64
  - .agpr_count:     0
    .args:
      - .offset:         0
        .size:           8
        .value_kind:     by_value
      - .offset:         8
        .size:           8
        .value_kind:     by_value
      - .offset:         16
        .size:           8
        .value_kind:     by_value
      - .offset:         24
        .size:           8
        .value_kind:     by_value
      - .address_space:  global
        .offset:         32
        .size:           8
        .value_kind:     global_buffer
      - .offset:         40
        .size:           8
        .value_kind:     by_value
      - .offset:         48
        .size:           8
        .value_kind:     by_value
      - .address_space:  global
        .offset:         56
        .size:           8
        .value_kind:     global_buffer
      - .offset:         64
        .size:           8
        .value_kind:     by_value
      - .offset:         72
        .size:           8
        .value_kind:     by_value
      - .offset:         80
        .size:           8
        .value_kind:     by_value
      - .address_space:  global
        .offset:         88
        .size:           8
        .value_kind:     global_buffer
      - .offset:         96
        .size:           8
        .value_kind:     by_value
      - .offset:         104
        .size:           8
        .value_kind:     by_value
      - .address_space:  global
        .offset:         112
        .size:           8
        .value_kind:     global_buffer
      - .offset:         120
        .size:           8
        .value_kind:     by_value
      - .offset:         128
        .size:           8
        .value_kind:     by_value
      - .offset:         136
        .size:           4
        .value_kind:     by_value
    .group_segment_fixed_size: 4096
    .kernarg_segment_align: 8
    .kernarg_segment_size: 140
    .language:       OpenCL C
    .language_version:
      - 2
      - 0
    .max_flat_workgroup_size: 256
    .name:           _ZN12_GLOBAL__N_127rocblas_gemm_batched_kernelI19rocblas_complex_numIfELi16ELi16ELi64ELi64ELi4ELi64ELi4ELi4ELi64ELc67ELc84EKPKS2_S5_KPS2_EEvlllT_PT11_llSA_llS8_PT12_llPT13_lli
    .private_segment_fixed_size: 0
    .sgpr_count:     48
    .sgpr_spill_count: 0
    .symbol:         _ZN12_GLOBAL__N_127rocblas_gemm_batched_kernelI19rocblas_complex_numIfELi16ELi16ELi64ELi64ELi4ELi64ELi4ELi4ELi64ELc67ELc84EKPKS2_S5_KPS2_EEvlllT_PT11_llSA_llS8_PT12_llPT13_lli.kd
    .uniform_work_group_size: 1
    .uses_dynamic_stack: false
    .vgpr_count:     90
    .vgpr_spill_count: 0
    .wavefront_size: 64
  - .agpr_count:     0
    .args:
      - .offset:         0
        .size:           8
        .value_kind:     by_value
      - .offset:         8
        .size:           8
        .value_kind:     by_value
      - .offset:         16
        .size:           8
        .value_kind:     by_value
      - .offset:         24
        .size:           8
        .value_kind:     by_value
      - .address_space:  global
        .offset:         32
        .size:           8
        .value_kind:     global_buffer
      - .offset:         40
        .size:           8
        .value_kind:     by_value
      - .offset:         48
        .size:           8
        .value_kind:     by_value
      - .address_space:  global
        .offset:         56
        .size:           8
        .value_kind:     global_buffer
      - .offset:         64
        .size:           8
        .value_kind:     by_value
      - .offset:         72
        .size:           8
        .value_kind:     by_value
      - .offset:         80
        .size:           8
        .value_kind:     by_value
      - .address_space:  global
        .offset:         88
        .size:           8
        .value_kind:     global_buffer
      - .offset:         96
        .size:           8
        .value_kind:     by_value
      - .offset:         104
        .size:           8
        .value_kind:     by_value
      - .address_space:  global
        .offset:         112
        .size:           8
        .value_kind:     global_buffer
      - .offset:         120
        .size:           8
        .value_kind:     by_value
      - .offset:         128
        .size:           8
        .value_kind:     by_value
      - .offset:         136
        .size:           4
        .value_kind:     by_value
    .group_segment_fixed_size: 4096
    .kernarg_segment_align: 8
    .kernarg_segment_size: 140
    .language:       OpenCL C
    .language_version:
      - 2
      - 0
    .max_flat_workgroup_size: 256
    .name:           _ZN12_GLOBAL__N_127rocblas_gemm_batched_kernelI19rocblas_complex_numIfELi16ELi16ELi64ELi64ELi4ELi64ELi4ELi4ELi64ELc78ELc67EKPKS2_S5_KPS2_EEvlllT_PT11_llSA_llS8_PT12_llPT13_lli
    .private_segment_fixed_size: 0
    .sgpr_count:     48
    .sgpr_spill_count: 0
    .symbol:         _ZN12_GLOBAL__N_127rocblas_gemm_batched_kernelI19rocblas_complex_numIfELi16ELi16ELi64ELi64ELi4ELi64ELi4ELi4ELi64ELc78ELc67EKPKS2_S5_KPS2_EEvlllT_PT11_llSA_llS8_PT12_llPT13_lli.kd
    .uniform_work_group_size: 1
    .uses_dynamic_stack: false
    .vgpr_count:     90
    .vgpr_spill_count: 0
    .wavefront_size: 64
  - .agpr_count:     0
    .args:
      - .offset:         0
        .size:           8
        .value_kind:     by_value
      - .offset:         8
        .size:           8
        .value_kind:     by_value
      - .offset:         16
        .size:           8
        .value_kind:     by_value
      - .offset:         24
        .size:           8
        .value_kind:     by_value
      - .address_space:  global
        .offset:         32
        .size:           8
        .value_kind:     global_buffer
      - .offset:         40
        .size:           8
        .value_kind:     by_value
      - .offset:         48
        .size:           8
        .value_kind:     by_value
      - .address_space:  global
        .offset:         56
        .size:           8
        .value_kind:     global_buffer
      - .offset:         64
        .size:           8
        .value_kind:     by_value
      - .offset:         72
        .size:           8
        .value_kind:     by_value
      - .offset:         80
        .size:           8
        .value_kind:     by_value
      - .address_space:  global
        .offset:         88
        .size:           8
        .value_kind:     global_buffer
      - .offset:         96
        .size:           8
        .value_kind:     by_value
      - .offset:         104
        .size:           8
        .value_kind:     by_value
      - .address_space:  global
        .offset:         112
        .size:           8
        .value_kind:     global_buffer
      - .offset:         120
        .size:           8
        .value_kind:     by_value
      - .offset:         128
        .size:           8
        .value_kind:     by_value
      - .offset:         136
        .size:           4
        .value_kind:     by_value
    .group_segment_fixed_size: 4096
    .kernarg_segment_align: 8
    .kernarg_segment_size: 140
    .language:       OpenCL C
    .language_version:
      - 2
      - 0
    .max_flat_workgroup_size: 256
    .name:           _ZN12_GLOBAL__N_127rocblas_gemm_batched_kernelI19rocblas_complex_numIfELi16ELi16ELi64ELi64ELi4ELi64ELi4ELi4ELi64ELc84ELc67EKPKS2_S5_KPS2_EEvlllT_PT11_llSA_llS8_PT12_llPT13_lli
    .private_segment_fixed_size: 0
    .sgpr_count:     48
    .sgpr_spill_count: 0
    .symbol:         _ZN12_GLOBAL__N_127rocblas_gemm_batched_kernelI19rocblas_complex_numIfELi16ELi16ELi64ELi64ELi4ELi64ELi4ELi4ELi64ELc84ELc67EKPKS2_S5_KPS2_EEvlllT_PT11_llSA_llS8_PT12_llPT13_lli.kd
    .uniform_work_group_size: 1
    .uses_dynamic_stack: false
    .vgpr_count:     90
    .vgpr_spill_count: 0
    .wavefront_size: 64
  - .agpr_count:     0
    .args:
      - .offset:         0
        .size:           8
        .value_kind:     by_value
      - .offset:         8
        .size:           8
        .value_kind:     by_value
      - .offset:         16
        .size:           8
        .value_kind:     by_value
      - .offset:         24
        .size:           8
        .value_kind:     by_value
      - .address_space:  global
        .offset:         32
        .size:           8
        .value_kind:     global_buffer
      - .offset:         40
        .size:           8
        .value_kind:     by_value
      - .offset:         48
        .size:           8
        .value_kind:     by_value
      - .address_space:  global
        .offset:         56
        .size:           8
        .value_kind:     global_buffer
      - .offset:         64
        .size:           8
        .value_kind:     by_value
      - .offset:         72
        .size:           8
        .value_kind:     by_value
      - .offset:         80
        .size:           8
        .value_kind:     by_value
      - .address_space:  global
        .offset:         88
        .size:           8
        .value_kind:     global_buffer
      - .offset:         96
        .size:           8
        .value_kind:     by_value
      - .offset:         104
        .size:           8
        .value_kind:     by_value
      - .address_space:  global
        .offset:         112
        .size:           8
        .value_kind:     global_buffer
      - .offset:         120
        .size:           8
        .value_kind:     by_value
      - .offset:         128
        .size:           8
        .value_kind:     by_value
      - .offset:         136
        .size:           4
        .value_kind:     by_value
    .group_segment_fixed_size: 4096
    .kernarg_segment_align: 8
    .kernarg_segment_size: 140
    .language:       OpenCL C
    .language_version:
      - 2
      - 0
    .max_flat_workgroup_size: 256
    .name:           _ZN12_GLOBAL__N_127rocblas_gemm_batched_kernelI19rocblas_complex_numIfELi16ELi16ELi32ELi32ELi8ELi32ELi8ELi8ELi32ELc78ELc78EKPKS2_S5_KPS2_EEvlllT_PT11_llSA_llS8_PT12_llPT13_lli
    .private_segment_fixed_size: 0
    .sgpr_count:     48
    .sgpr_spill_count: 0
    .symbol:         _ZN12_GLOBAL__N_127rocblas_gemm_batched_kernelI19rocblas_complex_numIfELi16ELi16ELi32ELi32ELi8ELi32ELi8ELi8ELi32ELc78ELc78EKPKS2_S5_KPS2_EEvlllT_PT11_llSA_llS8_PT12_llPT13_lli.kd
    .uniform_work_group_size: 1
    .uses_dynamic_stack: false
    .vgpr_count:     91
    .vgpr_spill_count: 0
    .wavefront_size: 64
  - .agpr_count:     0
    .args:
      - .offset:         0
        .size:           8
        .value_kind:     by_value
      - .offset:         8
        .size:           8
        .value_kind:     by_value
      - .offset:         16
        .size:           8
        .value_kind:     by_value
      - .offset:         24
        .size:           8
        .value_kind:     by_value
      - .address_space:  global
        .offset:         32
        .size:           8
        .value_kind:     global_buffer
      - .offset:         40
        .size:           8
        .value_kind:     by_value
      - .offset:         48
        .size:           8
        .value_kind:     by_value
      - .address_space:  global
        .offset:         56
        .size:           8
        .value_kind:     global_buffer
      - .offset:         64
        .size:           8
        .value_kind:     by_value
      - .offset:         72
        .size:           8
        .value_kind:     by_value
      - .offset:         80
        .size:           8
        .value_kind:     by_value
      - .address_space:  global
        .offset:         88
        .size:           8
        .value_kind:     global_buffer
      - .offset:         96
        .size:           8
        .value_kind:     by_value
      - .offset:         104
        .size:           8
        .value_kind:     by_value
      - .address_space:  global
        .offset:         112
        .size:           8
        .value_kind:     global_buffer
      - .offset:         120
        .size:           8
        .value_kind:     by_value
      - .offset:         128
        .size:           8
        .value_kind:     by_value
      - .offset:         136
        .size:           4
        .value_kind:     by_value
    .group_segment_fixed_size: 4096
    .kernarg_segment_align: 8
    .kernarg_segment_size: 140
    .language:       OpenCL C
    .language_version:
      - 2
      - 0
    .max_flat_workgroup_size: 256
    .name:           _ZN12_GLOBAL__N_127rocblas_gemm_batched_kernelI19rocblas_complex_numIfELi16ELi16ELi32ELi32ELi8ELi32ELi8ELi8ELi32ELc84ELc78EKPKS2_S5_KPS2_EEvlllT_PT11_llSA_llS8_PT12_llPT13_lli
    .private_segment_fixed_size: 0
    .sgpr_count:     48
    .sgpr_spill_count: 0
    .symbol:         _ZN12_GLOBAL__N_127rocblas_gemm_batched_kernelI19rocblas_complex_numIfELi16ELi16ELi32ELi32ELi8ELi32ELi8ELi8ELi32ELc84ELc78EKPKS2_S5_KPS2_EEvlllT_PT11_llSA_llS8_PT12_llPT13_lli.kd
    .uniform_work_group_size: 1
    .uses_dynamic_stack: false
    .vgpr_count:     90
    .vgpr_spill_count: 0
    .wavefront_size: 64
  - .agpr_count:     0
    .args:
      - .offset:         0
        .size:           8
        .value_kind:     by_value
      - .offset:         8
        .size:           8
        .value_kind:     by_value
      - .offset:         16
        .size:           8
        .value_kind:     by_value
      - .offset:         24
        .size:           8
        .value_kind:     by_value
      - .address_space:  global
        .offset:         32
        .size:           8
        .value_kind:     global_buffer
      - .offset:         40
        .size:           8
        .value_kind:     by_value
      - .offset:         48
        .size:           8
        .value_kind:     by_value
      - .address_space:  global
        .offset:         56
        .size:           8
        .value_kind:     global_buffer
      - .offset:         64
        .size:           8
        .value_kind:     by_value
      - .offset:         72
        .size:           8
        .value_kind:     by_value
      - .offset:         80
        .size:           8
        .value_kind:     by_value
      - .address_space:  global
        .offset:         88
        .size:           8
        .value_kind:     global_buffer
      - .offset:         96
        .size:           8
        .value_kind:     by_value
      - .offset:         104
        .size:           8
        .value_kind:     by_value
      - .address_space:  global
        .offset:         112
        .size:           8
        .value_kind:     global_buffer
      - .offset:         120
        .size:           8
        .value_kind:     by_value
      - .offset:         128
        .size:           8
        .value_kind:     by_value
      - .offset:         136
        .size:           4
        .value_kind:     by_value
    .group_segment_fixed_size: 4096
    .kernarg_segment_align: 8
    .kernarg_segment_size: 140
    .language:       OpenCL C
    .language_version:
      - 2
      - 0
    .max_flat_workgroup_size: 256
    .name:           _ZN12_GLOBAL__N_127rocblas_gemm_batched_kernelI19rocblas_complex_numIfELi16ELi16ELi32ELi32ELi8ELi32ELi8ELi8ELi32ELc78ELc84EKPKS2_S5_KPS2_EEvlllT_PT11_llSA_llS8_PT12_llPT13_lli
    .private_segment_fixed_size: 0
    .sgpr_count:     48
    .sgpr_spill_count: 0
    .symbol:         _ZN12_GLOBAL__N_127rocblas_gemm_batched_kernelI19rocblas_complex_numIfELi16ELi16ELi32ELi32ELi8ELi32ELi8ELi8ELi32ELc78ELc84EKPKS2_S5_KPS2_EEvlllT_PT11_llSA_llS8_PT12_llPT13_lli.kd
    .uniform_work_group_size: 1
    .uses_dynamic_stack: false
    .vgpr_count:     91
    .vgpr_spill_count: 0
    .wavefront_size: 64
  - .agpr_count:     0
    .args:
      - .offset:         0
        .size:           8
        .value_kind:     by_value
      - .offset:         8
        .size:           8
        .value_kind:     by_value
      - .offset:         16
        .size:           8
        .value_kind:     by_value
      - .offset:         24
        .size:           8
        .value_kind:     by_value
      - .address_space:  global
        .offset:         32
        .size:           8
        .value_kind:     global_buffer
      - .offset:         40
        .size:           8
        .value_kind:     by_value
      - .offset:         48
        .size:           8
        .value_kind:     by_value
      - .address_space:  global
        .offset:         56
        .size:           8
        .value_kind:     global_buffer
      - .offset:         64
        .size:           8
        .value_kind:     by_value
      - .offset:         72
        .size:           8
        .value_kind:     by_value
      - .offset:         80
        .size:           8
        .value_kind:     by_value
      - .address_space:  global
        .offset:         88
        .size:           8
        .value_kind:     global_buffer
      - .offset:         96
        .size:           8
        .value_kind:     by_value
      - .offset:         104
        .size:           8
        .value_kind:     by_value
      - .address_space:  global
        .offset:         112
        .size:           8
        .value_kind:     global_buffer
      - .offset:         120
        .size:           8
        .value_kind:     by_value
      - .offset:         128
        .size:           8
        .value_kind:     by_value
      - .offset:         136
        .size:           4
        .value_kind:     by_value
    .group_segment_fixed_size: 4096
    .kernarg_segment_align: 8
    .kernarg_segment_size: 140
    .language:       OpenCL C
    .language_version:
      - 2
      - 0
    .max_flat_workgroup_size: 256
    .name:           _ZN12_GLOBAL__N_127rocblas_gemm_batched_kernelI19rocblas_complex_numIfELi16ELi16ELi32ELi32ELi8ELi32ELi8ELi8ELi32ELc84ELc84EKPKS2_S5_KPS2_EEvlllT_PT11_llSA_llS8_PT12_llPT13_lli
    .private_segment_fixed_size: 0
    .sgpr_count:     48
    .sgpr_spill_count: 0
    .symbol:         _ZN12_GLOBAL__N_127rocblas_gemm_batched_kernelI19rocblas_complex_numIfELi16ELi16ELi32ELi32ELi8ELi32ELi8ELi8ELi32ELc84ELc84EKPKS2_S5_KPS2_EEvlllT_PT11_llSA_llS8_PT12_llPT13_lli.kd
    .uniform_work_group_size: 1
    .uses_dynamic_stack: false
    .vgpr_count:     91
    .vgpr_spill_count: 0
    .wavefront_size: 64
  - .agpr_count:     0
    .args:
      - .offset:         0
        .size:           8
        .value_kind:     by_value
      - .offset:         8
        .size:           8
        .value_kind:     by_value
      - .offset:         16
        .size:           8
        .value_kind:     by_value
      - .offset:         24
        .size:           8
        .value_kind:     by_value
      - .address_space:  global
        .offset:         32
        .size:           8
        .value_kind:     global_buffer
      - .offset:         40
        .size:           8
        .value_kind:     by_value
      - .offset:         48
        .size:           8
        .value_kind:     by_value
      - .address_space:  global
        .offset:         56
        .size:           8
        .value_kind:     global_buffer
      - .offset:         64
        .size:           8
        .value_kind:     by_value
      - .offset:         72
        .size:           8
        .value_kind:     by_value
      - .offset:         80
        .size:           8
        .value_kind:     by_value
      - .address_space:  global
        .offset:         88
        .size:           8
        .value_kind:     global_buffer
      - .offset:         96
        .size:           8
        .value_kind:     by_value
      - .offset:         104
        .size:           8
        .value_kind:     by_value
      - .address_space:  global
        .offset:         112
        .size:           8
        .value_kind:     global_buffer
      - .offset:         120
        .size:           8
        .value_kind:     by_value
      - .offset:         128
        .size:           8
        .value_kind:     by_value
      - .offset:         136
        .size:           4
        .value_kind:     by_value
    .group_segment_fixed_size: 4096
    .kernarg_segment_align: 8
    .kernarg_segment_size: 140
    .language:       OpenCL C
    .language_version:
      - 2
      - 0
    .max_flat_workgroup_size: 256
    .name:           _ZN12_GLOBAL__N_127rocblas_gemm_batched_kernelI19rocblas_complex_numIfELi16ELi16ELi32ELi32ELi8ELi32ELi8ELi8ELi32ELc67ELc67EKPKS2_S5_KPS2_EEvlllT_PT11_llSA_llS8_PT12_llPT13_lli
    .private_segment_fixed_size: 0
    .sgpr_count:     48
    .sgpr_spill_count: 0
    .symbol:         _ZN12_GLOBAL__N_127rocblas_gemm_batched_kernelI19rocblas_complex_numIfELi16ELi16ELi32ELi32ELi8ELi32ELi8ELi8ELi32ELc67ELc67EKPKS2_S5_KPS2_EEvlllT_PT11_llSA_llS8_PT12_llPT13_lli.kd
    .uniform_work_group_size: 1
    .uses_dynamic_stack: false
    .vgpr_count:     91
    .vgpr_spill_count: 0
    .wavefront_size: 64
  - .agpr_count:     0
    .args:
      - .offset:         0
        .size:           8
        .value_kind:     by_value
      - .offset:         8
        .size:           8
        .value_kind:     by_value
      - .offset:         16
        .size:           8
        .value_kind:     by_value
      - .offset:         24
        .size:           8
        .value_kind:     by_value
      - .address_space:  global
        .offset:         32
        .size:           8
        .value_kind:     global_buffer
      - .offset:         40
        .size:           8
        .value_kind:     by_value
      - .offset:         48
        .size:           8
        .value_kind:     by_value
      - .address_space:  global
        .offset:         56
        .size:           8
        .value_kind:     global_buffer
      - .offset:         64
        .size:           8
        .value_kind:     by_value
      - .offset:         72
        .size:           8
        .value_kind:     by_value
      - .offset:         80
        .size:           8
        .value_kind:     by_value
      - .address_space:  global
        .offset:         88
        .size:           8
        .value_kind:     global_buffer
      - .offset:         96
        .size:           8
        .value_kind:     by_value
      - .offset:         104
        .size:           8
        .value_kind:     by_value
      - .address_space:  global
        .offset:         112
        .size:           8
        .value_kind:     global_buffer
      - .offset:         120
        .size:           8
        .value_kind:     by_value
      - .offset:         128
        .size:           8
        .value_kind:     by_value
      - .offset:         136
        .size:           4
        .value_kind:     by_value
    .group_segment_fixed_size: 4096
    .kernarg_segment_align: 8
    .kernarg_segment_size: 140
    .language:       OpenCL C
    .language_version:
      - 2
      - 0
    .max_flat_workgroup_size: 256
    .name:           _ZN12_GLOBAL__N_127rocblas_gemm_batched_kernelI19rocblas_complex_numIfELi16ELi16ELi32ELi32ELi8ELi32ELi8ELi8ELi32ELc67ELc78EKPKS2_S5_KPS2_EEvlllT_PT11_llSA_llS8_PT12_llPT13_lli
    .private_segment_fixed_size: 0
    .sgpr_count:     48
    .sgpr_spill_count: 0
    .symbol:         _ZN12_GLOBAL__N_127rocblas_gemm_batched_kernelI19rocblas_complex_numIfELi16ELi16ELi32ELi32ELi8ELi32ELi8ELi8ELi32ELc67ELc78EKPKS2_S5_KPS2_EEvlllT_PT11_llSA_llS8_PT12_llPT13_lli.kd
    .uniform_work_group_size: 1
    .uses_dynamic_stack: false
    .vgpr_count:     90
    .vgpr_spill_count: 0
    .wavefront_size: 64
  - .agpr_count:     0
    .args:
      - .offset:         0
        .size:           8
        .value_kind:     by_value
      - .offset:         8
        .size:           8
        .value_kind:     by_value
      - .offset:         16
        .size:           8
        .value_kind:     by_value
      - .offset:         24
        .size:           8
        .value_kind:     by_value
      - .address_space:  global
        .offset:         32
        .size:           8
        .value_kind:     global_buffer
      - .offset:         40
        .size:           8
        .value_kind:     by_value
      - .offset:         48
        .size:           8
        .value_kind:     by_value
      - .address_space:  global
        .offset:         56
        .size:           8
        .value_kind:     global_buffer
      - .offset:         64
        .size:           8
        .value_kind:     by_value
      - .offset:         72
        .size:           8
        .value_kind:     by_value
      - .offset:         80
        .size:           8
        .value_kind:     by_value
      - .address_space:  global
        .offset:         88
        .size:           8
        .value_kind:     global_buffer
      - .offset:         96
        .size:           8
        .value_kind:     by_value
      - .offset:         104
        .size:           8
        .value_kind:     by_value
      - .address_space:  global
        .offset:         112
        .size:           8
        .value_kind:     global_buffer
      - .offset:         120
        .size:           8
        .value_kind:     by_value
      - .offset:         128
        .size:           8
        .value_kind:     by_value
      - .offset:         136
        .size:           4
        .value_kind:     by_value
    .group_segment_fixed_size: 4096
    .kernarg_segment_align: 8
    .kernarg_segment_size: 140
    .language:       OpenCL C
    .language_version:
      - 2
      - 0
    .max_flat_workgroup_size: 256
    .name:           _ZN12_GLOBAL__N_127rocblas_gemm_batched_kernelI19rocblas_complex_numIfELi16ELi16ELi32ELi32ELi8ELi32ELi8ELi8ELi32ELc67ELc84EKPKS2_S5_KPS2_EEvlllT_PT11_llSA_llS8_PT12_llPT13_lli
    .private_segment_fixed_size: 0
    .sgpr_count:     48
    .sgpr_spill_count: 0
    .symbol:         _ZN12_GLOBAL__N_127rocblas_gemm_batched_kernelI19rocblas_complex_numIfELi16ELi16ELi32ELi32ELi8ELi32ELi8ELi8ELi32ELc67ELc84EKPKS2_S5_KPS2_EEvlllT_PT11_llSA_llS8_PT12_llPT13_lli.kd
    .uniform_work_group_size: 1
    .uses_dynamic_stack: false
    .vgpr_count:     91
    .vgpr_spill_count: 0
    .wavefront_size: 64
  - .agpr_count:     0
    .args:
      - .offset:         0
        .size:           8
        .value_kind:     by_value
      - .offset:         8
        .size:           8
        .value_kind:     by_value
      - .offset:         16
        .size:           8
        .value_kind:     by_value
      - .offset:         24
        .size:           8
        .value_kind:     by_value
      - .address_space:  global
        .offset:         32
        .size:           8
        .value_kind:     global_buffer
      - .offset:         40
        .size:           8
        .value_kind:     by_value
      - .offset:         48
        .size:           8
        .value_kind:     by_value
      - .address_space:  global
        .offset:         56
        .size:           8
        .value_kind:     global_buffer
      - .offset:         64
        .size:           8
        .value_kind:     by_value
      - .offset:         72
        .size:           8
        .value_kind:     by_value
      - .offset:         80
        .size:           8
        .value_kind:     by_value
      - .address_space:  global
        .offset:         88
        .size:           8
        .value_kind:     global_buffer
      - .offset:         96
        .size:           8
        .value_kind:     by_value
      - .offset:         104
        .size:           8
        .value_kind:     by_value
      - .address_space:  global
        .offset:         112
        .size:           8
        .value_kind:     global_buffer
      - .offset:         120
        .size:           8
        .value_kind:     by_value
      - .offset:         128
        .size:           8
        .value_kind:     by_value
      - .offset:         136
        .size:           4
        .value_kind:     by_value
    .group_segment_fixed_size: 4096
    .kernarg_segment_align: 8
    .kernarg_segment_size: 140
    .language:       OpenCL C
    .language_version:
      - 2
      - 0
    .max_flat_workgroup_size: 256
    .name:           _ZN12_GLOBAL__N_127rocblas_gemm_batched_kernelI19rocblas_complex_numIfELi16ELi16ELi32ELi32ELi8ELi32ELi8ELi8ELi32ELc78ELc67EKPKS2_S5_KPS2_EEvlllT_PT11_llSA_llS8_PT12_llPT13_lli
    .private_segment_fixed_size: 0
    .sgpr_count:     48
    .sgpr_spill_count: 0
    .symbol:         _ZN12_GLOBAL__N_127rocblas_gemm_batched_kernelI19rocblas_complex_numIfELi16ELi16ELi32ELi32ELi8ELi32ELi8ELi8ELi32ELc78ELc67EKPKS2_S5_KPS2_EEvlllT_PT11_llSA_llS8_PT12_llPT13_lli.kd
    .uniform_work_group_size: 1
    .uses_dynamic_stack: false
    .vgpr_count:     91
    .vgpr_spill_count: 0
    .wavefront_size: 64
  - .agpr_count:     0
    .args:
      - .offset:         0
        .size:           8
        .value_kind:     by_value
      - .offset:         8
        .size:           8
        .value_kind:     by_value
      - .offset:         16
        .size:           8
        .value_kind:     by_value
      - .offset:         24
        .size:           8
        .value_kind:     by_value
      - .address_space:  global
        .offset:         32
        .size:           8
        .value_kind:     global_buffer
      - .offset:         40
        .size:           8
        .value_kind:     by_value
      - .offset:         48
        .size:           8
        .value_kind:     by_value
      - .address_space:  global
        .offset:         56
        .size:           8
        .value_kind:     global_buffer
      - .offset:         64
        .size:           8
        .value_kind:     by_value
      - .offset:         72
        .size:           8
        .value_kind:     by_value
      - .offset:         80
        .size:           8
        .value_kind:     by_value
      - .address_space:  global
        .offset:         88
        .size:           8
        .value_kind:     global_buffer
      - .offset:         96
        .size:           8
        .value_kind:     by_value
      - .offset:         104
        .size:           8
        .value_kind:     by_value
      - .address_space:  global
        .offset:         112
        .size:           8
        .value_kind:     global_buffer
      - .offset:         120
        .size:           8
        .value_kind:     by_value
      - .offset:         128
        .size:           8
        .value_kind:     by_value
      - .offset:         136
        .size:           4
        .value_kind:     by_value
    .group_segment_fixed_size: 4096
    .kernarg_segment_align: 8
    .kernarg_segment_size: 140
    .language:       OpenCL C
    .language_version:
      - 2
      - 0
    .max_flat_workgroup_size: 256
    .name:           _ZN12_GLOBAL__N_127rocblas_gemm_batched_kernelI19rocblas_complex_numIfELi16ELi16ELi32ELi32ELi8ELi32ELi8ELi8ELi32ELc84ELc67EKPKS2_S5_KPS2_EEvlllT_PT11_llSA_llS8_PT12_llPT13_lli
    .private_segment_fixed_size: 0
    .sgpr_count:     48
    .sgpr_spill_count: 0
    .symbol:         _ZN12_GLOBAL__N_127rocblas_gemm_batched_kernelI19rocblas_complex_numIfELi16ELi16ELi32ELi32ELi8ELi32ELi8ELi8ELi32ELc84ELc67EKPKS2_S5_KPS2_EEvlllT_PT11_llSA_llS8_PT12_llPT13_lli.kd
    .uniform_work_group_size: 1
    .uses_dynamic_stack: false
    .vgpr_count:     91
    .vgpr_spill_count: 0
    .wavefront_size: 64
  - .agpr_count:     0
    .args:
      - .offset:         0
        .size:           8
        .value_kind:     by_value
      - .offset:         8
        .size:           8
        .value_kind:     by_value
      - .offset:         16
        .size:           8
        .value_kind:     by_value
      - .offset:         24
        .size:           8
        .value_kind:     by_value
      - .address_space:  global
        .offset:         32
        .size:           8
        .value_kind:     global_buffer
      - .offset:         40
        .size:           8
        .value_kind:     by_value
      - .offset:         48
        .size:           8
        .value_kind:     by_value
      - .address_space:  global
        .offset:         56
        .size:           8
        .value_kind:     global_buffer
      - .offset:         64
        .size:           8
        .value_kind:     by_value
      - .offset:         72
        .size:           8
        .value_kind:     by_value
      - .offset:         80
        .size:           8
        .value_kind:     by_value
      - .address_space:  global
        .offset:         88
        .size:           8
        .value_kind:     global_buffer
      - .offset:         96
        .size:           8
        .value_kind:     by_value
      - .offset:         104
        .size:           8
        .value_kind:     by_value
      - .address_space:  global
        .offset:         112
        .size:           8
        .value_kind:     global_buffer
      - .offset:         120
        .size:           8
        .value_kind:     by_value
      - .offset:         128
        .size:           8
        .value_kind:     by_value
      - .offset:         136
        .size:           4
        .value_kind:     by_value
    .group_segment_fixed_size: 4096
    .kernarg_segment_align: 8
    .kernarg_segment_size: 140
    .language:       OpenCL C
    .language_version:
      - 2
      - 0
    .max_flat_workgroup_size: 256
    .name:           _ZN12_GLOBAL__N_135rocblas_gemm_batched_general_kernelI19rocblas_complex_numIfELi16ELi16ELi32ELi32ELi8ELi32ELi8ELi8ELi32ELc78ELc78EKPKS2_S5_KPS2_EEvlllT_PT11_llSA_llS8_PT12_llPT13_lli
    .private_segment_fixed_size: 32
    .sgpr_count:     54
    .sgpr_spill_count: 0
    .symbol:         _ZN12_GLOBAL__N_135rocblas_gemm_batched_general_kernelI19rocblas_complex_numIfELi16ELi16ELi32ELi32ELi8ELi32ELi8ELi8ELi32ELc78ELc78EKPKS2_S5_KPS2_EEvlllT_PT11_llSA_llS8_PT12_llPT13_lli.kd
    .uniform_work_group_size: 1
    .uses_dynamic_stack: false
    .vgpr_count:     127
    .vgpr_spill_count: 0
    .wavefront_size: 64
  - .agpr_count:     0
    .args:
      - .offset:         0
        .size:           8
        .value_kind:     by_value
      - .offset:         8
        .size:           8
        .value_kind:     by_value
      - .offset:         16
        .size:           8
        .value_kind:     by_value
      - .offset:         24
        .size:           8
        .value_kind:     by_value
      - .address_space:  global
        .offset:         32
        .size:           8
        .value_kind:     global_buffer
      - .offset:         40
        .size:           8
        .value_kind:     by_value
      - .offset:         48
        .size:           8
        .value_kind:     by_value
      - .address_space:  global
        .offset:         56
        .size:           8
        .value_kind:     global_buffer
      - .offset:         64
        .size:           8
        .value_kind:     by_value
      - .offset:         72
        .size:           8
        .value_kind:     by_value
      - .offset:         80
        .size:           8
        .value_kind:     by_value
      - .address_space:  global
        .offset:         88
        .size:           8
        .value_kind:     global_buffer
      - .offset:         96
        .size:           8
        .value_kind:     by_value
      - .offset:         104
        .size:           8
        .value_kind:     by_value
      - .address_space:  global
        .offset:         112
        .size:           8
        .value_kind:     global_buffer
      - .offset:         120
        .size:           8
        .value_kind:     by_value
      - .offset:         128
        .size:           8
        .value_kind:     by_value
      - .offset:         136
        .size:           4
        .value_kind:     by_value
    .group_segment_fixed_size: 4096
    .kernarg_segment_align: 8
    .kernarg_segment_size: 140
    .language:       OpenCL C
    .language_version:
      - 2
      - 0
    .max_flat_workgroup_size: 256
    .name:           _ZN12_GLOBAL__N_135rocblas_gemm_batched_general_kernelI19rocblas_complex_numIfELi16ELi16ELi32ELi32ELi8ELi32ELi8ELi8ELi32ELc84ELc78EKPKS2_S5_KPS2_EEvlllT_PT11_llSA_llS8_PT12_llPT13_lli
    .private_segment_fixed_size: 32
    .sgpr_count:     52
    .sgpr_spill_count: 0
    .symbol:         _ZN12_GLOBAL__N_135rocblas_gemm_batched_general_kernelI19rocblas_complex_numIfELi16ELi16ELi32ELi32ELi8ELi32ELi8ELi8ELi32ELc84ELc78EKPKS2_S5_KPS2_EEvlllT_PT11_llSA_llS8_PT12_llPT13_lli.kd
    .uniform_work_group_size: 1
    .uses_dynamic_stack: false
    .vgpr_count:     127
    .vgpr_spill_count: 0
    .wavefront_size: 64
  - .agpr_count:     0
    .args:
      - .offset:         0
        .size:           8
        .value_kind:     by_value
      - .offset:         8
        .size:           8
        .value_kind:     by_value
      - .offset:         16
        .size:           8
        .value_kind:     by_value
      - .offset:         24
        .size:           8
        .value_kind:     by_value
      - .address_space:  global
        .offset:         32
        .size:           8
        .value_kind:     global_buffer
      - .offset:         40
        .size:           8
        .value_kind:     by_value
      - .offset:         48
        .size:           8
        .value_kind:     by_value
      - .address_space:  global
        .offset:         56
        .size:           8
        .value_kind:     global_buffer
      - .offset:         64
        .size:           8
        .value_kind:     by_value
      - .offset:         72
        .size:           8
        .value_kind:     by_value
      - .offset:         80
        .size:           8
        .value_kind:     by_value
      - .address_space:  global
        .offset:         88
        .size:           8
        .value_kind:     global_buffer
      - .offset:         96
        .size:           8
        .value_kind:     by_value
      - .offset:         104
        .size:           8
        .value_kind:     by_value
      - .address_space:  global
        .offset:         112
        .size:           8
        .value_kind:     global_buffer
      - .offset:         120
        .size:           8
        .value_kind:     by_value
      - .offset:         128
        .size:           8
        .value_kind:     by_value
      - .offset:         136
        .size:           4
        .value_kind:     by_value
    .group_segment_fixed_size: 4096
    .kernarg_segment_align: 8
    .kernarg_segment_size: 140
    .language:       OpenCL C
    .language_version:
      - 2
      - 0
    .max_flat_workgroup_size: 256
    .name:           _ZN12_GLOBAL__N_135rocblas_gemm_batched_general_kernelI19rocblas_complex_numIfELi16ELi16ELi32ELi32ELi8ELi32ELi8ELi8ELi32ELc78ELc84EKPKS2_S5_KPS2_EEvlllT_PT11_llSA_llS8_PT12_llPT13_lli
    .private_segment_fixed_size: 32
    .sgpr_count:     58
    .sgpr_spill_count: 0
    .symbol:         _ZN12_GLOBAL__N_135rocblas_gemm_batched_general_kernelI19rocblas_complex_numIfELi16ELi16ELi32ELi32ELi8ELi32ELi8ELi8ELi32ELc78ELc84EKPKS2_S5_KPS2_EEvlllT_PT11_llSA_llS8_PT12_llPT13_lli.kd
    .uniform_work_group_size: 1
    .uses_dynamic_stack: false
    .vgpr_count:     127
    .vgpr_spill_count: 0
    .wavefront_size: 64
  - .agpr_count:     0
    .args:
      - .offset:         0
        .size:           8
        .value_kind:     by_value
      - .offset:         8
        .size:           8
        .value_kind:     by_value
      - .offset:         16
        .size:           8
        .value_kind:     by_value
      - .offset:         24
        .size:           8
        .value_kind:     by_value
      - .address_space:  global
        .offset:         32
        .size:           8
        .value_kind:     global_buffer
      - .offset:         40
        .size:           8
        .value_kind:     by_value
      - .offset:         48
        .size:           8
        .value_kind:     by_value
      - .address_space:  global
        .offset:         56
        .size:           8
        .value_kind:     global_buffer
      - .offset:         64
        .size:           8
        .value_kind:     by_value
      - .offset:         72
        .size:           8
        .value_kind:     by_value
      - .offset:         80
        .size:           8
        .value_kind:     by_value
      - .address_space:  global
        .offset:         88
        .size:           8
        .value_kind:     global_buffer
      - .offset:         96
        .size:           8
        .value_kind:     by_value
      - .offset:         104
        .size:           8
        .value_kind:     by_value
      - .address_space:  global
        .offset:         112
        .size:           8
        .value_kind:     global_buffer
      - .offset:         120
        .size:           8
        .value_kind:     by_value
      - .offset:         128
        .size:           8
        .value_kind:     by_value
      - .offset:         136
        .size:           4
        .value_kind:     by_value
    .group_segment_fixed_size: 4096
    .kernarg_segment_align: 8
    .kernarg_segment_size: 140
    .language:       OpenCL C
    .language_version:
      - 2
      - 0
    .max_flat_workgroup_size: 256
    .name:           _ZN12_GLOBAL__N_135rocblas_gemm_batched_general_kernelI19rocblas_complex_numIfELi16ELi16ELi32ELi32ELi8ELi32ELi8ELi8ELi32ELc84ELc84EKPKS2_S5_KPS2_EEvlllT_PT11_llSA_llS8_PT12_llPT13_lli
    .private_segment_fixed_size: 32
    .sgpr_count:     56
    .sgpr_spill_count: 0
    .symbol:         _ZN12_GLOBAL__N_135rocblas_gemm_batched_general_kernelI19rocblas_complex_numIfELi16ELi16ELi32ELi32ELi8ELi32ELi8ELi8ELi32ELc84ELc84EKPKS2_S5_KPS2_EEvlllT_PT11_llSA_llS8_PT12_llPT13_lli.kd
    .uniform_work_group_size: 1
    .uses_dynamic_stack: false
    .vgpr_count:     127
    .vgpr_spill_count: 0
    .wavefront_size: 64
  - .agpr_count:     0
    .args:
      - .offset:         0
        .size:           8
        .value_kind:     by_value
      - .offset:         8
        .size:           8
        .value_kind:     by_value
      - .offset:         16
        .size:           8
        .value_kind:     by_value
      - .offset:         24
        .size:           8
        .value_kind:     by_value
      - .address_space:  global
        .offset:         32
        .size:           8
        .value_kind:     global_buffer
      - .offset:         40
        .size:           8
        .value_kind:     by_value
      - .offset:         48
        .size:           8
        .value_kind:     by_value
      - .address_space:  global
        .offset:         56
        .size:           8
        .value_kind:     global_buffer
      - .offset:         64
        .size:           8
        .value_kind:     by_value
      - .offset:         72
        .size:           8
        .value_kind:     by_value
      - .offset:         80
        .size:           8
        .value_kind:     by_value
      - .address_space:  global
        .offset:         88
        .size:           8
        .value_kind:     global_buffer
      - .offset:         96
        .size:           8
        .value_kind:     by_value
      - .offset:         104
        .size:           8
        .value_kind:     by_value
      - .address_space:  global
        .offset:         112
        .size:           8
        .value_kind:     global_buffer
      - .offset:         120
        .size:           8
        .value_kind:     by_value
      - .offset:         128
        .size:           8
        .value_kind:     by_value
      - .offset:         136
        .size:           4
        .value_kind:     by_value
    .group_segment_fixed_size: 4096
    .kernarg_segment_align: 8
    .kernarg_segment_size: 140
    .language:       OpenCL C
    .language_version:
      - 2
      - 0
    .max_flat_workgroup_size: 256
    .name:           _ZN12_GLOBAL__N_135rocblas_gemm_batched_general_kernelI19rocblas_complex_numIfELi16ELi16ELi32ELi32ELi8ELi32ELi8ELi8ELi32ELc67ELc67EKPKS2_S5_KPS2_EEvlllT_PT11_llSA_llS8_PT12_llPT13_lli
    .private_segment_fixed_size: 32
    .sgpr_count:     54
    .sgpr_spill_count: 0
    .symbol:         _ZN12_GLOBAL__N_135rocblas_gemm_batched_general_kernelI19rocblas_complex_numIfELi16ELi16ELi32ELi32ELi8ELi32ELi8ELi8ELi32ELc67ELc67EKPKS2_S5_KPS2_EEvlllT_PT11_llSA_llS8_PT12_llPT13_lli.kd
    .uniform_work_group_size: 1
    .uses_dynamic_stack: false
    .vgpr_count:     128
    .vgpr_spill_count: 0
    .wavefront_size: 64
  - .agpr_count:     0
    .args:
      - .offset:         0
        .size:           8
        .value_kind:     by_value
      - .offset:         8
        .size:           8
        .value_kind:     by_value
      - .offset:         16
        .size:           8
        .value_kind:     by_value
      - .offset:         24
        .size:           8
        .value_kind:     by_value
      - .address_space:  global
        .offset:         32
        .size:           8
        .value_kind:     global_buffer
      - .offset:         40
        .size:           8
        .value_kind:     by_value
      - .offset:         48
        .size:           8
        .value_kind:     by_value
      - .address_space:  global
        .offset:         56
        .size:           8
        .value_kind:     global_buffer
      - .offset:         64
        .size:           8
        .value_kind:     by_value
      - .offset:         72
        .size:           8
        .value_kind:     by_value
      - .offset:         80
        .size:           8
        .value_kind:     by_value
      - .address_space:  global
        .offset:         88
        .size:           8
        .value_kind:     global_buffer
      - .offset:         96
        .size:           8
        .value_kind:     by_value
      - .offset:         104
        .size:           8
        .value_kind:     by_value
      - .address_space:  global
        .offset:         112
        .size:           8
        .value_kind:     global_buffer
      - .offset:         120
        .size:           8
        .value_kind:     by_value
      - .offset:         128
        .size:           8
        .value_kind:     by_value
      - .offset:         136
        .size:           4
        .value_kind:     by_value
    .group_segment_fixed_size: 4096
    .kernarg_segment_align: 8
    .kernarg_segment_size: 140
    .language:       OpenCL C
    .language_version:
      - 2
      - 0
    .max_flat_workgroup_size: 256
    .name:           _ZN12_GLOBAL__N_135rocblas_gemm_batched_general_kernelI19rocblas_complex_numIfELi16ELi16ELi32ELi32ELi8ELi32ELi8ELi8ELi32ELc67ELc78EKPKS2_S5_KPS2_EEvlllT_PT11_llSA_llS8_PT12_llPT13_lli
    .private_segment_fixed_size: 32
    .sgpr_count:     52
    .sgpr_spill_count: 0
    .symbol:         _ZN12_GLOBAL__N_135rocblas_gemm_batched_general_kernelI19rocblas_complex_numIfELi16ELi16ELi32ELi32ELi8ELi32ELi8ELi8ELi32ELc67ELc78EKPKS2_S5_KPS2_EEvlllT_PT11_llSA_llS8_PT12_llPT13_lli.kd
    .uniform_work_group_size: 1
    .uses_dynamic_stack: false
    .vgpr_count:     128
    .vgpr_spill_count: 0
    .wavefront_size: 64
  - .agpr_count:     0
    .args:
      - .offset:         0
        .size:           8
        .value_kind:     by_value
      - .offset:         8
        .size:           8
        .value_kind:     by_value
      - .offset:         16
        .size:           8
        .value_kind:     by_value
      - .offset:         24
        .size:           8
        .value_kind:     by_value
      - .address_space:  global
        .offset:         32
        .size:           8
        .value_kind:     global_buffer
      - .offset:         40
        .size:           8
        .value_kind:     by_value
      - .offset:         48
        .size:           8
        .value_kind:     by_value
      - .address_space:  global
        .offset:         56
        .size:           8
        .value_kind:     global_buffer
      - .offset:         64
        .size:           8
        .value_kind:     by_value
      - .offset:         72
        .size:           8
        .value_kind:     by_value
      - .offset:         80
        .size:           8
        .value_kind:     by_value
      - .address_space:  global
        .offset:         88
        .size:           8
        .value_kind:     global_buffer
      - .offset:         96
        .size:           8
        .value_kind:     by_value
      - .offset:         104
        .size:           8
        .value_kind:     by_value
      - .address_space:  global
        .offset:         112
        .size:           8
        .value_kind:     global_buffer
      - .offset:         120
        .size:           8
        .value_kind:     by_value
      - .offset:         128
        .size:           8
        .value_kind:     by_value
      - .offset:         136
        .size:           4
        .value_kind:     by_value
    .group_segment_fixed_size: 4096
    .kernarg_segment_align: 8
    .kernarg_segment_size: 140
    .language:       OpenCL C
    .language_version:
      - 2
      - 0
    .max_flat_workgroup_size: 256
    .name:           _ZN12_GLOBAL__N_135rocblas_gemm_batched_general_kernelI19rocblas_complex_numIfELi16ELi16ELi32ELi32ELi8ELi32ELi8ELi8ELi32ELc67ELc84EKPKS2_S5_KPS2_EEvlllT_PT11_llSA_llS8_PT12_llPT13_lli
    .private_segment_fixed_size: 32
    .sgpr_count:     54
    .sgpr_spill_count: 0
    .symbol:         _ZN12_GLOBAL__N_135rocblas_gemm_batched_general_kernelI19rocblas_complex_numIfELi16ELi16ELi32ELi32ELi8ELi32ELi8ELi8ELi32ELc67ELc84EKPKS2_S5_KPS2_EEvlllT_PT11_llSA_llS8_PT12_llPT13_lli.kd
    .uniform_work_group_size: 1
    .uses_dynamic_stack: false
    .vgpr_count:     128
    .vgpr_spill_count: 0
    .wavefront_size: 64
  - .agpr_count:     0
    .args:
      - .offset:         0
        .size:           8
        .value_kind:     by_value
      - .offset:         8
        .size:           8
        .value_kind:     by_value
      - .offset:         16
        .size:           8
        .value_kind:     by_value
      - .offset:         24
        .size:           8
        .value_kind:     by_value
      - .address_space:  global
        .offset:         32
        .size:           8
        .value_kind:     global_buffer
      - .offset:         40
        .size:           8
        .value_kind:     by_value
      - .offset:         48
        .size:           8
        .value_kind:     by_value
      - .address_space:  global
        .offset:         56
        .size:           8
        .value_kind:     global_buffer
      - .offset:         64
        .size:           8
        .value_kind:     by_value
      - .offset:         72
        .size:           8
        .value_kind:     by_value
      - .offset:         80
        .size:           8
        .value_kind:     by_value
      - .address_space:  global
        .offset:         88
        .size:           8
        .value_kind:     global_buffer
      - .offset:         96
        .size:           8
        .value_kind:     by_value
      - .offset:         104
        .size:           8
        .value_kind:     by_value
      - .address_space:  global
        .offset:         112
        .size:           8
        .value_kind:     global_buffer
      - .offset:         120
        .size:           8
        .value_kind:     by_value
      - .offset:         128
        .size:           8
        .value_kind:     by_value
      - .offset:         136
        .size:           4
        .value_kind:     by_value
    .group_segment_fixed_size: 4096
    .kernarg_segment_align: 8
    .kernarg_segment_size: 140
    .language:       OpenCL C
    .language_version:
      - 2
      - 0
    .max_flat_workgroup_size: 256
    .name:           _ZN12_GLOBAL__N_135rocblas_gemm_batched_general_kernelI19rocblas_complex_numIfELi16ELi16ELi32ELi32ELi8ELi32ELi8ELi8ELi32ELc78ELc67EKPKS2_S5_KPS2_EEvlllT_PT11_llSA_llS8_PT12_llPT13_lli
    .private_segment_fixed_size: 32
    .sgpr_count:     58
    .sgpr_spill_count: 0
    .symbol:         _ZN12_GLOBAL__N_135rocblas_gemm_batched_general_kernelI19rocblas_complex_numIfELi16ELi16ELi32ELi32ELi8ELi32ELi8ELi8ELi32ELc78ELc67EKPKS2_S5_KPS2_EEvlllT_PT11_llSA_llS8_PT12_llPT13_lli.kd
    .uniform_work_group_size: 1
    .uses_dynamic_stack: false
    .vgpr_count:     128
    .vgpr_spill_count: 0
    .wavefront_size: 64
  - .agpr_count:     0
    .args:
      - .offset:         0
        .size:           8
        .value_kind:     by_value
      - .offset:         8
        .size:           8
        .value_kind:     by_value
      - .offset:         16
        .size:           8
        .value_kind:     by_value
      - .offset:         24
        .size:           8
        .value_kind:     by_value
      - .address_space:  global
        .offset:         32
        .size:           8
        .value_kind:     global_buffer
      - .offset:         40
        .size:           8
        .value_kind:     by_value
      - .offset:         48
        .size:           8
        .value_kind:     by_value
      - .address_space:  global
        .offset:         56
        .size:           8
        .value_kind:     global_buffer
      - .offset:         64
        .size:           8
        .value_kind:     by_value
      - .offset:         72
        .size:           8
        .value_kind:     by_value
      - .offset:         80
        .size:           8
        .value_kind:     by_value
      - .address_space:  global
        .offset:         88
        .size:           8
        .value_kind:     global_buffer
      - .offset:         96
        .size:           8
        .value_kind:     by_value
      - .offset:         104
        .size:           8
        .value_kind:     by_value
      - .address_space:  global
        .offset:         112
        .size:           8
        .value_kind:     global_buffer
      - .offset:         120
        .size:           8
        .value_kind:     by_value
      - .offset:         128
        .size:           8
        .value_kind:     by_value
      - .offset:         136
        .size:           4
        .value_kind:     by_value
    .group_segment_fixed_size: 4096
    .kernarg_segment_align: 8
    .kernarg_segment_size: 140
    .language:       OpenCL C
    .language_version:
      - 2
      - 0
    .max_flat_workgroup_size: 256
    .name:           _ZN12_GLOBAL__N_135rocblas_gemm_batched_general_kernelI19rocblas_complex_numIfELi16ELi16ELi32ELi32ELi8ELi32ELi8ELi8ELi32ELc84ELc67EKPKS2_S5_KPS2_EEvlllT_PT11_llSA_llS8_PT12_llPT13_lli
    .private_segment_fixed_size: 32
    .sgpr_count:     54
    .sgpr_spill_count: 0
    .symbol:         _ZN12_GLOBAL__N_135rocblas_gemm_batched_general_kernelI19rocblas_complex_numIfELi16ELi16ELi32ELi32ELi8ELi32ELi8ELi8ELi32ELc84ELc67EKPKS2_S5_KPS2_EEvlllT_PT11_llSA_llS8_PT12_llPT13_lli.kd
    .uniform_work_group_size: 1
    .uses_dynamic_stack: false
    .vgpr_count:     128
    .vgpr_spill_count: 0
    .wavefront_size: 64
  - .agpr_count:     0
    .args:
      - .offset:         0
        .size:           4
        .value_kind:     by_value
      - .offset:         4
        .size:           4
        .value_kind:     by_value
      - .offset:         8
        .size:           16
        .value_kind:     by_value
      - .address_space:  global
        .offset:         24
        .size:           8
        .value_kind:     global_buffer
      - .offset:         32
        .size:           8
        .value_kind:     by_value
      - .offset:         40
        .size:           8
        .value_kind:     by_value
      - .offset:         48
        .size:           8
        .value_kind:     by_value
      - .offset:         56
        .size:           4
        .value_kind:     by_value
    .group_segment_fixed_size: 0
    .kernarg_segment_align: 8
    .kernarg_segment_size: 60
    .language:       OpenCL C
    .language_version:
      - 2
      - 0
    .max_flat_workgroup_size: 1024
    .name:           _ZN12_GLOBAL__N_125rocblas_gemm_scale_kernelILi32ELi32E19rocblas_complex_numIdEPKPS2_EEviiT1_T2_llli
    .private_segment_fixed_size: 0
    .sgpr_count:     24
    .sgpr_spill_count: 0
    .symbol:         _ZN12_GLOBAL__N_125rocblas_gemm_scale_kernelILi32ELi32E19rocblas_complex_numIdEPKPS2_EEviiT1_T2_llli.kd
    .uniform_work_group_size: 1
    .uses_dynamic_stack: false
    .vgpr_count:     12
    .vgpr_spill_count: 0
    .wavefront_size: 64
  - .agpr_count:     0
    .args:
      - .offset:         0
        .size:           4
        .value_kind:     by_value
      - .offset:         4
        .size:           4
        .value_kind:     by_value
      - .offset:         8
        .size:           16
        .value_kind:     by_value
      - .address_space:  global
        .offset:         24
        .size:           8
        .value_kind:     global_buffer
      - .offset:         32
        .size:           8
        .value_kind:     by_value
      - .offset:         40
        .size:           8
        .value_kind:     by_value
      - .offset:         48
        .size:           8
        .value_kind:     by_value
      - .address_space:  global
        .offset:         56
        .size:           8
        .value_kind:     global_buffer
      - .offset:         64
        .size:           8
        .value_kind:     by_value
      - .offset:         72
        .size:           8
        .value_kind:     by_value
      - .offset:         80
        .size:           8
        .value_kind:     by_value
      - .offset:         88
        .size:           4
        .value_kind:     by_value
    .group_segment_fixed_size: 0
    .kernarg_segment_align: 8
    .kernarg_segment_size: 92
    .language:       OpenCL C
    .language_version:
      - 2
      - 0
    .max_flat_workgroup_size: 1024
    .name:           _ZN12_GLOBAL__N_120gemm_ex_scale_kernelILi32ELi32E19rocblas_complex_numIdEPKPKS2_PKPS2_EEviiT1_T2_lllT3_llli
    .private_segment_fixed_size: 0
    .sgpr_count:     28
    .sgpr_spill_count: 0
    .symbol:         _ZN12_GLOBAL__N_120gemm_ex_scale_kernelILi32ELi32E19rocblas_complex_numIdEPKPKS2_PKPS2_EEviiT1_T2_lllT3_llli.kd
    .uniform_work_group_size: 1
    .uses_dynamic_stack: false
    .vgpr_count:     12
    .vgpr_spill_count: 0
    .wavefront_size: 64
  - .agpr_count:     0
    .args:
      - .offset:         0
        .size:           8
        .value_kind:     by_value
      - .offset:         8
        .size:           8
        .value_kind:     by_value
      - .offset:         16
        .size:           8
        .value_kind:     by_value
      - .offset:         24
        .size:           16
        .value_kind:     by_value
      - .address_space:  global
        .offset:         40
        .size:           8
        .value_kind:     global_buffer
      - .offset:         48
        .size:           8
        .value_kind:     by_value
      - .offset:         56
        .size:           8
        .value_kind:     by_value
      - .address_space:  global
        .offset:         64
        .size:           8
        .value_kind:     global_buffer
      - .offset:         72
        .size:           8
        .value_kind:     by_value
      - .offset:         80
        .size:           8
        .value_kind:     by_value
      - .offset:         88
        .size:           16
        .value_kind:     by_value
      - .address_space:  global
        .offset:         104
        .size:           8
        .value_kind:     global_buffer
      - .offset:         112
        .size:           8
        .value_kind:     by_value
      - .offset:         120
        .size:           8
        .value_kind:     by_value
      - .address_space:  global
        .offset:         128
        .size:           8
        .value_kind:     global_buffer
      - .offset:         136
        .size:           8
        .value_kind:     by_value
      - .offset:         144
        .size:           8
        .value_kind:     by_value
      - .offset:         152
        .size:           4
        .value_kind:     by_value
    .group_segment_fixed_size: 8192
    .kernarg_segment_align: 8
    .kernarg_segment_size: 156
    .language:       OpenCL C
    .language_version:
      - 2
      - 0
    .max_flat_workgroup_size: 256
    .name:           _ZN12_GLOBAL__N_127rocblas_gemm_batched_kernelI19rocblas_complex_numIdELi16ELi16ELi64ELi64ELi4ELi64ELi4ELi4ELi64ELc78ELc78EKPKS2_S5_KPS2_EEvlllT_PT11_llSA_llS8_PT12_llPT13_lli
    .private_segment_fixed_size: 0
    .sgpr_count:     56
    .sgpr_spill_count: 0
    .symbol:         _ZN12_GLOBAL__N_127rocblas_gemm_batched_kernelI19rocblas_complex_numIdELi16ELi16ELi64ELi64ELi4ELi64ELi4ELi4ELi64ELc78ELc78EKPKS2_S5_KPS2_EEvlllT_PT11_llSA_llS8_PT12_llPT13_lli.kd
    .uniform_work_group_size: 1
    .uses_dynamic_stack: false
    .vgpr_count:     138
    .vgpr_spill_count: 0
    .wavefront_size: 64
  - .agpr_count:     0
    .args:
      - .offset:         0
        .size:           8
        .value_kind:     by_value
      - .offset:         8
        .size:           8
        .value_kind:     by_value
      - .offset:         16
        .size:           8
        .value_kind:     by_value
      - .offset:         24
        .size:           16
        .value_kind:     by_value
      - .address_space:  global
        .offset:         40
        .size:           8
        .value_kind:     global_buffer
      - .offset:         48
        .size:           8
        .value_kind:     by_value
      - .offset:         56
        .size:           8
        .value_kind:     by_value
      - .address_space:  global
        .offset:         64
        .size:           8
        .value_kind:     global_buffer
      - .offset:         72
        .size:           8
        .value_kind:     by_value
      - .offset:         80
        .size:           8
        .value_kind:     by_value
      - .offset:         88
        .size:           16
        .value_kind:     by_value
      - .address_space:  global
        .offset:         104
        .size:           8
        .value_kind:     global_buffer
      - .offset:         112
        .size:           8
        .value_kind:     by_value
      - .offset:         120
        .size:           8
        .value_kind:     by_value
      - .address_space:  global
        .offset:         128
        .size:           8
        .value_kind:     global_buffer
      - .offset:         136
        .size:           8
        .value_kind:     by_value
      - .offset:         144
        .size:           8
        .value_kind:     by_value
      - .offset:         152
        .size:           4
        .value_kind:     by_value
    .group_segment_fixed_size: 8192
    .kernarg_segment_align: 8
    .kernarg_segment_size: 156
    .language:       OpenCL C
    .language_version:
      - 2
      - 0
    .max_flat_workgroup_size: 256
    .name:           _ZN12_GLOBAL__N_127rocblas_gemm_batched_kernelI19rocblas_complex_numIdELi16ELi16ELi64ELi64ELi4ELi64ELi4ELi4ELi64ELc84ELc78EKPKS2_S5_KPS2_EEvlllT_PT11_llSA_llS8_PT12_llPT13_lli
    .private_segment_fixed_size: 0
    .sgpr_count:     56
    .sgpr_spill_count: 0
    .symbol:         _ZN12_GLOBAL__N_127rocblas_gemm_batched_kernelI19rocblas_complex_numIdELi16ELi16ELi64ELi64ELi4ELi64ELi4ELi4ELi64ELc84ELc78EKPKS2_S5_KPS2_EEvlllT_PT11_llSA_llS8_PT12_llPT13_lli.kd
    .uniform_work_group_size: 1
    .uses_dynamic_stack: false
    .vgpr_count:     136
    .vgpr_spill_count: 0
    .wavefront_size: 64
  - .agpr_count:     0
    .args:
      - .offset:         0
        .size:           8
        .value_kind:     by_value
      - .offset:         8
        .size:           8
        .value_kind:     by_value
      - .offset:         16
        .size:           8
        .value_kind:     by_value
      - .offset:         24
        .size:           16
        .value_kind:     by_value
      - .address_space:  global
        .offset:         40
        .size:           8
        .value_kind:     global_buffer
      - .offset:         48
        .size:           8
        .value_kind:     by_value
      - .offset:         56
        .size:           8
        .value_kind:     by_value
      - .address_space:  global
        .offset:         64
        .size:           8
        .value_kind:     global_buffer
      - .offset:         72
        .size:           8
        .value_kind:     by_value
      - .offset:         80
        .size:           8
        .value_kind:     by_value
      - .offset:         88
        .size:           16
        .value_kind:     by_value
      - .address_space:  global
        .offset:         104
        .size:           8
        .value_kind:     global_buffer
      - .offset:         112
        .size:           8
        .value_kind:     by_value
      - .offset:         120
        .size:           8
        .value_kind:     by_value
      - .address_space:  global
        .offset:         128
        .size:           8
        .value_kind:     global_buffer
      - .offset:         136
        .size:           8
        .value_kind:     by_value
      - .offset:         144
        .size:           8
        .value_kind:     by_value
      - .offset:         152
        .size:           4
        .value_kind:     by_value
    .group_segment_fixed_size: 8192
    .kernarg_segment_align: 8
    .kernarg_segment_size: 156
    .language:       OpenCL C
    .language_version:
      - 2
      - 0
    .max_flat_workgroup_size: 256
    .name:           _ZN12_GLOBAL__N_127rocblas_gemm_batched_kernelI19rocblas_complex_numIdELi16ELi16ELi64ELi64ELi4ELi64ELi4ELi4ELi64ELc78ELc84EKPKS2_S5_KPS2_EEvlllT_PT11_llSA_llS8_PT12_llPT13_lli
    .private_segment_fixed_size: 0
    .sgpr_count:     56
    .sgpr_spill_count: 0
    .symbol:         _ZN12_GLOBAL__N_127rocblas_gemm_batched_kernelI19rocblas_complex_numIdELi16ELi16ELi64ELi64ELi4ELi64ELi4ELi4ELi64ELc78ELc84EKPKS2_S5_KPS2_EEvlllT_PT11_llSA_llS8_PT12_llPT13_lli.kd
    .uniform_work_group_size: 1
    .uses_dynamic_stack: false
    .vgpr_count:     138
    .vgpr_spill_count: 0
    .wavefront_size: 64
  - .agpr_count:     0
    .args:
      - .offset:         0
        .size:           8
        .value_kind:     by_value
      - .offset:         8
        .size:           8
        .value_kind:     by_value
      - .offset:         16
        .size:           8
        .value_kind:     by_value
      - .offset:         24
        .size:           16
        .value_kind:     by_value
      - .address_space:  global
        .offset:         40
        .size:           8
        .value_kind:     global_buffer
      - .offset:         48
        .size:           8
        .value_kind:     by_value
      - .offset:         56
        .size:           8
        .value_kind:     by_value
      - .address_space:  global
        .offset:         64
        .size:           8
        .value_kind:     global_buffer
      - .offset:         72
        .size:           8
        .value_kind:     by_value
      - .offset:         80
        .size:           8
        .value_kind:     by_value
      - .offset:         88
        .size:           16
        .value_kind:     by_value
      - .address_space:  global
        .offset:         104
        .size:           8
        .value_kind:     global_buffer
      - .offset:         112
        .size:           8
        .value_kind:     by_value
      - .offset:         120
        .size:           8
        .value_kind:     by_value
      - .address_space:  global
        .offset:         128
        .size:           8
        .value_kind:     global_buffer
      - .offset:         136
        .size:           8
        .value_kind:     by_value
      - .offset:         144
        .size:           8
        .value_kind:     by_value
      - .offset:         152
        .size:           4
        .value_kind:     by_value
    .group_segment_fixed_size: 8192
    .kernarg_segment_align: 8
    .kernarg_segment_size: 156
    .language:       OpenCL C
    .language_version:
      - 2
      - 0
    .max_flat_workgroup_size: 256
    .name:           _ZN12_GLOBAL__N_127rocblas_gemm_batched_kernelI19rocblas_complex_numIdELi16ELi16ELi64ELi64ELi4ELi64ELi4ELi4ELi64ELc84ELc84EKPKS2_S5_KPS2_EEvlllT_PT11_llSA_llS8_PT12_llPT13_lli
    .private_segment_fixed_size: 0
    .sgpr_count:     56
    .sgpr_spill_count: 0
    .symbol:         _ZN12_GLOBAL__N_127rocblas_gemm_batched_kernelI19rocblas_complex_numIdELi16ELi16ELi64ELi64ELi4ELi64ELi4ELi4ELi64ELc84ELc84EKPKS2_S5_KPS2_EEvlllT_PT11_llSA_llS8_PT12_llPT13_lli.kd
    .uniform_work_group_size: 1
    .uses_dynamic_stack: false
    .vgpr_count:     138
    .vgpr_spill_count: 0
    .wavefront_size: 64
  - .agpr_count:     0
    .args:
      - .offset:         0
        .size:           8
        .value_kind:     by_value
      - .offset:         8
        .size:           8
        .value_kind:     by_value
      - .offset:         16
        .size:           8
        .value_kind:     by_value
      - .offset:         24
        .size:           16
        .value_kind:     by_value
      - .address_space:  global
        .offset:         40
        .size:           8
        .value_kind:     global_buffer
      - .offset:         48
        .size:           8
        .value_kind:     by_value
      - .offset:         56
        .size:           8
        .value_kind:     by_value
      - .address_space:  global
        .offset:         64
        .size:           8
        .value_kind:     global_buffer
      - .offset:         72
        .size:           8
        .value_kind:     by_value
      - .offset:         80
        .size:           8
        .value_kind:     by_value
      - .offset:         88
        .size:           16
        .value_kind:     by_value
      - .address_space:  global
        .offset:         104
        .size:           8
        .value_kind:     global_buffer
      - .offset:         112
        .size:           8
        .value_kind:     by_value
      - .offset:         120
        .size:           8
        .value_kind:     by_value
      - .address_space:  global
        .offset:         128
        .size:           8
        .value_kind:     global_buffer
      - .offset:         136
        .size:           8
        .value_kind:     by_value
      - .offset:         144
        .size:           8
        .value_kind:     by_value
      - .offset:         152
        .size:           4
        .value_kind:     by_value
    .group_segment_fixed_size: 8192
    .kernarg_segment_align: 8
    .kernarg_segment_size: 156
    .language:       OpenCL C
    .language_version:
      - 2
      - 0
    .max_flat_workgroup_size: 256
    .name:           _ZN12_GLOBAL__N_127rocblas_gemm_batched_kernelI19rocblas_complex_numIdELi16ELi16ELi64ELi64ELi4ELi64ELi4ELi4ELi64ELc67ELc67EKPKS2_S5_KPS2_EEvlllT_PT11_llSA_llS8_PT12_llPT13_lli
    .private_segment_fixed_size: 0
    .sgpr_count:     56
    .sgpr_spill_count: 0
    .symbol:         _ZN12_GLOBAL__N_127rocblas_gemm_batched_kernelI19rocblas_complex_numIdELi16ELi16ELi64ELi64ELi4ELi64ELi4ELi4ELi64ELc67ELc67EKPKS2_S5_KPS2_EEvlllT_PT11_llSA_llS8_PT12_llPT13_lli.kd
    .uniform_work_group_size: 1
    .uses_dynamic_stack: false
    .vgpr_count:     138
    .vgpr_spill_count: 0
    .wavefront_size: 64
  - .agpr_count:     0
    .args:
      - .offset:         0
        .size:           8
        .value_kind:     by_value
      - .offset:         8
        .size:           8
        .value_kind:     by_value
      - .offset:         16
        .size:           8
        .value_kind:     by_value
      - .offset:         24
        .size:           16
        .value_kind:     by_value
      - .address_space:  global
        .offset:         40
        .size:           8
        .value_kind:     global_buffer
      - .offset:         48
        .size:           8
        .value_kind:     by_value
      - .offset:         56
        .size:           8
        .value_kind:     by_value
      - .address_space:  global
        .offset:         64
        .size:           8
        .value_kind:     global_buffer
      - .offset:         72
        .size:           8
        .value_kind:     by_value
      - .offset:         80
        .size:           8
        .value_kind:     by_value
      - .offset:         88
        .size:           16
        .value_kind:     by_value
      - .address_space:  global
        .offset:         104
        .size:           8
        .value_kind:     global_buffer
      - .offset:         112
        .size:           8
        .value_kind:     by_value
      - .offset:         120
        .size:           8
        .value_kind:     by_value
      - .address_space:  global
        .offset:         128
        .size:           8
        .value_kind:     global_buffer
      - .offset:         136
        .size:           8
        .value_kind:     by_value
      - .offset:         144
        .size:           8
        .value_kind:     by_value
      - .offset:         152
        .size:           4
        .value_kind:     by_value
    .group_segment_fixed_size: 8192
    .kernarg_segment_align: 8
    .kernarg_segment_size: 156
    .language:       OpenCL C
    .language_version:
      - 2
      - 0
    .max_flat_workgroup_size: 256
    .name:           _ZN12_GLOBAL__N_127rocblas_gemm_batched_kernelI19rocblas_complex_numIdELi16ELi16ELi64ELi64ELi4ELi64ELi4ELi4ELi64ELc67ELc78EKPKS2_S5_KPS2_EEvlllT_PT11_llSA_llS8_PT12_llPT13_lli
    .private_segment_fixed_size: 0
    .sgpr_count:     56
    .sgpr_spill_count: 0
    .symbol:         _ZN12_GLOBAL__N_127rocblas_gemm_batched_kernelI19rocblas_complex_numIdELi16ELi16ELi64ELi64ELi4ELi64ELi4ELi4ELi64ELc67ELc78EKPKS2_S5_KPS2_EEvlllT_PT11_llSA_llS8_PT12_llPT13_lli.kd
    .uniform_work_group_size: 1
    .uses_dynamic_stack: false
    .vgpr_count:     136
    .vgpr_spill_count: 0
    .wavefront_size: 64
  - .agpr_count:     0
    .args:
      - .offset:         0
        .size:           8
        .value_kind:     by_value
      - .offset:         8
        .size:           8
        .value_kind:     by_value
      - .offset:         16
        .size:           8
        .value_kind:     by_value
      - .offset:         24
        .size:           16
        .value_kind:     by_value
      - .address_space:  global
        .offset:         40
        .size:           8
        .value_kind:     global_buffer
      - .offset:         48
        .size:           8
        .value_kind:     by_value
      - .offset:         56
        .size:           8
        .value_kind:     by_value
      - .address_space:  global
        .offset:         64
        .size:           8
        .value_kind:     global_buffer
      - .offset:         72
        .size:           8
        .value_kind:     by_value
      - .offset:         80
        .size:           8
        .value_kind:     by_value
      - .offset:         88
        .size:           16
        .value_kind:     by_value
      - .address_space:  global
        .offset:         104
        .size:           8
        .value_kind:     global_buffer
      - .offset:         112
        .size:           8
        .value_kind:     by_value
      - .offset:         120
        .size:           8
        .value_kind:     by_value
      - .address_space:  global
        .offset:         128
        .size:           8
        .value_kind:     global_buffer
      - .offset:         136
        .size:           8
        .value_kind:     by_value
      - .offset:         144
        .size:           8
        .value_kind:     by_value
      - .offset:         152
        .size:           4
        .value_kind:     by_value
    .group_segment_fixed_size: 8192
    .kernarg_segment_align: 8
    .kernarg_segment_size: 156
    .language:       OpenCL C
    .language_version:
      - 2
      - 0
    .max_flat_workgroup_size: 256
    .name:           _ZN12_GLOBAL__N_127rocblas_gemm_batched_kernelI19rocblas_complex_numIdELi16ELi16ELi64ELi64ELi4ELi64ELi4ELi4ELi64ELc67ELc84EKPKS2_S5_KPS2_EEvlllT_PT11_llSA_llS8_PT12_llPT13_lli
    .private_segment_fixed_size: 0
    .sgpr_count:     56
    .sgpr_spill_count: 0
    .symbol:         _ZN12_GLOBAL__N_127rocblas_gemm_batched_kernelI19rocblas_complex_numIdELi16ELi16ELi64ELi64ELi4ELi64ELi4ELi4ELi64ELc67ELc84EKPKS2_S5_KPS2_EEvlllT_PT11_llSA_llS8_PT12_llPT13_lli.kd
    .uniform_work_group_size: 1
    .uses_dynamic_stack: false
    .vgpr_count:     138
    .vgpr_spill_count: 0
    .wavefront_size: 64
  - .agpr_count:     0
    .args:
      - .offset:         0
        .size:           8
        .value_kind:     by_value
      - .offset:         8
        .size:           8
        .value_kind:     by_value
      - .offset:         16
        .size:           8
        .value_kind:     by_value
      - .offset:         24
        .size:           16
        .value_kind:     by_value
      - .address_space:  global
        .offset:         40
        .size:           8
        .value_kind:     global_buffer
      - .offset:         48
        .size:           8
        .value_kind:     by_value
      - .offset:         56
        .size:           8
        .value_kind:     by_value
      - .address_space:  global
        .offset:         64
        .size:           8
        .value_kind:     global_buffer
      - .offset:         72
        .size:           8
        .value_kind:     by_value
      - .offset:         80
        .size:           8
        .value_kind:     by_value
      - .offset:         88
        .size:           16
        .value_kind:     by_value
      - .address_space:  global
        .offset:         104
        .size:           8
        .value_kind:     global_buffer
      - .offset:         112
        .size:           8
        .value_kind:     by_value
      - .offset:         120
        .size:           8
        .value_kind:     by_value
      - .address_space:  global
        .offset:         128
        .size:           8
        .value_kind:     global_buffer
      - .offset:         136
        .size:           8
        .value_kind:     by_value
      - .offset:         144
        .size:           8
        .value_kind:     by_value
      - .offset:         152
        .size:           4
        .value_kind:     by_value
    .group_segment_fixed_size: 8192
    .kernarg_segment_align: 8
    .kernarg_segment_size: 156
    .language:       OpenCL C
    .language_version:
      - 2
      - 0
    .max_flat_workgroup_size: 256
    .name:           _ZN12_GLOBAL__N_127rocblas_gemm_batched_kernelI19rocblas_complex_numIdELi16ELi16ELi64ELi64ELi4ELi64ELi4ELi4ELi64ELc78ELc67EKPKS2_S5_KPS2_EEvlllT_PT11_llSA_llS8_PT12_llPT13_lli
    .private_segment_fixed_size: 0
    .sgpr_count:     56
    .sgpr_spill_count: 0
    .symbol:         _ZN12_GLOBAL__N_127rocblas_gemm_batched_kernelI19rocblas_complex_numIdELi16ELi16ELi64ELi64ELi4ELi64ELi4ELi4ELi64ELc78ELc67EKPKS2_S5_KPS2_EEvlllT_PT11_llSA_llS8_PT12_llPT13_lli.kd
    .uniform_work_group_size: 1
    .uses_dynamic_stack: false
    .vgpr_count:     138
    .vgpr_spill_count: 0
    .wavefront_size: 64
  - .agpr_count:     0
    .args:
      - .offset:         0
        .size:           8
        .value_kind:     by_value
      - .offset:         8
        .size:           8
        .value_kind:     by_value
      - .offset:         16
        .size:           8
        .value_kind:     by_value
      - .offset:         24
        .size:           16
        .value_kind:     by_value
      - .address_space:  global
        .offset:         40
        .size:           8
        .value_kind:     global_buffer
      - .offset:         48
        .size:           8
        .value_kind:     by_value
      - .offset:         56
        .size:           8
        .value_kind:     by_value
      - .address_space:  global
        .offset:         64
        .size:           8
        .value_kind:     global_buffer
      - .offset:         72
        .size:           8
        .value_kind:     by_value
      - .offset:         80
        .size:           8
        .value_kind:     by_value
      - .offset:         88
        .size:           16
        .value_kind:     by_value
      - .address_space:  global
        .offset:         104
        .size:           8
        .value_kind:     global_buffer
      - .offset:         112
        .size:           8
        .value_kind:     by_value
      - .offset:         120
        .size:           8
        .value_kind:     by_value
      - .address_space:  global
        .offset:         128
        .size:           8
        .value_kind:     global_buffer
      - .offset:         136
        .size:           8
        .value_kind:     by_value
      - .offset:         144
        .size:           8
        .value_kind:     by_value
      - .offset:         152
        .size:           4
        .value_kind:     by_value
    .group_segment_fixed_size: 8192
    .kernarg_segment_align: 8
    .kernarg_segment_size: 156
    .language:       OpenCL C
    .language_version:
      - 2
      - 0
    .max_flat_workgroup_size: 256
    .name:           _ZN12_GLOBAL__N_127rocblas_gemm_batched_kernelI19rocblas_complex_numIdELi16ELi16ELi64ELi64ELi4ELi64ELi4ELi4ELi64ELc84ELc67EKPKS2_S5_KPS2_EEvlllT_PT11_llSA_llS8_PT12_llPT13_lli
    .private_segment_fixed_size: 0
    .sgpr_count:     56
    .sgpr_spill_count: 0
    .symbol:         _ZN12_GLOBAL__N_127rocblas_gemm_batched_kernelI19rocblas_complex_numIdELi16ELi16ELi64ELi64ELi4ELi64ELi4ELi4ELi64ELc84ELc67EKPKS2_S5_KPS2_EEvlllT_PT11_llSA_llS8_PT12_llPT13_lli.kd
    .uniform_work_group_size: 1
    .uses_dynamic_stack: false
    .vgpr_count:     138
    .vgpr_spill_count: 0
    .wavefront_size: 64
  - .agpr_count:     0
    .args:
      - .offset:         0
        .size:           8
        .value_kind:     by_value
      - .offset:         8
        .size:           8
        .value_kind:     by_value
      - .offset:         16
        .size:           8
        .value_kind:     by_value
      - .offset:         24
        .size:           16
        .value_kind:     by_value
      - .address_space:  global
        .offset:         40
        .size:           8
        .value_kind:     global_buffer
      - .offset:         48
        .size:           8
        .value_kind:     by_value
      - .offset:         56
        .size:           8
        .value_kind:     by_value
      - .address_space:  global
        .offset:         64
        .size:           8
        .value_kind:     global_buffer
      - .offset:         72
        .size:           8
        .value_kind:     by_value
      - .offset:         80
        .size:           8
        .value_kind:     by_value
      - .offset:         88
        .size:           16
        .value_kind:     by_value
      - .address_space:  global
        .offset:         104
        .size:           8
        .value_kind:     global_buffer
      - .offset:         112
        .size:           8
        .value_kind:     by_value
      - .offset:         120
        .size:           8
        .value_kind:     by_value
      - .address_space:  global
        .offset:         128
        .size:           8
        .value_kind:     global_buffer
      - .offset:         136
        .size:           8
        .value_kind:     by_value
      - .offset:         144
        .size:           8
        .value_kind:     by_value
      - .offset:         152
        .size:           4
        .value_kind:     by_value
    .group_segment_fixed_size: 8192
    .kernarg_segment_align: 8
    .kernarg_segment_size: 156
    .language:       OpenCL C
    .language_version:
      - 2
      - 0
    .max_flat_workgroup_size: 256
    .name:           _ZN12_GLOBAL__N_127rocblas_gemm_batched_kernelI19rocblas_complex_numIdELi16ELi16ELi32ELi32ELi8ELi32ELi8ELi8ELi32ELc78ELc78EKPKS2_S5_KPS2_EEvlllT_PT11_llSA_llS8_PT12_llPT13_lli
    .private_segment_fixed_size: 0
    .sgpr_count:     56
    .sgpr_spill_count: 0
    .symbol:         _ZN12_GLOBAL__N_127rocblas_gemm_batched_kernelI19rocblas_complex_numIdELi16ELi16ELi32ELi32ELi8ELi32ELi8ELi8ELi32ELc78ELc78EKPKS2_S5_KPS2_EEvlllT_PT11_llSA_llS8_PT12_llPT13_lli.kd
    .uniform_work_group_size: 1
    .uses_dynamic_stack: false
    .vgpr_count:     56
    .vgpr_spill_count: 0
    .wavefront_size: 64
  - .agpr_count:     0
    .args:
      - .offset:         0
        .size:           8
        .value_kind:     by_value
      - .offset:         8
        .size:           8
        .value_kind:     by_value
      - .offset:         16
        .size:           8
        .value_kind:     by_value
      - .offset:         24
        .size:           16
        .value_kind:     by_value
      - .address_space:  global
        .offset:         40
        .size:           8
        .value_kind:     global_buffer
      - .offset:         48
        .size:           8
        .value_kind:     by_value
      - .offset:         56
        .size:           8
        .value_kind:     by_value
      - .address_space:  global
        .offset:         64
        .size:           8
        .value_kind:     global_buffer
      - .offset:         72
        .size:           8
        .value_kind:     by_value
      - .offset:         80
        .size:           8
        .value_kind:     by_value
      - .offset:         88
        .size:           16
        .value_kind:     by_value
      - .address_space:  global
        .offset:         104
        .size:           8
        .value_kind:     global_buffer
      - .offset:         112
        .size:           8
        .value_kind:     by_value
      - .offset:         120
        .size:           8
        .value_kind:     by_value
      - .address_space:  global
        .offset:         128
        .size:           8
        .value_kind:     global_buffer
      - .offset:         136
        .size:           8
        .value_kind:     by_value
      - .offset:         144
        .size:           8
        .value_kind:     by_value
      - .offset:         152
        .size:           4
        .value_kind:     by_value
    .group_segment_fixed_size: 8192
    .kernarg_segment_align: 8
    .kernarg_segment_size: 156
    .language:       OpenCL C
    .language_version:
      - 2
      - 0
    .max_flat_workgroup_size: 256
    .name:           _ZN12_GLOBAL__N_127rocblas_gemm_batched_kernelI19rocblas_complex_numIdELi16ELi16ELi32ELi32ELi8ELi32ELi8ELi8ELi32ELc84ELc78EKPKS2_S5_KPS2_EEvlllT_PT11_llSA_llS8_PT12_llPT13_lli
    .private_segment_fixed_size: 0
    .sgpr_count:     56
    .sgpr_spill_count: 0
    .symbol:         _ZN12_GLOBAL__N_127rocblas_gemm_batched_kernelI19rocblas_complex_numIdELi16ELi16ELi32ELi32ELi8ELi32ELi8ELi8ELi32ELc84ELc78EKPKS2_S5_KPS2_EEvlllT_PT11_llSA_llS8_PT12_llPT13_lli.kd
    .uniform_work_group_size: 1
    .uses_dynamic_stack: false
    .vgpr_count:     54
    .vgpr_spill_count: 0
    .wavefront_size: 64
  - .agpr_count:     0
    .args:
      - .offset:         0
        .size:           8
        .value_kind:     by_value
      - .offset:         8
        .size:           8
        .value_kind:     by_value
      - .offset:         16
        .size:           8
        .value_kind:     by_value
      - .offset:         24
        .size:           16
        .value_kind:     by_value
      - .address_space:  global
        .offset:         40
        .size:           8
        .value_kind:     global_buffer
      - .offset:         48
        .size:           8
        .value_kind:     by_value
      - .offset:         56
        .size:           8
        .value_kind:     by_value
      - .address_space:  global
        .offset:         64
        .size:           8
        .value_kind:     global_buffer
      - .offset:         72
        .size:           8
        .value_kind:     by_value
      - .offset:         80
        .size:           8
        .value_kind:     by_value
      - .offset:         88
        .size:           16
        .value_kind:     by_value
      - .address_space:  global
        .offset:         104
        .size:           8
        .value_kind:     global_buffer
      - .offset:         112
        .size:           8
        .value_kind:     by_value
      - .offset:         120
        .size:           8
        .value_kind:     by_value
      - .address_space:  global
        .offset:         128
        .size:           8
        .value_kind:     global_buffer
      - .offset:         136
        .size:           8
        .value_kind:     by_value
      - .offset:         144
        .size:           8
        .value_kind:     by_value
      - .offset:         152
        .size:           4
        .value_kind:     by_value
    .group_segment_fixed_size: 8192
    .kernarg_segment_align: 8
    .kernarg_segment_size: 156
    .language:       OpenCL C
    .language_version:
      - 2
      - 0
    .max_flat_workgroup_size: 256
    .name:           _ZN12_GLOBAL__N_127rocblas_gemm_batched_kernelI19rocblas_complex_numIdELi16ELi16ELi32ELi32ELi8ELi32ELi8ELi8ELi32ELc78ELc84EKPKS2_S5_KPS2_EEvlllT_PT11_llSA_llS8_PT12_llPT13_lli
    .private_segment_fixed_size: 0
    .sgpr_count:     56
    .sgpr_spill_count: 0
    .symbol:         _ZN12_GLOBAL__N_127rocblas_gemm_batched_kernelI19rocblas_complex_numIdELi16ELi16ELi32ELi32ELi8ELi32ELi8ELi8ELi32ELc78ELc84EKPKS2_S5_KPS2_EEvlllT_PT11_llSA_llS8_PT12_llPT13_lli.kd
    .uniform_work_group_size: 1
    .uses_dynamic_stack: false
    .vgpr_count:     56
    .vgpr_spill_count: 0
    .wavefront_size: 64
  - .agpr_count:     0
    .args:
      - .offset:         0
        .size:           8
        .value_kind:     by_value
      - .offset:         8
        .size:           8
        .value_kind:     by_value
      - .offset:         16
        .size:           8
        .value_kind:     by_value
      - .offset:         24
        .size:           16
        .value_kind:     by_value
      - .address_space:  global
        .offset:         40
        .size:           8
        .value_kind:     global_buffer
      - .offset:         48
        .size:           8
        .value_kind:     by_value
      - .offset:         56
        .size:           8
        .value_kind:     by_value
      - .address_space:  global
        .offset:         64
        .size:           8
        .value_kind:     global_buffer
      - .offset:         72
        .size:           8
        .value_kind:     by_value
      - .offset:         80
        .size:           8
        .value_kind:     by_value
      - .offset:         88
        .size:           16
        .value_kind:     by_value
      - .address_space:  global
        .offset:         104
        .size:           8
        .value_kind:     global_buffer
      - .offset:         112
        .size:           8
        .value_kind:     by_value
      - .offset:         120
        .size:           8
        .value_kind:     by_value
      - .address_space:  global
        .offset:         128
        .size:           8
        .value_kind:     global_buffer
      - .offset:         136
        .size:           8
        .value_kind:     by_value
      - .offset:         144
        .size:           8
        .value_kind:     by_value
      - .offset:         152
        .size:           4
        .value_kind:     by_value
    .group_segment_fixed_size: 8192
    .kernarg_segment_align: 8
    .kernarg_segment_size: 156
    .language:       OpenCL C
    .language_version:
      - 2
      - 0
    .max_flat_workgroup_size: 256
    .name:           _ZN12_GLOBAL__N_127rocblas_gemm_batched_kernelI19rocblas_complex_numIdELi16ELi16ELi32ELi32ELi8ELi32ELi8ELi8ELi32ELc84ELc84EKPKS2_S5_KPS2_EEvlllT_PT11_llSA_llS8_PT12_llPT13_lli
    .private_segment_fixed_size: 0
    .sgpr_count:     56
    .sgpr_spill_count: 0
    .symbol:         _ZN12_GLOBAL__N_127rocblas_gemm_batched_kernelI19rocblas_complex_numIdELi16ELi16ELi32ELi32ELi8ELi32ELi8ELi8ELi32ELc84ELc84EKPKS2_S5_KPS2_EEvlllT_PT11_llSA_llS8_PT12_llPT13_lli.kd
    .uniform_work_group_size: 1
    .uses_dynamic_stack: false
    .vgpr_count:     56
    .vgpr_spill_count: 0
    .wavefront_size: 64
  - .agpr_count:     0
    .args:
      - .offset:         0
        .size:           8
        .value_kind:     by_value
      - .offset:         8
        .size:           8
        .value_kind:     by_value
      - .offset:         16
        .size:           8
        .value_kind:     by_value
      - .offset:         24
        .size:           16
        .value_kind:     by_value
      - .address_space:  global
        .offset:         40
        .size:           8
        .value_kind:     global_buffer
      - .offset:         48
        .size:           8
        .value_kind:     by_value
      - .offset:         56
        .size:           8
        .value_kind:     by_value
      - .address_space:  global
        .offset:         64
        .size:           8
        .value_kind:     global_buffer
      - .offset:         72
        .size:           8
        .value_kind:     by_value
      - .offset:         80
        .size:           8
        .value_kind:     by_value
      - .offset:         88
        .size:           16
        .value_kind:     by_value
      - .address_space:  global
        .offset:         104
        .size:           8
        .value_kind:     global_buffer
      - .offset:         112
        .size:           8
        .value_kind:     by_value
      - .offset:         120
        .size:           8
        .value_kind:     by_value
      - .address_space:  global
        .offset:         128
        .size:           8
        .value_kind:     global_buffer
      - .offset:         136
        .size:           8
        .value_kind:     by_value
      - .offset:         144
        .size:           8
        .value_kind:     by_value
      - .offset:         152
        .size:           4
        .value_kind:     by_value
    .group_segment_fixed_size: 8192
    .kernarg_segment_align: 8
    .kernarg_segment_size: 156
    .language:       OpenCL C
    .language_version:
      - 2
      - 0
    .max_flat_workgroup_size: 256
    .name:           _ZN12_GLOBAL__N_127rocblas_gemm_batched_kernelI19rocblas_complex_numIdELi16ELi16ELi32ELi32ELi8ELi32ELi8ELi8ELi32ELc67ELc67EKPKS2_S5_KPS2_EEvlllT_PT11_llSA_llS8_PT12_llPT13_lli
    .private_segment_fixed_size: 0
    .sgpr_count:     56
    .sgpr_spill_count: 0
    .symbol:         _ZN12_GLOBAL__N_127rocblas_gemm_batched_kernelI19rocblas_complex_numIdELi16ELi16ELi32ELi32ELi8ELi32ELi8ELi8ELi32ELc67ELc67EKPKS2_S5_KPS2_EEvlllT_PT11_llSA_llS8_PT12_llPT13_lli.kd
    .uniform_work_group_size: 1
    .uses_dynamic_stack: false
    .vgpr_count:     56
    .vgpr_spill_count: 0
    .wavefront_size: 64
  - .agpr_count:     0
    .args:
      - .offset:         0
        .size:           8
        .value_kind:     by_value
      - .offset:         8
        .size:           8
        .value_kind:     by_value
      - .offset:         16
        .size:           8
        .value_kind:     by_value
      - .offset:         24
        .size:           16
        .value_kind:     by_value
      - .address_space:  global
        .offset:         40
        .size:           8
        .value_kind:     global_buffer
      - .offset:         48
        .size:           8
        .value_kind:     by_value
      - .offset:         56
        .size:           8
        .value_kind:     by_value
      - .address_space:  global
        .offset:         64
        .size:           8
        .value_kind:     global_buffer
      - .offset:         72
        .size:           8
        .value_kind:     by_value
      - .offset:         80
        .size:           8
        .value_kind:     by_value
      - .offset:         88
        .size:           16
        .value_kind:     by_value
      - .address_space:  global
        .offset:         104
        .size:           8
        .value_kind:     global_buffer
      - .offset:         112
        .size:           8
        .value_kind:     by_value
      - .offset:         120
        .size:           8
        .value_kind:     by_value
      - .address_space:  global
        .offset:         128
        .size:           8
        .value_kind:     global_buffer
      - .offset:         136
        .size:           8
        .value_kind:     by_value
      - .offset:         144
        .size:           8
        .value_kind:     by_value
      - .offset:         152
        .size:           4
        .value_kind:     by_value
    .group_segment_fixed_size: 8192
    .kernarg_segment_align: 8
    .kernarg_segment_size: 156
    .language:       OpenCL C
    .language_version:
      - 2
      - 0
    .max_flat_workgroup_size: 256
    .name:           _ZN12_GLOBAL__N_127rocblas_gemm_batched_kernelI19rocblas_complex_numIdELi16ELi16ELi32ELi32ELi8ELi32ELi8ELi8ELi32ELc67ELc78EKPKS2_S5_KPS2_EEvlllT_PT11_llSA_llS8_PT12_llPT13_lli
    .private_segment_fixed_size: 0
    .sgpr_count:     56
    .sgpr_spill_count: 0
    .symbol:         _ZN12_GLOBAL__N_127rocblas_gemm_batched_kernelI19rocblas_complex_numIdELi16ELi16ELi32ELi32ELi8ELi32ELi8ELi8ELi32ELc67ELc78EKPKS2_S5_KPS2_EEvlllT_PT11_llSA_llS8_PT12_llPT13_lli.kd
    .uniform_work_group_size: 1
    .uses_dynamic_stack: false
    .vgpr_count:     54
    .vgpr_spill_count: 0
    .wavefront_size: 64
  - .agpr_count:     0
    .args:
      - .offset:         0
        .size:           8
        .value_kind:     by_value
      - .offset:         8
        .size:           8
        .value_kind:     by_value
      - .offset:         16
        .size:           8
        .value_kind:     by_value
      - .offset:         24
        .size:           16
        .value_kind:     by_value
      - .address_space:  global
        .offset:         40
        .size:           8
        .value_kind:     global_buffer
      - .offset:         48
        .size:           8
        .value_kind:     by_value
      - .offset:         56
        .size:           8
        .value_kind:     by_value
      - .address_space:  global
        .offset:         64
        .size:           8
        .value_kind:     global_buffer
      - .offset:         72
        .size:           8
        .value_kind:     by_value
      - .offset:         80
        .size:           8
        .value_kind:     by_value
      - .offset:         88
        .size:           16
        .value_kind:     by_value
      - .address_space:  global
        .offset:         104
        .size:           8
        .value_kind:     global_buffer
      - .offset:         112
        .size:           8
        .value_kind:     by_value
      - .offset:         120
        .size:           8
        .value_kind:     by_value
      - .address_space:  global
        .offset:         128
        .size:           8
        .value_kind:     global_buffer
      - .offset:         136
        .size:           8
        .value_kind:     by_value
      - .offset:         144
        .size:           8
        .value_kind:     by_value
      - .offset:         152
        .size:           4
        .value_kind:     by_value
    .group_segment_fixed_size: 8192
    .kernarg_segment_align: 8
    .kernarg_segment_size: 156
    .language:       OpenCL C
    .language_version:
      - 2
      - 0
    .max_flat_workgroup_size: 256
    .name:           _ZN12_GLOBAL__N_127rocblas_gemm_batched_kernelI19rocblas_complex_numIdELi16ELi16ELi32ELi32ELi8ELi32ELi8ELi8ELi32ELc67ELc84EKPKS2_S5_KPS2_EEvlllT_PT11_llSA_llS8_PT12_llPT13_lli
    .private_segment_fixed_size: 0
    .sgpr_count:     56
    .sgpr_spill_count: 0
    .symbol:         _ZN12_GLOBAL__N_127rocblas_gemm_batched_kernelI19rocblas_complex_numIdELi16ELi16ELi32ELi32ELi8ELi32ELi8ELi8ELi32ELc67ELc84EKPKS2_S5_KPS2_EEvlllT_PT11_llSA_llS8_PT12_llPT13_lli.kd
    .uniform_work_group_size: 1
    .uses_dynamic_stack: false
    .vgpr_count:     56
    .vgpr_spill_count: 0
    .wavefront_size: 64
  - .agpr_count:     0
    .args:
      - .offset:         0
        .size:           8
        .value_kind:     by_value
      - .offset:         8
        .size:           8
        .value_kind:     by_value
      - .offset:         16
        .size:           8
        .value_kind:     by_value
      - .offset:         24
        .size:           16
        .value_kind:     by_value
      - .address_space:  global
        .offset:         40
        .size:           8
        .value_kind:     global_buffer
      - .offset:         48
        .size:           8
        .value_kind:     by_value
      - .offset:         56
        .size:           8
        .value_kind:     by_value
      - .address_space:  global
        .offset:         64
        .size:           8
        .value_kind:     global_buffer
      - .offset:         72
        .size:           8
        .value_kind:     by_value
      - .offset:         80
        .size:           8
        .value_kind:     by_value
      - .offset:         88
        .size:           16
        .value_kind:     by_value
      - .address_space:  global
        .offset:         104
        .size:           8
        .value_kind:     global_buffer
      - .offset:         112
        .size:           8
        .value_kind:     by_value
      - .offset:         120
        .size:           8
        .value_kind:     by_value
      - .address_space:  global
        .offset:         128
        .size:           8
        .value_kind:     global_buffer
      - .offset:         136
        .size:           8
        .value_kind:     by_value
      - .offset:         144
        .size:           8
        .value_kind:     by_value
      - .offset:         152
        .size:           4
        .value_kind:     by_value
    .group_segment_fixed_size: 8192
    .kernarg_segment_align: 8
    .kernarg_segment_size: 156
    .language:       OpenCL C
    .language_version:
      - 2
      - 0
    .max_flat_workgroup_size: 256
    .name:           _ZN12_GLOBAL__N_127rocblas_gemm_batched_kernelI19rocblas_complex_numIdELi16ELi16ELi32ELi32ELi8ELi32ELi8ELi8ELi32ELc78ELc67EKPKS2_S5_KPS2_EEvlllT_PT11_llSA_llS8_PT12_llPT13_lli
    .private_segment_fixed_size: 0
    .sgpr_count:     56
    .sgpr_spill_count: 0
    .symbol:         _ZN12_GLOBAL__N_127rocblas_gemm_batched_kernelI19rocblas_complex_numIdELi16ELi16ELi32ELi32ELi8ELi32ELi8ELi8ELi32ELc78ELc67EKPKS2_S5_KPS2_EEvlllT_PT11_llSA_llS8_PT12_llPT13_lli.kd
    .uniform_work_group_size: 1
    .uses_dynamic_stack: false
    .vgpr_count:     56
    .vgpr_spill_count: 0
    .wavefront_size: 64
  - .agpr_count:     0
    .args:
      - .offset:         0
        .size:           8
        .value_kind:     by_value
      - .offset:         8
        .size:           8
        .value_kind:     by_value
      - .offset:         16
        .size:           8
        .value_kind:     by_value
      - .offset:         24
        .size:           16
        .value_kind:     by_value
      - .address_space:  global
        .offset:         40
        .size:           8
        .value_kind:     global_buffer
      - .offset:         48
        .size:           8
        .value_kind:     by_value
      - .offset:         56
        .size:           8
        .value_kind:     by_value
      - .address_space:  global
        .offset:         64
        .size:           8
        .value_kind:     global_buffer
      - .offset:         72
        .size:           8
        .value_kind:     by_value
      - .offset:         80
        .size:           8
        .value_kind:     by_value
      - .offset:         88
        .size:           16
        .value_kind:     by_value
      - .address_space:  global
        .offset:         104
        .size:           8
        .value_kind:     global_buffer
      - .offset:         112
        .size:           8
        .value_kind:     by_value
      - .offset:         120
        .size:           8
        .value_kind:     by_value
      - .address_space:  global
        .offset:         128
        .size:           8
        .value_kind:     global_buffer
      - .offset:         136
        .size:           8
        .value_kind:     by_value
      - .offset:         144
        .size:           8
        .value_kind:     by_value
      - .offset:         152
        .size:           4
        .value_kind:     by_value
    .group_segment_fixed_size: 8192
    .kernarg_segment_align: 8
    .kernarg_segment_size: 156
    .language:       OpenCL C
    .language_version:
      - 2
      - 0
    .max_flat_workgroup_size: 256
    .name:           _ZN12_GLOBAL__N_127rocblas_gemm_batched_kernelI19rocblas_complex_numIdELi16ELi16ELi32ELi32ELi8ELi32ELi8ELi8ELi32ELc84ELc67EKPKS2_S5_KPS2_EEvlllT_PT11_llSA_llS8_PT12_llPT13_lli
    .private_segment_fixed_size: 0
    .sgpr_count:     56
    .sgpr_spill_count: 0
    .symbol:         _ZN12_GLOBAL__N_127rocblas_gemm_batched_kernelI19rocblas_complex_numIdELi16ELi16ELi32ELi32ELi8ELi32ELi8ELi8ELi32ELc84ELc67EKPKS2_S5_KPS2_EEvlllT_PT11_llSA_llS8_PT12_llPT13_lli.kd
    .uniform_work_group_size: 1
    .uses_dynamic_stack: false
    .vgpr_count:     56
    .vgpr_spill_count: 0
    .wavefront_size: 64
  - .agpr_count:     0
    .args:
      - .offset:         0
        .size:           8
        .value_kind:     by_value
      - .offset:         8
        .size:           8
        .value_kind:     by_value
      - .offset:         16
        .size:           8
        .value_kind:     by_value
      - .offset:         24
        .size:           16
        .value_kind:     by_value
      - .address_space:  global
        .offset:         40
        .size:           8
        .value_kind:     global_buffer
      - .offset:         48
        .size:           8
        .value_kind:     by_value
      - .offset:         56
        .size:           8
        .value_kind:     by_value
      - .address_space:  global
        .offset:         64
        .size:           8
        .value_kind:     global_buffer
      - .offset:         72
        .size:           8
        .value_kind:     by_value
      - .offset:         80
        .size:           8
        .value_kind:     by_value
      - .offset:         88
        .size:           16
        .value_kind:     by_value
      - .address_space:  global
        .offset:         104
        .size:           8
        .value_kind:     global_buffer
      - .offset:         112
        .size:           8
        .value_kind:     by_value
      - .offset:         120
        .size:           8
        .value_kind:     by_value
      - .address_space:  global
        .offset:         128
        .size:           8
        .value_kind:     global_buffer
      - .offset:         136
        .size:           8
        .value_kind:     by_value
      - .offset:         144
        .size:           8
        .value_kind:     by_value
      - .offset:         152
        .size:           4
        .value_kind:     by_value
    .group_segment_fixed_size: 8192
    .kernarg_segment_align: 8
    .kernarg_segment_size: 156
    .language:       OpenCL C
    .language_version:
      - 2
      - 0
    .max_flat_workgroup_size: 256
    .name:           _ZN12_GLOBAL__N_135rocblas_gemm_batched_general_kernelI19rocblas_complex_numIdELi16ELi16ELi32ELi32ELi8ELi32ELi8ELi8ELi32ELc78ELc78EKPKS2_S5_KPS2_EEvlllT_PT11_llSA_llS8_PT12_llPT13_lli
    .private_segment_fixed_size: 0
    .sgpr_count:     56
    .sgpr_spill_count: 0
    .symbol:         _ZN12_GLOBAL__N_135rocblas_gemm_batched_general_kernelI19rocblas_complex_numIdELi16ELi16ELi32ELi32ELi8ELi32ELi8ELi8ELi32ELc78ELc78EKPKS2_S5_KPS2_EEvlllT_PT11_llSA_llS8_PT12_llPT13_lli.kd
    .uniform_work_group_size: 1
    .uses_dynamic_stack: false
    .vgpr_count:     60
    .vgpr_spill_count: 0
    .wavefront_size: 64
  - .agpr_count:     0
    .args:
      - .offset:         0
        .size:           8
        .value_kind:     by_value
      - .offset:         8
        .size:           8
        .value_kind:     by_value
      - .offset:         16
        .size:           8
        .value_kind:     by_value
      - .offset:         24
        .size:           16
        .value_kind:     by_value
      - .address_space:  global
        .offset:         40
        .size:           8
        .value_kind:     global_buffer
      - .offset:         48
        .size:           8
        .value_kind:     by_value
      - .offset:         56
        .size:           8
        .value_kind:     by_value
      - .address_space:  global
        .offset:         64
        .size:           8
        .value_kind:     global_buffer
      - .offset:         72
        .size:           8
        .value_kind:     by_value
      - .offset:         80
        .size:           8
        .value_kind:     by_value
      - .offset:         88
        .size:           16
        .value_kind:     by_value
      - .address_space:  global
        .offset:         104
        .size:           8
        .value_kind:     global_buffer
      - .offset:         112
        .size:           8
        .value_kind:     by_value
      - .offset:         120
        .size:           8
        .value_kind:     by_value
      - .address_space:  global
        .offset:         128
        .size:           8
        .value_kind:     global_buffer
      - .offset:         136
        .size:           8
        .value_kind:     by_value
      - .offset:         144
        .size:           8
        .value_kind:     by_value
      - .offset:         152
        .size:           4
        .value_kind:     by_value
    .group_segment_fixed_size: 8192
    .kernarg_segment_align: 8
    .kernarg_segment_size: 156
    .language:       OpenCL C
    .language_version:
      - 2
      - 0
    .max_flat_workgroup_size: 256
    .name:           _ZN12_GLOBAL__N_135rocblas_gemm_batched_general_kernelI19rocblas_complex_numIdELi16ELi16ELi32ELi32ELi8ELi32ELi8ELi8ELi32ELc84ELc78EKPKS2_S5_KPS2_EEvlllT_PT11_llSA_llS8_PT12_llPT13_lli
    .private_segment_fixed_size: 0
    .sgpr_count:     56
    .sgpr_spill_count: 0
    .symbol:         _ZN12_GLOBAL__N_135rocblas_gemm_batched_general_kernelI19rocblas_complex_numIdELi16ELi16ELi32ELi32ELi8ELi32ELi8ELi8ELi32ELc84ELc78EKPKS2_S5_KPS2_EEvlllT_PT11_llSA_llS8_PT12_llPT13_lli.kd
    .uniform_work_group_size: 1
    .uses_dynamic_stack: false
    .vgpr_count:     60
    .vgpr_spill_count: 0
    .wavefront_size: 64
  - .agpr_count:     0
    .args:
      - .offset:         0
        .size:           8
        .value_kind:     by_value
      - .offset:         8
        .size:           8
        .value_kind:     by_value
      - .offset:         16
        .size:           8
        .value_kind:     by_value
      - .offset:         24
        .size:           16
        .value_kind:     by_value
      - .address_space:  global
        .offset:         40
        .size:           8
        .value_kind:     global_buffer
      - .offset:         48
        .size:           8
        .value_kind:     by_value
      - .offset:         56
        .size:           8
        .value_kind:     by_value
      - .address_space:  global
        .offset:         64
        .size:           8
        .value_kind:     global_buffer
      - .offset:         72
        .size:           8
        .value_kind:     by_value
      - .offset:         80
        .size:           8
        .value_kind:     by_value
      - .offset:         88
        .size:           16
        .value_kind:     by_value
      - .address_space:  global
        .offset:         104
        .size:           8
        .value_kind:     global_buffer
      - .offset:         112
        .size:           8
        .value_kind:     by_value
      - .offset:         120
        .size:           8
        .value_kind:     by_value
      - .address_space:  global
        .offset:         128
        .size:           8
        .value_kind:     global_buffer
      - .offset:         136
        .size:           8
        .value_kind:     by_value
      - .offset:         144
        .size:           8
        .value_kind:     by_value
      - .offset:         152
        .size:           4
        .value_kind:     by_value
    .group_segment_fixed_size: 8192
    .kernarg_segment_align: 8
    .kernarg_segment_size: 156
    .language:       OpenCL C
    .language_version:
      - 2
      - 0
    .max_flat_workgroup_size: 256
    .name:           _ZN12_GLOBAL__N_135rocblas_gemm_batched_general_kernelI19rocblas_complex_numIdELi16ELi16ELi32ELi32ELi8ELi32ELi8ELi8ELi32ELc78ELc84EKPKS2_S5_KPS2_EEvlllT_PT11_llSA_llS8_PT12_llPT13_lli
    .private_segment_fixed_size: 0
    .sgpr_count:     58
    .sgpr_spill_count: 0
    .symbol:         _ZN12_GLOBAL__N_135rocblas_gemm_batched_general_kernelI19rocblas_complex_numIdELi16ELi16ELi32ELi32ELi8ELi32ELi8ELi8ELi32ELc78ELc84EKPKS2_S5_KPS2_EEvlllT_PT11_llSA_llS8_PT12_llPT13_lli.kd
    .uniform_work_group_size: 1
    .uses_dynamic_stack: false
    .vgpr_count:     60
    .vgpr_spill_count: 0
    .wavefront_size: 64
  - .agpr_count:     0
    .args:
      - .offset:         0
        .size:           8
        .value_kind:     by_value
      - .offset:         8
        .size:           8
        .value_kind:     by_value
      - .offset:         16
        .size:           8
        .value_kind:     by_value
      - .offset:         24
        .size:           16
        .value_kind:     by_value
      - .address_space:  global
        .offset:         40
        .size:           8
        .value_kind:     global_buffer
      - .offset:         48
        .size:           8
        .value_kind:     by_value
      - .offset:         56
        .size:           8
        .value_kind:     by_value
      - .address_space:  global
        .offset:         64
        .size:           8
        .value_kind:     global_buffer
      - .offset:         72
        .size:           8
        .value_kind:     by_value
      - .offset:         80
        .size:           8
        .value_kind:     by_value
      - .offset:         88
        .size:           16
        .value_kind:     by_value
      - .address_space:  global
        .offset:         104
        .size:           8
        .value_kind:     global_buffer
      - .offset:         112
        .size:           8
        .value_kind:     by_value
      - .offset:         120
        .size:           8
        .value_kind:     by_value
      - .address_space:  global
        .offset:         128
        .size:           8
        .value_kind:     global_buffer
      - .offset:         136
        .size:           8
        .value_kind:     by_value
      - .offset:         144
        .size:           8
        .value_kind:     by_value
      - .offset:         152
        .size:           4
        .value_kind:     by_value
    .group_segment_fixed_size: 8192
    .kernarg_segment_align: 8
    .kernarg_segment_size: 156
    .language:       OpenCL C
    .language_version:
      - 2
      - 0
    .max_flat_workgroup_size: 256
    .name:           _ZN12_GLOBAL__N_135rocblas_gemm_batched_general_kernelI19rocblas_complex_numIdELi16ELi16ELi32ELi32ELi8ELi32ELi8ELi8ELi32ELc84ELc84EKPKS2_S5_KPS2_EEvlllT_PT11_llSA_llS8_PT12_llPT13_lli
    .private_segment_fixed_size: 0
    .sgpr_count:     56
    .sgpr_spill_count: 0
    .symbol:         _ZN12_GLOBAL__N_135rocblas_gemm_batched_general_kernelI19rocblas_complex_numIdELi16ELi16ELi32ELi32ELi8ELi32ELi8ELi8ELi32ELc84ELc84EKPKS2_S5_KPS2_EEvlllT_PT11_llSA_llS8_PT12_llPT13_lli.kd
    .uniform_work_group_size: 1
    .uses_dynamic_stack: false
    .vgpr_count:     60
    .vgpr_spill_count: 0
    .wavefront_size: 64
  - .agpr_count:     0
    .args:
      - .offset:         0
        .size:           8
        .value_kind:     by_value
      - .offset:         8
        .size:           8
        .value_kind:     by_value
      - .offset:         16
        .size:           8
        .value_kind:     by_value
      - .offset:         24
        .size:           16
        .value_kind:     by_value
      - .address_space:  global
        .offset:         40
        .size:           8
        .value_kind:     global_buffer
      - .offset:         48
        .size:           8
        .value_kind:     by_value
      - .offset:         56
        .size:           8
        .value_kind:     by_value
      - .address_space:  global
        .offset:         64
        .size:           8
        .value_kind:     global_buffer
      - .offset:         72
        .size:           8
        .value_kind:     by_value
      - .offset:         80
        .size:           8
        .value_kind:     by_value
      - .offset:         88
        .size:           16
        .value_kind:     by_value
      - .address_space:  global
        .offset:         104
        .size:           8
        .value_kind:     global_buffer
      - .offset:         112
        .size:           8
        .value_kind:     by_value
      - .offset:         120
        .size:           8
        .value_kind:     by_value
      - .address_space:  global
        .offset:         128
        .size:           8
        .value_kind:     global_buffer
      - .offset:         136
        .size:           8
        .value_kind:     by_value
      - .offset:         144
        .size:           8
        .value_kind:     by_value
      - .offset:         152
        .size:           4
        .value_kind:     by_value
    .group_segment_fixed_size: 8192
    .kernarg_segment_align: 8
    .kernarg_segment_size: 156
    .language:       OpenCL C
    .language_version:
      - 2
      - 0
    .max_flat_workgroup_size: 256
    .name:           _ZN12_GLOBAL__N_135rocblas_gemm_batched_general_kernelI19rocblas_complex_numIdELi16ELi16ELi32ELi32ELi8ELi32ELi8ELi8ELi32ELc67ELc67EKPKS2_S5_KPS2_EEvlllT_PT11_llSA_llS8_PT12_llPT13_lli
    .private_segment_fixed_size: 0
    .sgpr_count:     58
    .sgpr_spill_count: 0
    .symbol:         _ZN12_GLOBAL__N_135rocblas_gemm_batched_general_kernelI19rocblas_complex_numIdELi16ELi16ELi32ELi32ELi8ELi32ELi8ELi8ELi32ELc67ELc67EKPKS2_S5_KPS2_EEvlllT_PT11_llSA_llS8_PT12_llPT13_lli.kd
    .uniform_work_group_size: 1
    .uses_dynamic_stack: false
    .vgpr_count:     60
    .vgpr_spill_count: 0
    .wavefront_size: 64
  - .agpr_count:     0
    .args:
      - .offset:         0
        .size:           8
        .value_kind:     by_value
      - .offset:         8
        .size:           8
        .value_kind:     by_value
      - .offset:         16
        .size:           8
        .value_kind:     by_value
      - .offset:         24
        .size:           16
        .value_kind:     by_value
      - .address_space:  global
        .offset:         40
        .size:           8
        .value_kind:     global_buffer
      - .offset:         48
        .size:           8
        .value_kind:     by_value
      - .offset:         56
        .size:           8
        .value_kind:     by_value
      - .address_space:  global
        .offset:         64
        .size:           8
        .value_kind:     global_buffer
      - .offset:         72
        .size:           8
        .value_kind:     by_value
      - .offset:         80
        .size:           8
        .value_kind:     by_value
      - .offset:         88
        .size:           16
        .value_kind:     by_value
      - .address_space:  global
        .offset:         104
        .size:           8
        .value_kind:     global_buffer
      - .offset:         112
        .size:           8
        .value_kind:     by_value
      - .offset:         120
        .size:           8
        .value_kind:     by_value
      - .address_space:  global
        .offset:         128
        .size:           8
        .value_kind:     global_buffer
      - .offset:         136
        .size:           8
        .value_kind:     by_value
      - .offset:         144
        .size:           8
        .value_kind:     by_value
      - .offset:         152
        .size:           4
        .value_kind:     by_value
    .group_segment_fixed_size: 8192
    .kernarg_segment_align: 8
    .kernarg_segment_size: 156
    .language:       OpenCL C
    .language_version:
      - 2
      - 0
    .max_flat_workgroup_size: 256
    .name:           _ZN12_GLOBAL__N_135rocblas_gemm_batched_general_kernelI19rocblas_complex_numIdELi16ELi16ELi32ELi32ELi8ELi32ELi8ELi8ELi32ELc67ELc78EKPKS2_S5_KPS2_EEvlllT_PT11_llSA_llS8_PT12_llPT13_lli
    .private_segment_fixed_size: 0
    .sgpr_count:     56
    .sgpr_spill_count: 0
    .symbol:         _ZN12_GLOBAL__N_135rocblas_gemm_batched_general_kernelI19rocblas_complex_numIdELi16ELi16ELi32ELi32ELi8ELi32ELi8ELi8ELi32ELc67ELc78EKPKS2_S5_KPS2_EEvlllT_PT11_llSA_llS8_PT12_llPT13_lli.kd
    .uniform_work_group_size: 1
    .uses_dynamic_stack: false
    .vgpr_count:     62
    .vgpr_spill_count: 0
    .wavefront_size: 64
  - .agpr_count:     0
    .args:
      - .offset:         0
        .size:           8
        .value_kind:     by_value
      - .offset:         8
        .size:           8
        .value_kind:     by_value
      - .offset:         16
        .size:           8
        .value_kind:     by_value
      - .offset:         24
        .size:           16
        .value_kind:     by_value
      - .address_space:  global
        .offset:         40
        .size:           8
        .value_kind:     global_buffer
      - .offset:         48
        .size:           8
        .value_kind:     by_value
      - .offset:         56
        .size:           8
        .value_kind:     by_value
      - .address_space:  global
        .offset:         64
        .size:           8
        .value_kind:     global_buffer
      - .offset:         72
        .size:           8
        .value_kind:     by_value
      - .offset:         80
        .size:           8
        .value_kind:     by_value
      - .offset:         88
        .size:           16
        .value_kind:     by_value
      - .address_space:  global
        .offset:         104
        .size:           8
        .value_kind:     global_buffer
      - .offset:         112
        .size:           8
        .value_kind:     by_value
      - .offset:         120
        .size:           8
        .value_kind:     by_value
      - .address_space:  global
        .offset:         128
        .size:           8
        .value_kind:     global_buffer
      - .offset:         136
        .size:           8
        .value_kind:     by_value
      - .offset:         144
        .size:           8
        .value_kind:     by_value
      - .offset:         152
        .size:           4
        .value_kind:     by_value
    .group_segment_fixed_size: 8192
    .kernarg_segment_align: 8
    .kernarg_segment_size: 156
    .language:       OpenCL C
    .language_version:
      - 2
      - 0
    .max_flat_workgroup_size: 256
    .name:           _ZN12_GLOBAL__N_135rocblas_gemm_batched_general_kernelI19rocblas_complex_numIdELi16ELi16ELi32ELi32ELi8ELi32ELi8ELi8ELi32ELc67ELc84EKPKS2_S5_KPS2_EEvlllT_PT11_llSA_llS8_PT12_llPT13_lli
    .private_segment_fixed_size: 0
    .sgpr_count:     56
    .sgpr_spill_count: 0
    .symbol:         _ZN12_GLOBAL__N_135rocblas_gemm_batched_general_kernelI19rocblas_complex_numIdELi16ELi16ELi32ELi32ELi8ELi32ELi8ELi8ELi32ELc67ELc84EKPKS2_S5_KPS2_EEvlllT_PT11_llSA_llS8_PT12_llPT13_lli.kd
    .uniform_work_group_size: 1
    .uses_dynamic_stack: false
    .vgpr_count:     62
    .vgpr_spill_count: 0
    .wavefront_size: 64
  - .agpr_count:     0
    .args:
      - .offset:         0
        .size:           8
        .value_kind:     by_value
      - .offset:         8
        .size:           8
        .value_kind:     by_value
      - .offset:         16
        .size:           8
        .value_kind:     by_value
      - .offset:         24
        .size:           16
        .value_kind:     by_value
      - .address_space:  global
        .offset:         40
        .size:           8
        .value_kind:     global_buffer
      - .offset:         48
        .size:           8
        .value_kind:     by_value
      - .offset:         56
        .size:           8
        .value_kind:     by_value
      - .address_space:  global
        .offset:         64
        .size:           8
        .value_kind:     global_buffer
      - .offset:         72
        .size:           8
        .value_kind:     by_value
      - .offset:         80
        .size:           8
        .value_kind:     by_value
      - .offset:         88
        .size:           16
        .value_kind:     by_value
      - .address_space:  global
        .offset:         104
        .size:           8
        .value_kind:     global_buffer
      - .offset:         112
        .size:           8
        .value_kind:     by_value
      - .offset:         120
        .size:           8
        .value_kind:     by_value
      - .address_space:  global
        .offset:         128
        .size:           8
        .value_kind:     global_buffer
      - .offset:         136
        .size:           8
        .value_kind:     by_value
      - .offset:         144
        .size:           8
        .value_kind:     by_value
      - .offset:         152
        .size:           4
        .value_kind:     by_value
    .group_segment_fixed_size: 8192
    .kernarg_segment_align: 8
    .kernarg_segment_size: 156
    .language:       OpenCL C
    .language_version:
      - 2
      - 0
    .max_flat_workgroup_size: 256
    .name:           _ZN12_GLOBAL__N_135rocblas_gemm_batched_general_kernelI19rocblas_complex_numIdELi16ELi16ELi32ELi32ELi8ELi32ELi8ELi8ELi32ELc78ELc67EKPKS2_S5_KPS2_EEvlllT_PT11_llSA_llS8_PT12_llPT13_lli
    .private_segment_fixed_size: 0
    .sgpr_count:     58
    .sgpr_spill_count: 0
    .symbol:         _ZN12_GLOBAL__N_135rocblas_gemm_batched_general_kernelI19rocblas_complex_numIdELi16ELi16ELi32ELi32ELi8ELi32ELi8ELi8ELi32ELc78ELc67EKPKS2_S5_KPS2_EEvlllT_PT11_llSA_llS8_PT12_llPT13_lli.kd
    .uniform_work_group_size: 1
    .uses_dynamic_stack: false
    .vgpr_count:     60
    .vgpr_spill_count: 0
    .wavefront_size: 64
  - .agpr_count:     0
    .args:
      - .offset:         0
        .size:           8
        .value_kind:     by_value
      - .offset:         8
        .size:           8
        .value_kind:     by_value
      - .offset:         16
        .size:           8
        .value_kind:     by_value
      - .offset:         24
        .size:           16
        .value_kind:     by_value
      - .address_space:  global
        .offset:         40
        .size:           8
        .value_kind:     global_buffer
      - .offset:         48
        .size:           8
        .value_kind:     by_value
      - .offset:         56
        .size:           8
        .value_kind:     by_value
      - .address_space:  global
        .offset:         64
        .size:           8
        .value_kind:     global_buffer
      - .offset:         72
        .size:           8
        .value_kind:     by_value
      - .offset:         80
        .size:           8
        .value_kind:     by_value
      - .offset:         88
        .size:           16
        .value_kind:     by_value
      - .address_space:  global
        .offset:         104
        .size:           8
        .value_kind:     global_buffer
      - .offset:         112
        .size:           8
        .value_kind:     by_value
      - .offset:         120
        .size:           8
        .value_kind:     by_value
      - .address_space:  global
        .offset:         128
        .size:           8
        .value_kind:     global_buffer
      - .offset:         136
        .size:           8
        .value_kind:     by_value
      - .offset:         144
        .size:           8
        .value_kind:     by_value
      - .offset:         152
        .size:           4
        .value_kind:     by_value
    .group_segment_fixed_size: 8192
    .kernarg_segment_align: 8
    .kernarg_segment_size: 156
    .language:       OpenCL C
    .language_version:
      - 2
      - 0
    .max_flat_workgroup_size: 256
    .name:           _ZN12_GLOBAL__N_135rocblas_gemm_batched_general_kernelI19rocblas_complex_numIdELi16ELi16ELi32ELi32ELi8ELi32ELi8ELi8ELi32ELc84ELc67EKPKS2_S5_KPS2_EEvlllT_PT11_llSA_llS8_PT12_llPT13_lli
    .private_segment_fixed_size: 0
    .sgpr_count:     56
    .sgpr_spill_count: 0
    .symbol:         _ZN12_GLOBAL__N_135rocblas_gemm_batched_general_kernelI19rocblas_complex_numIdELi16ELi16ELi32ELi32ELi8ELi32ELi8ELi8ELi32ELc84ELc67EKPKS2_S5_KPS2_EEvlllT_PT11_llSA_llS8_PT12_llPT13_lli.kd
    .uniform_work_group_size: 1
    .uses_dynamic_stack: false
    .vgpr_count:     60
    .vgpr_spill_count: 0
    .wavefront_size: 64
amdhsa.target:   amdgcn-amd-amdhsa--gfx90a
amdhsa.version:
  - 1
  - 2
...

	.end_amdgpu_metadata
